;; amdgpu-corpus repo=pytorch/pytorch kind=compiled arch=gfx90a opt=O3
	.text
	.amdgcn_target "amdgcn-amd-amdhsa--gfx90a"
	.amdhsa_code_object_version 6
	.section	.text._ZN2at6native16triu_tril_kernelIhiLb0ELi4ELb1EEEvNS_4cuda6detail10TensorInfoIT_T0_EENS4_IKS5_S6_EEllS6_,"axG",@progbits,_ZN2at6native16triu_tril_kernelIhiLb0ELi4ELb1EEEvNS_4cuda6detail10TensorInfoIT_T0_EENS4_IKS5_S6_EEllS6_,comdat
	.protected	_ZN2at6native16triu_tril_kernelIhiLb0ELi4ELb1EEEvNS_4cuda6detail10TensorInfoIT_T0_EENS4_IKS5_S6_EEllS6_ ; -- Begin function _ZN2at6native16triu_tril_kernelIhiLb0ELi4ELb1EEEvNS_4cuda6detail10TensorInfoIT_T0_EENS4_IKS5_S6_EEllS6_
	.globl	_ZN2at6native16triu_tril_kernelIhiLb0ELi4ELb1EEEvNS_4cuda6detail10TensorInfoIT_T0_EENS4_IKS5_S6_EEllS6_
	.p2align	8
	.type	_ZN2at6native16triu_tril_kernelIhiLb0ELi4ELb1EEEvNS_4cuda6detail10TensorInfoIT_T0_EENS4_IKS5_S6_EEllS6_,@function
_ZN2at6native16triu_tril_kernelIhiLb0ELi4ELb1EEEvNS_4cuda6detail10TensorInfoIT_T0_EENS4_IKS5_S6_EEllS6_: ; @_ZN2at6native16triu_tril_kernelIhiLb0ELi4ELb1EEEvNS_4cuda6detail10TensorInfoIT_T0_EENS4_IKS5_S6_EEllS6_
; %bb.0:
	s_load_dword s2, s[4:5], 0x1d4
	s_load_dwordx4 s[8:11], s[4:5], 0x1b0
	s_add_u32 s0, s4, 0x1c8
	v_mov_b32_e32 v2, 0
	s_addc_u32 s1, s5, 0
	s_waitcnt lgkmcnt(0)
	s_and_b32 s7, s2, 0xffff
	v_mov_b32_e32 v1, v2
	v_mov_b32_e32 v3, s6
	v_mad_u64_u32 v[0:1], s[2:3], s7, v3, v[0:1]
	v_lshlrev_b64 v[0:1], 2, v[0:1]
	v_cmp_gt_i64_e32 vcc, s[10:11], v[0:1]
	s_and_saveexec_b64 s[2:3], vcc
	s_cbranch_execz .LBB0_69
; %bb.1:
	s_load_dword s33, s[4:5], 0x1c0
	s_load_dword s14, s[4:5], 0x1a8
	;; [unrolled: 1-line block ×3, first 2 shown]
	s_load_dwordx2 s[2:3], s[4:5], 0x0
	s_mov_b64 s[22:23], 0
	s_waitcnt lgkmcnt(0)
	s_ashr_i32 s38, s33, 31
	s_ashr_i32 s15, s14, 31
	s_add_u32 s39, s4, 0xe0
	s_addc_u32 s40, s5, 0
	s_add_i32 s0, s14, -2
	s_ashr_i32 s1, s0, 31
	s_lshl_b64 s[12:13], s[0:1], 2
	s_add_u32 s16, s39, s12
	s_addc_u32 s17, s40, s13
	s_load_dword s41, s[16:17], 0x0
	s_lshl_b64 s[16:17], s[14:15], 2
	s_mul_i32 s1, s6, s7
	v_cmp_gt_i64_e64 s[6:7], s[14:15], 2
	v_cvt_f32_u32_e32 v3, s33
	s_waitcnt lgkmcnt(0)
	s_ashr_i32 s42, s41, 31
	s_add_u32 s15, s16, -4
	s_addc_u32 s16, s17, -1
	s_add_u32 s43, s4, 0x6c
	s_addc_u32 s44, s5, 0
	s_add_u32 s4, s43, s15
	v_rcp_iflag_f32_e32 v3, v3
	s_addc_u32 s5, s44, s16
	s_add_u32 s12, s43, s12
	s_addc_u32 s13, s44, s13
	s_add_i32 s45, s14, -3
	s_add_u32 s14, s39, s15
	v_mul_f32_e32 v3, 0x4f7ffffe, v3
	s_addc_u32 s15, s40, s16
	s_lshl_b32 s46, s1, 2
	s_and_b32 s48, s0, 7
	v_cvt_u32_f32_e32 v26, v3
	s_cmp_lg_u32 s48, 0
	s_mov_b32 s17, 0
	s_cselect_b64 s[18:19], -1, 0
	s_cmp_gt_u32 s45, 6
	s_mov_b32 s47, s17
	s_cselect_b64 s[20:21], -1, 0
	s_branch .LBB0_3
.LBB0_2:                                ;   in Loop: Header=BB0_3 Depth=1
	s_or_b64 exec, exec, s[24:25]
	v_mov_b32_e32 v3, s47
	v_add_co_u32_e32 v0, vcc, s46, v0
	v_addc_co_u32_e32 v1, vcc, v1, v3, vcc
	v_cmp_le_i64_e32 vcc, s[10:11], v[0:1]
	s_or_b64 s[22:23], vcc, s[22:23]
	s_andn2_b64 exec, exec, s[22:23]
	s_cbranch_execz .LBB0_69
.LBB0_3:                                ; =>This Loop Header: Depth=1
                                        ;     Child Loop BB0_16 Depth 2
                                        ;     Child Loop BB0_23 Depth 2
	v_or_b32_e32 v3, s38, v1
	v_cmp_ne_u64_e32 vcc, 0, v[2:3]
                                        ; implicit-def: $vgpr4_vgpr5
	s_and_saveexec_b64 s[0:1], vcc
	s_xor_b64 s[24:25], exec, s[0:1]
	s_cbranch_execz .LBB0_5
; %bb.4:                                ;   in Loop: Header=BB0_3 Depth=1
	s_add_u32 s0, s33, s38
	s_mov_b32 s26, s38
	s_mov_b32 s27, s38
	s_addc_u32 s1, s38, s38
	s_xor_b64 s[28:29], s[0:1], s[26:27]
	v_cvt_f32_u32_e32 v3, s28
	v_cvt_f32_u32_e32 v4, s29
	s_sub_u32 s0, 0, s28
	s_subb_u32 s1, 0, s29
	v_mac_f32_e32 v3, 0x4f800000, v4
	v_rcp_f32_e32 v3, v3
	v_mul_f32_e32 v3, 0x5f7ffffc, v3
	v_mul_f32_e32 v4, 0x2f800000, v3
	v_trunc_f32_e32 v4, v4
	v_mac_f32_e32 v3, 0xcf800000, v4
	v_cvt_u32_f32_e32 v4, v4
	v_cvt_u32_f32_e32 v3, v3
	v_mul_lo_u32 v5, s0, v4
	v_mul_hi_u32 v7, s0, v3
	v_mul_lo_u32 v6, s1, v3
	v_add_u32_e32 v5, v7, v5
	v_mul_lo_u32 v8, s0, v3
	v_add_u32_e32 v5, v5, v6
	v_mul_lo_u32 v7, v3, v5
	v_mul_hi_u32 v9, v3, v8
	v_mul_hi_u32 v6, v3, v5
	v_add_co_u32_e32 v7, vcc, v9, v7
	v_addc_co_u32_e32 v6, vcc, 0, v6, vcc
	v_mul_hi_u32 v10, v4, v8
	v_mul_lo_u32 v8, v4, v8
	v_add_co_u32_e32 v7, vcc, v7, v8
	v_mul_hi_u32 v9, v4, v5
	v_addc_co_u32_e32 v6, vcc, v6, v10, vcc
	v_addc_co_u32_e32 v7, vcc, 0, v9, vcc
	v_mul_lo_u32 v5, v4, v5
	v_add_co_u32_e32 v5, vcc, v6, v5
	v_addc_co_u32_e32 v6, vcc, 0, v7, vcc
	v_add_co_u32_e32 v3, vcc, v3, v5
	v_addc_co_u32_e32 v4, vcc, v4, v6, vcc
	v_mul_lo_u32 v5, s0, v4
	v_mul_hi_u32 v6, s0, v3
	v_add_u32_e32 v5, v6, v5
	v_mul_lo_u32 v6, s1, v3
	v_add_u32_e32 v5, v5, v6
	v_mul_lo_u32 v7, s0, v3
	v_mul_hi_u32 v8, v4, v7
	v_mul_lo_u32 v9, v4, v7
	v_mul_lo_u32 v11, v3, v5
	v_mul_hi_u32 v7, v3, v7
	v_mul_hi_u32 v10, v3, v5
	v_add_co_u32_e32 v7, vcc, v7, v11
	v_addc_co_u32_e32 v10, vcc, 0, v10, vcc
	v_add_co_u32_e32 v7, vcc, v7, v9
	v_mul_hi_u32 v6, v4, v5
	v_addc_co_u32_e32 v7, vcc, v10, v8, vcc
	v_addc_co_u32_e32 v6, vcc, 0, v6, vcc
	v_mul_lo_u32 v5, v4, v5
	v_add_co_u32_e32 v5, vcc, v7, v5
	v_addc_co_u32_e32 v6, vcc, 0, v6, vcc
	v_add_co_u32_e32 v3, vcc, v3, v5
	v_addc_co_u32_e32 v6, vcc, v4, v6, vcc
	v_ashrrev_i32_e32 v8, 31, v1
	v_add_co_u32_e32 v4, vcc, v0, v8
	v_addc_co_u32_e32 v5, vcc, v1, v8, vcc
	v_xor_b32_e32 v10, v4, v8
	v_xor_b32_e32 v9, v5, v8
	v_mad_u64_u32 v[4:5], s[0:1], v10, v6, 0
	v_mul_hi_u32 v7, v10, v3
	v_add_co_u32_e32 v11, vcc, v7, v4
	v_addc_co_u32_e32 v12, vcc, 0, v5, vcc
	v_mad_u64_u32 v[4:5], s[0:1], v9, v6, 0
	v_mad_u64_u32 v[6:7], s[0:1], v9, v3, 0
	v_add_co_u32_e32 v3, vcc, v11, v6
	v_addc_co_u32_e32 v3, vcc, v12, v7, vcc
	v_addc_co_u32_e32 v5, vcc, 0, v5, vcc
	v_add_co_u32_e32 v3, vcc, v3, v4
	v_addc_co_u32_e32 v6, vcc, 0, v5, vcc
	v_mul_lo_u32 v7, s29, v3
	v_mul_lo_u32 v11, s28, v6
	v_mad_u64_u32 v[4:5], s[0:1], s28, v3, 0
	v_add3_u32 v5, v5, v11, v7
	v_sub_u32_e32 v7, v9, v5
	v_mov_b32_e32 v11, s29
	v_sub_co_u32_e32 v4, vcc, v10, v4
	v_subb_co_u32_e64 v7, s[0:1], v7, v11, vcc
	v_subrev_co_u32_e64 v10, s[0:1], s28, v4
	v_subbrev_co_u32_e64 v7, s[0:1], 0, v7, s[0:1]
	v_cmp_le_u32_e64 s[0:1], s29, v7
	v_cndmask_b32_e64 v11, 0, -1, s[0:1]
	v_cmp_le_u32_e64 s[0:1], s28, v10
	v_cndmask_b32_e64 v10, 0, -1, s[0:1]
	v_cmp_eq_u32_e64 s[0:1], s29, v7
	v_cndmask_b32_e64 v7, v11, v10, s[0:1]
	v_add_co_u32_e64 v10, s[0:1], 2, v3
	v_subb_co_u32_e32 v5, vcc, v9, v5, vcc
	v_addc_co_u32_e64 v11, s[0:1], 0, v6, s[0:1]
	v_cmp_le_u32_e32 vcc, s29, v5
	v_add_co_u32_e64 v12, s[0:1], 1, v3
	v_cndmask_b32_e64 v9, 0, -1, vcc
	v_cmp_le_u32_e32 vcc, s28, v4
	v_addc_co_u32_e64 v13, s[0:1], 0, v6, s[0:1]
	v_cndmask_b32_e64 v4, 0, -1, vcc
	v_cmp_eq_u32_e32 vcc, s29, v5
	v_cmp_ne_u32_e64 s[0:1], 0, v7
	v_cndmask_b32_e32 v4, v9, v4, vcc
	v_cndmask_b32_e64 v7, v13, v11, s[0:1]
	v_cmp_ne_u32_e32 vcc, 0, v4
	v_cndmask_b32_e64 v5, v12, v10, s[0:1]
	v_cndmask_b32_e32 v4, v6, v7, vcc
	v_cndmask_b32_e32 v3, v3, v5, vcc
	v_xor_b32_e32 v6, s26, v8
	v_xor_b32_e32 v5, s27, v8
	;; [unrolled: 1-line block ×4, first 2 shown]
	v_sub_co_u32_e32 v4, vcc, v3, v6
	v_subb_co_u32_e32 v5, vcc, v7, v5, vcc
.LBB0_5:                                ;   in Loop: Header=BB0_3 Depth=1
	s_andn2_saveexec_b64 s[0:1], s[24:25]
	s_cbranch_execz .LBB0_7
; %bb.6:                                ;   in Loop: Header=BB0_3 Depth=1
	s_sub_i32 s16, 0, s33
	v_mul_lo_u32 v3, s16, v26
	v_mul_hi_u32 v3, v26, v3
	v_add_u32_e32 v3, v26, v3
	v_mul_hi_u32 v3, v0, v3
	v_mul_lo_u32 v4, v3, s33
	v_sub_u32_e32 v4, v0, v4
	v_subrev_u32_e32 v5, s33, v4
	v_cmp_le_u32_e32 vcc, s33, v4
	v_cndmask_b32_e32 v4, v4, v5, vcc
	v_add_u32_e32 v5, 1, v3
	v_cndmask_b32_e32 v3, v3, v5, vcc
	v_add_u32_e32 v5, 1, v3
	v_cmp_le_u32_e32 vcc, s33, v4
	v_cndmask_b32_e32 v4, v3, v5, vcc
	v_mov_b32_e32 v5, v2
.LBB0_7:                                ;   in Loop: Header=BB0_3 Depth=1
	s_or_b64 exec, exec, s[0:1]
	v_or_b32_e32 v3, s42, v5
	v_cmp_ne_u64_e32 vcc, 0, v[2:3]
                                        ; implicit-def: $vgpr8_vgpr9
	s_and_saveexec_b64 s[0:1], vcc
	s_xor_b64 s[24:25], exec, s[0:1]
	s_cbranch_execz .LBB0_9
; %bb.8:                                ;   in Loop: Header=BB0_3 Depth=1
	s_add_u32 s0, s41, s42
	s_mov_b32 s26, s42
	s_mov_b32 s27, s42
	s_addc_u32 s1, s42, s42
	s_xor_b64 s[28:29], s[0:1], s[26:27]
	v_cvt_f32_u32_e32 v3, s28
	v_cvt_f32_u32_e32 v6, s29
	s_sub_u32 s0, 0, s28
	s_subb_u32 s1, 0, s29
	v_mac_f32_e32 v3, 0x4f800000, v6
	v_rcp_f32_e32 v3, v3
	v_mul_f32_e32 v3, 0x5f7ffffc, v3
	v_mul_f32_e32 v6, 0x2f800000, v3
	v_trunc_f32_e32 v6, v6
	v_mac_f32_e32 v3, 0xcf800000, v6
	v_cvt_u32_f32_e32 v6, v6
	v_cvt_u32_f32_e32 v3, v3
	v_mul_lo_u32 v7, s0, v6
	v_mul_hi_u32 v9, s0, v3
	v_mul_lo_u32 v8, s1, v3
	v_add_u32_e32 v7, v9, v7
	v_mul_lo_u32 v10, s0, v3
	v_add_u32_e32 v7, v7, v8
	v_mul_lo_u32 v9, v3, v7
	v_mul_hi_u32 v11, v3, v10
	v_mul_hi_u32 v8, v3, v7
	v_add_co_u32_e32 v9, vcc, v11, v9
	v_addc_co_u32_e32 v8, vcc, 0, v8, vcc
	v_mul_hi_u32 v12, v6, v10
	v_mul_lo_u32 v10, v6, v10
	v_add_co_u32_e32 v9, vcc, v9, v10
	v_mul_hi_u32 v11, v6, v7
	v_addc_co_u32_e32 v8, vcc, v8, v12, vcc
	v_addc_co_u32_e32 v9, vcc, 0, v11, vcc
	v_mul_lo_u32 v7, v6, v7
	v_add_co_u32_e32 v7, vcc, v8, v7
	v_addc_co_u32_e32 v8, vcc, 0, v9, vcc
	v_add_co_u32_e32 v3, vcc, v3, v7
	v_addc_co_u32_e32 v6, vcc, v6, v8, vcc
	v_mul_lo_u32 v7, s0, v6
	v_mul_hi_u32 v8, s0, v3
	v_add_u32_e32 v7, v8, v7
	v_mul_lo_u32 v8, s1, v3
	v_add_u32_e32 v7, v7, v8
	v_mul_lo_u32 v9, s0, v3
	v_mul_hi_u32 v10, v6, v9
	v_mul_lo_u32 v11, v6, v9
	v_mul_lo_u32 v13, v3, v7
	v_mul_hi_u32 v9, v3, v9
	v_mul_hi_u32 v12, v3, v7
	v_add_co_u32_e32 v9, vcc, v9, v13
	v_addc_co_u32_e32 v12, vcc, 0, v12, vcc
	v_add_co_u32_e32 v9, vcc, v9, v11
	v_mul_hi_u32 v8, v6, v7
	v_addc_co_u32_e32 v9, vcc, v12, v10, vcc
	v_addc_co_u32_e32 v8, vcc, 0, v8, vcc
	v_mul_lo_u32 v7, v6, v7
	v_add_co_u32_e32 v7, vcc, v9, v7
	v_addc_co_u32_e32 v8, vcc, 0, v8, vcc
	v_add_co_u32_e32 v3, vcc, v3, v7
	v_addc_co_u32_e32 v8, vcc, v6, v8, vcc
	v_ashrrev_i32_e32 v10, 31, v5
	v_add_co_u32_e32 v6, vcc, v4, v10
	v_xor_b32_e32 v11, v6, v10
	v_addc_co_u32_e32 v5, vcc, v5, v10, vcc
	v_mad_u64_u32 v[6:7], s[0:1], v11, v8, 0
	v_mul_hi_u32 v9, v11, v3
	v_xor_b32_e32 v5, v5, v10
	v_add_co_u32_e32 v12, vcc, v9, v6
	v_addc_co_u32_e32 v13, vcc, 0, v7, vcc
	v_mad_u64_u32 v[6:7], s[0:1], v5, v8, 0
	v_mad_u64_u32 v[8:9], s[0:1], v5, v3, 0
	v_add_co_u32_e32 v3, vcc, v12, v8
	v_addc_co_u32_e32 v3, vcc, v13, v9, vcc
	v_addc_co_u32_e32 v7, vcc, 0, v7, vcc
	v_add_co_u32_e32 v3, vcc, v3, v6
	v_addc_co_u32_e32 v8, vcc, 0, v7, vcc
	v_mul_lo_u32 v9, s29, v3
	v_mul_lo_u32 v12, s28, v8
	v_mad_u64_u32 v[6:7], s[0:1], s28, v3, 0
	v_add3_u32 v7, v7, v12, v9
	v_sub_u32_e32 v9, v5, v7
	v_mov_b32_e32 v12, s29
	v_sub_co_u32_e32 v6, vcc, v11, v6
	v_subb_co_u32_e64 v9, s[0:1], v9, v12, vcc
	v_subrev_co_u32_e64 v11, s[0:1], s28, v6
	v_subbrev_co_u32_e64 v9, s[0:1], 0, v9, s[0:1]
	v_cmp_le_u32_e64 s[0:1], s29, v9
	v_cndmask_b32_e64 v12, 0, -1, s[0:1]
	v_cmp_le_u32_e64 s[0:1], s28, v11
	v_cndmask_b32_e64 v11, 0, -1, s[0:1]
	v_cmp_eq_u32_e64 s[0:1], s29, v9
	v_cndmask_b32_e64 v9, v12, v11, s[0:1]
	v_add_co_u32_e64 v11, s[0:1], 2, v3
	v_subb_co_u32_e32 v5, vcc, v5, v7, vcc
	v_addc_co_u32_e64 v12, s[0:1], 0, v8, s[0:1]
	v_cmp_le_u32_e32 vcc, s29, v5
	v_add_co_u32_e64 v13, s[0:1], 1, v3
	v_cndmask_b32_e64 v7, 0, -1, vcc
	v_cmp_le_u32_e32 vcc, s28, v6
	v_addc_co_u32_e64 v14, s[0:1], 0, v8, s[0:1]
	v_cndmask_b32_e64 v6, 0, -1, vcc
	v_cmp_eq_u32_e32 vcc, s29, v5
	v_cmp_ne_u32_e64 s[0:1], 0, v9
	v_cndmask_b32_e32 v5, v7, v6, vcc
	v_cmp_ne_u32_e32 vcc, 0, v5
	v_cndmask_b32_e64 v6, v13, v11, s[0:1]
	v_cndmask_b32_e64 v9, v14, v12, s[0:1]
	v_cndmask_b32_e32 v3, v3, v6, vcc
	v_xor_b32_e32 v7, s26, v10
	v_cndmask_b32_e32 v5, v8, v9, vcc
	v_xor_b32_e32 v6, s27, v10
	v_xor_b32_e32 v3, v3, v7
	;; [unrolled: 1-line block ×3, first 2 shown]
	v_sub_co_u32_e32 v8, vcc, v3, v7
	v_subb_co_u32_e32 v9, vcc, v5, v6, vcc
.LBB0_9:                                ;   in Loop: Header=BB0_3 Depth=1
	s_andn2_saveexec_b64 s[0:1], s[24:25]
	s_cbranch_execz .LBB0_11
; %bb.10:                               ;   in Loop: Header=BB0_3 Depth=1
	v_cvt_f32_u32_e32 v3, s41
	s_sub_i32 s16, 0, s41
	v_mov_b32_e32 v9, v2
	v_rcp_iflag_f32_e32 v3, v3
	v_mul_f32_e32 v3, 0x4f7ffffe, v3
	v_cvt_u32_f32_e32 v3, v3
	v_mul_lo_u32 v5, s16, v3
	v_mul_hi_u32 v5, v3, v5
	v_add_u32_e32 v3, v3, v5
	v_mul_hi_u32 v3, v4, v3
	v_mul_lo_u32 v5, v3, s41
	v_sub_u32_e32 v5, v4, v5
	v_add_u32_e32 v6, 1, v3
	v_subrev_u32_e32 v7, s41, v5
	v_cmp_le_u32_e32 vcc, s41, v5
	v_cndmask_b32_e32 v5, v5, v7, vcc
	v_cndmask_b32_e32 v3, v3, v6, vcc
	v_add_u32_e32 v6, 1, v3
	v_cmp_le_u32_e32 vcc, s41, v5
	v_cndmask_b32_e32 v8, v3, v6, vcc
.LBB0_11:                               ;   in Loop: Header=BB0_3 Depth=1
	s_or_b64 exec, exec, s[0:1]
	v_mad_u64_u32 v[6:7], s[0:1], v4, s33, 0
	v_sub_co_u32_e32 v28, vcc, v0, v6
	v_mad_u64_u32 v[6:7], s[0:1], v8, s41, 0
	v_sub_co_u32_e32 v27, vcc, v4, v6
	v_sub_u32_e32 v6, v28, v27
	v_add_u32_e32 v4, 4, v6
	v_ashrrev_i32_e32 v5, 31, v4
	v_cmp_lt_i64_e32 vcc, s[8:9], v[4:5]
	s_and_saveexec_b64 s[24:25], vcc
	s_cbranch_execz .LBB0_2
; %bb.12:                               ;   in Loop: Header=BB0_3 Depth=1
	s_load_dword s49, s[4:5], 0x0
	s_load_dword s0, s[12:13], 0x0
	s_andn2_b64 vcc, exec, s[6:7]
	s_waitcnt lgkmcnt(0)
	v_mul_lo_u32 v4, s49, v28
	v_mad_u64_u32 v[4:5], s[0:1], s0, v27, v[4:5]
	s_cbranch_vccnz .LBB0_57
; %bb.13:                               ;   in Loop: Header=BB0_3 Depth=1
	s_andn2_b64 vcc, exec, s[18:19]
	s_cbranch_vccnz .LBB0_20
; %bb.14:                               ;   in Loop: Header=BB0_3 Depth=1
	s_mov_b32 s36, s48
	s_mov_b32 s16, s45
	s_branch .LBB0_16
.LBB0_15:                               ;   in Loop: Header=BB0_16 Depth=2
	s_or_b64 exec, exec, s[0:1]
	s_add_u32 s0, s43, s26
	s_addc_u32 s1, s44, s27
	s_load_dword s0, s[0:1], 0x0
	v_mul_lo_u32 v3, v8, s37
	v_sub_u32_e32 v3, v10, v3
	s_add_i32 s16, s16, -1
	s_add_i32 s36, s36, -1
	s_cmp_lg_u32 s36, 0
	s_waitcnt lgkmcnt(0)
	v_mad_u64_u32 v[4:5], s[0:1], s0, v3, v[4:5]
	s_cbranch_scc0 .LBB0_21
.LBB0_16:                               ;   Parent Loop BB0_3 Depth=1
                                        ; =>  This Inner Loop Header: Depth=2
	s_lshl_b64 s[26:27], s[16:17], 2
	s_add_u32 s0, s39, s26
	s_addc_u32 s1, s40, s27
	s_load_dword s37, s[0:1], 0x0
	v_pk_mov_b32 v[10:11], v[8:9], v[8:9] op_sel:[0,1]
                                        ; implicit-def: $vgpr8_vgpr9
	s_waitcnt lgkmcnt(0)
	s_ashr_i32 s0, s37, 31
	v_or_b32_e32 v3, s0, v11
	v_cmp_ne_u64_e32 vcc, 0, v[2:3]
	s_and_saveexec_b64 s[28:29], vcc
	s_xor_b64 s[28:29], exec, s[28:29]
	s_cbranch_execz .LBB0_18
; %bb.17:                               ;   in Loop: Header=BB0_16 Depth=2
	s_add_u32 s34, s37, s0
	s_mov_b32 s30, s0
	s_mov_b32 s31, s0
	s_addc_u32 s35, s0, s0
	s_xor_b64 s[34:35], s[34:35], s[30:31]
	v_cvt_f32_u32_e32 v3, s34
	v_cvt_f32_u32_e32 v5, s35
	s_sub_u32 s0, 0, s34
	s_subb_u32 s1, 0, s35
	v_mac_f32_e32 v3, 0x4f800000, v5
	v_rcp_f32_e32 v3, v3
	v_mul_f32_e32 v3, 0x5f7ffffc, v3
	v_mul_f32_e32 v5, 0x2f800000, v3
	v_trunc_f32_e32 v5, v5
	v_mac_f32_e32 v3, 0xcf800000, v5
	v_cvt_u32_f32_e32 v5, v5
	v_cvt_u32_f32_e32 v3, v3
	v_mul_lo_u32 v7, s0, v5
	v_mul_hi_u32 v9, s0, v3
	v_mul_lo_u32 v8, s1, v3
	v_add_u32_e32 v7, v9, v7
	v_mul_lo_u32 v12, s0, v3
	v_add_u32_e32 v7, v7, v8
	v_mul_lo_u32 v9, v3, v7
	v_mul_hi_u32 v13, v3, v12
	v_mul_hi_u32 v8, v3, v7
	v_add_co_u32_e32 v9, vcc, v13, v9
	v_addc_co_u32_e32 v8, vcc, 0, v8, vcc
	v_mul_hi_u32 v14, v5, v12
	v_mul_lo_u32 v12, v5, v12
	v_add_co_u32_e32 v9, vcc, v9, v12
	v_mul_hi_u32 v13, v5, v7
	v_addc_co_u32_e32 v8, vcc, v8, v14, vcc
	v_addc_co_u32_e32 v9, vcc, 0, v13, vcc
	v_mul_lo_u32 v7, v5, v7
	v_add_co_u32_e32 v7, vcc, v8, v7
	v_addc_co_u32_e32 v8, vcc, 0, v9, vcc
	v_add_co_u32_e32 v3, vcc, v3, v7
	v_addc_co_u32_e32 v5, vcc, v5, v8, vcc
	v_mul_lo_u32 v7, s0, v5
	v_mul_hi_u32 v8, s0, v3
	v_add_u32_e32 v7, v8, v7
	v_mul_lo_u32 v8, s1, v3
	v_add_u32_e32 v7, v7, v8
	v_mul_lo_u32 v9, s0, v3
	v_mul_hi_u32 v12, v5, v9
	v_mul_lo_u32 v13, v5, v9
	v_mul_lo_u32 v15, v3, v7
	v_mul_hi_u32 v9, v3, v9
	v_mul_hi_u32 v14, v3, v7
	v_add_co_u32_e32 v9, vcc, v9, v15
	v_addc_co_u32_e32 v14, vcc, 0, v14, vcc
	v_add_co_u32_e32 v9, vcc, v9, v13
	v_mul_hi_u32 v8, v5, v7
	v_addc_co_u32_e32 v9, vcc, v14, v12, vcc
	v_addc_co_u32_e32 v8, vcc, 0, v8, vcc
	v_mul_lo_u32 v7, v5, v7
	v_add_co_u32_e32 v7, vcc, v9, v7
	v_addc_co_u32_e32 v8, vcc, 0, v8, vcc
	v_add_co_u32_e32 v3, vcc, v3, v7
	v_addc_co_u32_e32 v5, vcc, v5, v8, vcc
	v_ashrrev_i32_e32 v7, 31, v11
	v_add_co_u32_e32 v8, vcc, v10, v7
	v_addc_co_u32_e32 v9, vcc, v11, v7, vcc
	v_xor_b32_e32 v14, v8, v7
	v_xor_b32_e32 v11, v9, v7
	v_mad_u64_u32 v[8:9], s[0:1], v14, v5, 0
	v_mul_hi_u32 v12, v14, v3
	v_add_co_u32_e32 v15, vcc, v12, v8
	v_addc_co_u32_e32 v16, vcc, 0, v9, vcc
	v_mad_u64_u32 v[12:13], s[0:1], v11, v3, 0
	v_add_co_u32_e32 v3, vcc, v15, v12
	v_mad_u64_u32 v[8:9], s[0:1], v11, v5, 0
	v_addc_co_u32_e32 v3, vcc, v16, v13, vcc
	v_addc_co_u32_e32 v5, vcc, 0, v9, vcc
	v_add_co_u32_e32 v3, vcc, v3, v8
	v_addc_co_u32_e32 v5, vcc, 0, v5, vcc
	v_mul_lo_u32 v12, s35, v3
	v_mul_lo_u32 v13, s34, v5
	v_mad_u64_u32 v[8:9], s[0:1], s34, v3, 0
	v_add3_u32 v9, v9, v13, v12
	v_sub_u32_e32 v12, v11, v9
	v_mov_b32_e32 v13, s35
	v_sub_co_u32_e32 v8, vcc, v14, v8
	v_subb_co_u32_e64 v12, s[0:1], v12, v13, vcc
	v_subrev_co_u32_e64 v13, s[0:1], s34, v8
	v_subbrev_co_u32_e64 v12, s[0:1], 0, v12, s[0:1]
	v_cmp_le_u32_e64 s[0:1], s35, v12
	v_cndmask_b32_e64 v14, 0, -1, s[0:1]
	v_cmp_le_u32_e64 s[0:1], s34, v13
	v_cndmask_b32_e64 v13, 0, -1, s[0:1]
	v_cmp_eq_u32_e64 s[0:1], s35, v12
	v_cndmask_b32_e64 v12, v14, v13, s[0:1]
	v_add_co_u32_e64 v13, s[0:1], 2, v3
	v_subb_co_u32_e32 v9, vcc, v11, v9, vcc
	v_addc_co_u32_e64 v14, s[0:1], 0, v5, s[0:1]
	v_cmp_le_u32_e32 vcc, s35, v9
	v_add_co_u32_e64 v15, s[0:1], 1, v3
	v_cndmask_b32_e64 v11, 0, -1, vcc
	v_cmp_le_u32_e32 vcc, s34, v8
	v_addc_co_u32_e64 v16, s[0:1], 0, v5, s[0:1]
	v_cndmask_b32_e64 v8, 0, -1, vcc
	v_cmp_eq_u32_e32 vcc, s35, v9
	v_cmp_ne_u32_e64 s[0:1], 0, v12
	v_cndmask_b32_e32 v8, v11, v8, vcc
	v_cmp_ne_u32_e32 vcc, 0, v8
	v_cndmask_b32_e64 v8, v15, v13, s[0:1]
	v_cndmask_b32_e64 v12, v16, v14, s[0:1]
	v_cndmask_b32_e32 v3, v3, v8, vcc
	v_xor_b32_e32 v9, s31, v7
	v_xor_b32_e32 v7, s30, v7
	v_cndmask_b32_e32 v5, v5, v12, vcc
	v_xor_b32_e32 v3, v3, v7
	v_xor_b32_e32 v5, v5, v9
	v_sub_co_u32_e32 v8, vcc, v3, v7
	v_subb_co_u32_e32 v9, vcc, v5, v9, vcc
.LBB0_18:                               ;   in Loop: Header=BB0_16 Depth=2
	s_andn2_saveexec_b64 s[0:1], s[28:29]
	s_cbranch_execz .LBB0_15
; %bb.19:                               ;   in Loop: Header=BB0_16 Depth=2
	v_cvt_f32_u32_e32 v3, s37
	s_sub_i32 s28, 0, s37
	v_mov_b32_e32 v9, v2
	v_rcp_iflag_f32_e32 v3, v3
	v_mul_f32_e32 v3, 0x4f7ffffe, v3
	v_cvt_u32_f32_e32 v3, v3
	v_mul_lo_u32 v5, s28, v3
	v_mul_hi_u32 v5, v3, v5
	v_add_u32_e32 v3, v3, v5
	v_mul_hi_u32 v3, v10, v3
	v_mul_lo_u32 v5, v3, s37
	v_sub_u32_e32 v5, v10, v5
	v_add_u32_e32 v7, 1, v3
	v_subrev_u32_e32 v8, s37, v5
	v_cmp_le_u32_e32 vcc, s37, v5
	v_cndmask_b32_e32 v5, v5, v8, vcc
	v_cndmask_b32_e32 v3, v3, v7, vcc
	v_add_u32_e32 v7, 1, v3
	v_cmp_le_u32_e32 vcc, s37, v5
	v_cndmask_b32_e32 v8, v3, v7, vcc
	s_branch .LBB0_15
.LBB0_20:                               ;   in Loop: Header=BB0_3 Depth=1
	s_mov_b32 s16, s45
.LBB0_21:                               ;   in Loop: Header=BB0_3 Depth=1
	s_andn2_b64 vcc, exec, s[20:21]
	s_cbranch_vccnz .LBB0_57
; %bb.22:                               ;   in Loop: Header=BB0_3 Depth=1
	s_add_i32 s26, s16, -7
.LBB0_23:                               ;   Parent Loop BB0_3 Depth=1
                                        ; =>  This Inner Loop Header: Depth=2
	s_add_i32 s16, s26, 7
	s_lshl_b64 s[28:29], s[16:17], 2
	s_add_u32 s0, s39, s28
	s_addc_u32 s1, s40, s29
	s_load_dword s50, s[0:1], 0x0
                                        ; implicit-def: $vgpr10_vgpr11
	s_waitcnt lgkmcnt(0)
	s_ashr_i32 s0, s50, 31
	v_or_b32_e32 v3, s0, v9
	v_cmp_ne_u64_e32 vcc, 0, v[2:3]
	s_and_saveexec_b64 s[30:31], vcc
	s_xor_b64 s[30:31], exec, s[30:31]
	s_cbranch_execz .LBB0_25
; %bb.24:                               ;   in Loop: Header=BB0_23 Depth=2
	s_add_u32 s36, s50, s0
	s_mov_b32 s34, s0
	s_mov_b32 s35, s0
	s_addc_u32 s37, s0, s0
	s_xor_b64 s[36:37], s[36:37], s[34:35]
	v_cvt_f32_u32_e32 v3, s36
	v_cvt_f32_u32_e32 v5, s37
	s_sub_u32 s0, 0, s36
	s_subb_u32 s1, 0, s37
	v_mac_f32_e32 v3, 0x4f800000, v5
	v_rcp_f32_e32 v3, v3
	v_mul_f32_e32 v3, 0x5f7ffffc, v3
	v_mul_f32_e32 v5, 0x2f800000, v3
	v_trunc_f32_e32 v5, v5
	v_mac_f32_e32 v3, 0xcf800000, v5
	v_cvt_u32_f32_e32 v5, v5
	v_cvt_u32_f32_e32 v3, v3
	v_mul_lo_u32 v7, s0, v5
	v_mul_hi_u32 v11, s0, v3
	v_mul_lo_u32 v10, s1, v3
	v_add_u32_e32 v7, v11, v7
	v_mul_lo_u32 v12, s0, v3
	v_add_u32_e32 v7, v7, v10
	v_mul_lo_u32 v11, v3, v7
	v_mul_hi_u32 v13, v3, v12
	v_mul_hi_u32 v10, v3, v7
	v_add_co_u32_e32 v11, vcc, v13, v11
	v_addc_co_u32_e32 v10, vcc, 0, v10, vcc
	v_mul_hi_u32 v14, v5, v12
	v_mul_lo_u32 v12, v5, v12
	v_add_co_u32_e32 v11, vcc, v11, v12
	v_mul_hi_u32 v13, v5, v7
	v_addc_co_u32_e32 v10, vcc, v10, v14, vcc
	v_addc_co_u32_e32 v11, vcc, 0, v13, vcc
	v_mul_lo_u32 v7, v5, v7
	v_add_co_u32_e32 v7, vcc, v10, v7
	v_addc_co_u32_e32 v10, vcc, 0, v11, vcc
	v_add_co_u32_e32 v3, vcc, v3, v7
	v_addc_co_u32_e32 v5, vcc, v5, v10, vcc
	v_mul_lo_u32 v7, s0, v5
	v_mul_hi_u32 v10, s0, v3
	v_add_u32_e32 v7, v10, v7
	v_mul_lo_u32 v10, s1, v3
	v_add_u32_e32 v7, v7, v10
	v_mul_lo_u32 v11, s0, v3
	v_mul_hi_u32 v12, v5, v11
	v_mul_lo_u32 v13, v5, v11
	v_mul_lo_u32 v15, v3, v7
	v_mul_hi_u32 v11, v3, v11
	v_mul_hi_u32 v14, v3, v7
	v_add_co_u32_e32 v11, vcc, v11, v15
	v_addc_co_u32_e32 v14, vcc, 0, v14, vcc
	v_add_co_u32_e32 v11, vcc, v11, v13
	v_mul_hi_u32 v10, v5, v7
	v_addc_co_u32_e32 v11, vcc, v14, v12, vcc
	v_addc_co_u32_e32 v10, vcc, 0, v10, vcc
	v_mul_lo_u32 v7, v5, v7
	v_add_co_u32_e32 v7, vcc, v11, v7
	v_addc_co_u32_e32 v10, vcc, 0, v10, vcc
	v_add_co_u32_e32 v3, vcc, v3, v7
	v_addc_co_u32_e32 v5, vcc, v5, v10, vcc
	v_ashrrev_i32_e32 v7, 31, v9
	v_add_co_u32_e32 v10, vcc, v8, v7
	v_xor_b32_e32 v14, v10, v7
	v_addc_co_u32_e32 v9, vcc, v9, v7, vcc
	v_mad_u64_u32 v[10:11], s[0:1], v14, v5, 0
	v_mul_hi_u32 v12, v14, v3
	v_xor_b32_e32 v9, v9, v7
	v_add_co_u32_e32 v15, vcc, v12, v10
	v_addc_co_u32_e32 v16, vcc, 0, v11, vcc
	v_mad_u64_u32 v[12:13], s[0:1], v9, v3, 0
	v_add_co_u32_e32 v3, vcc, v15, v12
	v_mad_u64_u32 v[10:11], s[0:1], v9, v5, 0
	v_addc_co_u32_e32 v3, vcc, v16, v13, vcc
	v_addc_co_u32_e32 v5, vcc, 0, v11, vcc
	v_add_co_u32_e32 v3, vcc, v3, v10
	v_addc_co_u32_e32 v5, vcc, 0, v5, vcc
	v_mul_lo_u32 v12, s37, v3
	v_mul_lo_u32 v13, s36, v5
	v_mad_u64_u32 v[10:11], s[0:1], s36, v3, 0
	v_add3_u32 v11, v11, v13, v12
	v_sub_u32_e32 v12, v9, v11
	v_mov_b32_e32 v13, s37
	v_sub_co_u32_e32 v10, vcc, v14, v10
	v_subb_co_u32_e64 v12, s[0:1], v12, v13, vcc
	v_subrev_co_u32_e64 v13, s[0:1], s36, v10
	v_subbrev_co_u32_e64 v12, s[0:1], 0, v12, s[0:1]
	v_cmp_le_u32_e64 s[0:1], s37, v12
	v_cndmask_b32_e64 v14, 0, -1, s[0:1]
	v_cmp_le_u32_e64 s[0:1], s36, v13
	v_cndmask_b32_e64 v13, 0, -1, s[0:1]
	v_cmp_eq_u32_e64 s[0:1], s37, v12
	v_cndmask_b32_e64 v12, v14, v13, s[0:1]
	v_add_co_u32_e64 v13, s[0:1], 2, v3
	v_subb_co_u32_e32 v9, vcc, v9, v11, vcc
	v_addc_co_u32_e64 v14, s[0:1], 0, v5, s[0:1]
	v_cmp_le_u32_e32 vcc, s37, v9
	v_add_co_u32_e64 v15, s[0:1], 1, v3
	v_cndmask_b32_e64 v11, 0, -1, vcc
	v_cmp_le_u32_e32 vcc, s36, v10
	v_addc_co_u32_e64 v16, s[0:1], 0, v5, s[0:1]
	v_cndmask_b32_e64 v10, 0, -1, vcc
	v_cmp_eq_u32_e32 vcc, s37, v9
	v_cmp_ne_u32_e64 s[0:1], 0, v12
	v_cndmask_b32_e32 v9, v11, v10, vcc
	v_cmp_ne_u32_e32 vcc, 0, v9
	v_cndmask_b32_e64 v9, v15, v13, s[0:1]
	v_cndmask_b32_e64 v12, v16, v14, s[0:1]
	v_cndmask_b32_e32 v3, v3, v9, vcc
	v_xor_b32_e32 v9, s35, v7
	v_xor_b32_e32 v7, s34, v7
	v_cndmask_b32_e32 v5, v5, v12, vcc
	v_xor_b32_e32 v3, v3, v7
	v_xor_b32_e32 v5, v5, v9
	v_sub_co_u32_e32 v10, vcc, v3, v7
	v_subb_co_u32_e32 v11, vcc, v5, v9, vcc
.LBB0_25:                               ;   in Loop: Header=BB0_23 Depth=2
	s_andn2_saveexec_b64 s[0:1], s[30:31]
	s_cbranch_execz .LBB0_27
; %bb.26:                               ;   in Loop: Header=BB0_23 Depth=2
	v_cvt_f32_u32_e32 v3, s50
	s_sub_i32 s16, 0, s50
	v_mov_b32_e32 v11, v2
	v_rcp_iflag_f32_e32 v3, v3
	v_mul_f32_e32 v3, 0x4f7ffffe, v3
	v_cvt_u32_f32_e32 v3, v3
	v_mul_lo_u32 v5, s16, v3
	v_mul_hi_u32 v5, v3, v5
	v_add_u32_e32 v3, v3, v5
	v_mul_hi_u32 v3, v8, v3
	v_mul_lo_u32 v5, v3, s50
	v_sub_u32_e32 v5, v8, v5
	v_add_u32_e32 v7, 1, v3
	v_subrev_u32_e32 v9, s50, v5
	v_cmp_le_u32_e32 vcc, s50, v5
	v_cndmask_b32_e32 v5, v5, v9, vcc
	v_cndmask_b32_e32 v3, v3, v7, vcc
	v_add_u32_e32 v7, 1, v3
	v_cmp_le_u32_e32 vcc, s50, v5
	v_cndmask_b32_e32 v10, v3, v7, vcc
.LBB0_27:                               ;   in Loop: Header=BB0_23 Depth=2
	s_or_b64 exec, exec, s[0:1]
	s_add_u32 s0, s43, s28
	s_addc_u32 s1, s44, s29
	s_add_i32 s16, s26, 6
	s_lshl_b64 s[28:29], s[16:17], 2
	s_add_u32 s30, s39, s28
	s_addc_u32 s31, s40, s29
	s_load_dword s51, s[30:31], 0x0
	s_load_dword s52, s[0:1], 0x0
                                        ; implicit-def: $vgpr12_vgpr13
	s_waitcnt lgkmcnt(0)
	s_ashr_i32 s0, s51, 31
	v_or_b32_e32 v3, s0, v11
	v_cmp_ne_u64_e32 vcc, 0, v[2:3]
	s_and_saveexec_b64 s[30:31], vcc
	s_xor_b64 s[30:31], exec, s[30:31]
	s_cbranch_execz .LBB0_29
; %bb.28:                               ;   in Loop: Header=BB0_23 Depth=2
	s_add_u32 s36, s51, s0
	s_mov_b32 s34, s0
	s_mov_b32 s35, s0
	s_addc_u32 s37, s0, s0
	s_xor_b64 s[36:37], s[36:37], s[34:35]
	v_cvt_f32_u32_e32 v3, s36
	v_cvt_f32_u32_e32 v5, s37
	s_sub_u32 s0, 0, s36
	s_subb_u32 s1, 0, s37
	v_mac_f32_e32 v3, 0x4f800000, v5
	v_rcp_f32_e32 v3, v3
	v_mul_f32_e32 v3, 0x5f7ffffc, v3
	v_mul_f32_e32 v5, 0x2f800000, v3
	v_trunc_f32_e32 v5, v5
	v_mac_f32_e32 v3, 0xcf800000, v5
	v_cvt_u32_f32_e32 v5, v5
	v_cvt_u32_f32_e32 v3, v3
	v_mul_lo_u32 v7, s0, v5
	v_mul_hi_u32 v12, s0, v3
	v_mul_lo_u32 v9, s1, v3
	v_add_u32_e32 v7, v12, v7
	v_mul_lo_u32 v13, s0, v3
	v_add_u32_e32 v7, v7, v9
	v_mul_lo_u32 v12, v3, v7
	v_mul_hi_u32 v14, v3, v13
	v_mul_hi_u32 v9, v3, v7
	v_add_co_u32_e32 v12, vcc, v14, v12
	v_addc_co_u32_e32 v9, vcc, 0, v9, vcc
	v_mul_hi_u32 v15, v5, v13
	v_mul_lo_u32 v13, v5, v13
	v_add_co_u32_e32 v12, vcc, v12, v13
	v_mul_hi_u32 v14, v5, v7
	v_addc_co_u32_e32 v9, vcc, v9, v15, vcc
	v_addc_co_u32_e32 v12, vcc, 0, v14, vcc
	v_mul_lo_u32 v7, v5, v7
	v_add_co_u32_e32 v7, vcc, v9, v7
	v_addc_co_u32_e32 v9, vcc, 0, v12, vcc
	v_add_co_u32_e32 v3, vcc, v3, v7
	v_addc_co_u32_e32 v5, vcc, v5, v9, vcc
	v_mul_lo_u32 v7, s0, v5
	v_mul_hi_u32 v9, s0, v3
	v_add_u32_e32 v7, v9, v7
	v_mul_lo_u32 v9, s1, v3
	v_add_u32_e32 v7, v7, v9
	v_mul_lo_u32 v12, s0, v3
	v_mul_hi_u32 v13, v5, v12
	v_mul_lo_u32 v14, v5, v12
	v_mul_lo_u32 v16, v3, v7
	v_mul_hi_u32 v12, v3, v12
	v_mul_hi_u32 v15, v3, v7
	v_add_co_u32_e32 v12, vcc, v12, v16
	v_addc_co_u32_e32 v15, vcc, 0, v15, vcc
	v_add_co_u32_e32 v12, vcc, v12, v14
	v_mul_hi_u32 v9, v5, v7
	v_addc_co_u32_e32 v12, vcc, v15, v13, vcc
	v_addc_co_u32_e32 v9, vcc, 0, v9, vcc
	v_mul_lo_u32 v7, v5, v7
	v_add_co_u32_e32 v7, vcc, v12, v7
	v_addc_co_u32_e32 v9, vcc, 0, v9, vcc
	v_add_co_u32_e32 v3, vcc, v3, v7
	v_addc_co_u32_e32 v5, vcc, v5, v9, vcc
	v_ashrrev_i32_e32 v7, 31, v11
	v_add_co_u32_e32 v9, vcc, v10, v7
	v_xor_b32_e32 v9, v9, v7
	v_addc_co_u32_e32 v11, vcc, v11, v7, vcc
	v_mad_u64_u32 v[12:13], s[0:1], v9, v5, 0
	v_mul_hi_u32 v14, v9, v3
	v_xor_b32_e32 v11, v11, v7
	v_add_co_u32_e32 v16, vcc, v14, v12
	v_addc_co_u32_e32 v17, vcc, 0, v13, vcc
	v_mad_u64_u32 v[14:15], s[0:1], v11, v3, 0
	v_add_co_u32_e32 v3, vcc, v16, v14
	v_mad_u64_u32 v[12:13], s[0:1], v11, v5, 0
	v_addc_co_u32_e32 v3, vcc, v17, v15, vcc
	v_addc_co_u32_e32 v5, vcc, 0, v13, vcc
	v_add_co_u32_e32 v3, vcc, v3, v12
	v_addc_co_u32_e32 v5, vcc, 0, v5, vcc
	v_mul_lo_u32 v14, s37, v3
	v_mul_lo_u32 v15, s36, v5
	v_mad_u64_u32 v[12:13], s[0:1], s36, v3, 0
	v_add3_u32 v13, v13, v15, v14
	v_sub_u32_e32 v14, v11, v13
	v_mov_b32_e32 v15, s37
	v_sub_co_u32_e32 v9, vcc, v9, v12
	v_subb_co_u32_e64 v12, s[0:1], v14, v15, vcc
	v_subrev_co_u32_e64 v14, s[0:1], s36, v9
	v_subbrev_co_u32_e64 v12, s[0:1], 0, v12, s[0:1]
	v_cmp_le_u32_e64 s[0:1], s37, v12
	v_cndmask_b32_e64 v15, 0, -1, s[0:1]
	v_cmp_le_u32_e64 s[0:1], s36, v14
	v_cndmask_b32_e64 v14, 0, -1, s[0:1]
	v_cmp_eq_u32_e64 s[0:1], s37, v12
	v_cndmask_b32_e64 v12, v15, v14, s[0:1]
	v_add_co_u32_e64 v14, s[0:1], 2, v3
	v_subb_co_u32_e32 v11, vcc, v11, v13, vcc
	v_addc_co_u32_e64 v15, s[0:1], 0, v5, s[0:1]
	v_cmp_le_u32_e32 vcc, s37, v11
	v_add_co_u32_e64 v16, s[0:1], 1, v3
	v_cndmask_b32_e64 v13, 0, -1, vcc
	v_cmp_le_u32_e32 vcc, s36, v9
	v_addc_co_u32_e64 v17, s[0:1], 0, v5, s[0:1]
	v_cndmask_b32_e64 v9, 0, -1, vcc
	v_cmp_eq_u32_e32 vcc, s37, v11
	v_cmp_ne_u32_e64 s[0:1], 0, v12
	v_cndmask_b32_e32 v9, v13, v9, vcc
	v_cmp_ne_u32_e32 vcc, 0, v9
	v_cndmask_b32_e64 v9, v16, v14, s[0:1]
	v_cndmask_b32_e64 v12, v17, v15, s[0:1]
	v_cndmask_b32_e32 v3, v3, v9, vcc
	v_xor_b32_e32 v9, s35, v7
	v_xor_b32_e32 v7, s34, v7
	v_cndmask_b32_e32 v5, v5, v12, vcc
	v_xor_b32_e32 v3, v3, v7
	v_xor_b32_e32 v5, v5, v9
	v_sub_co_u32_e32 v12, vcc, v3, v7
	v_subb_co_u32_e32 v13, vcc, v5, v9, vcc
.LBB0_29:                               ;   in Loop: Header=BB0_23 Depth=2
	s_andn2_saveexec_b64 s[0:1], s[30:31]
	s_cbranch_execz .LBB0_31
; %bb.30:                               ;   in Loop: Header=BB0_23 Depth=2
	v_cvt_f32_u32_e32 v3, s51
	s_sub_i32 s16, 0, s51
	v_mov_b32_e32 v13, v2
	v_rcp_iflag_f32_e32 v3, v3
	v_mul_f32_e32 v3, 0x4f7ffffe, v3
	v_cvt_u32_f32_e32 v3, v3
	v_mul_lo_u32 v5, s16, v3
	v_mul_hi_u32 v5, v3, v5
	v_add_u32_e32 v3, v3, v5
	v_mul_hi_u32 v3, v10, v3
	v_mul_lo_u32 v5, v3, s51
	v_sub_u32_e32 v5, v10, v5
	v_add_u32_e32 v7, 1, v3
	v_subrev_u32_e32 v9, s51, v5
	v_cmp_le_u32_e32 vcc, s51, v5
	v_cndmask_b32_e32 v5, v5, v9, vcc
	v_cndmask_b32_e32 v3, v3, v7, vcc
	v_add_u32_e32 v7, 1, v3
	v_cmp_le_u32_e32 vcc, s51, v5
	v_cndmask_b32_e32 v12, v3, v7, vcc
.LBB0_31:                               ;   in Loop: Header=BB0_23 Depth=2
	s_or_b64 exec, exec, s[0:1]
	s_add_u32 s0, s43, s28
	s_addc_u32 s1, s44, s29
	s_add_i32 s16, s26, 5
	s_lshl_b64 s[28:29], s[16:17], 2
	s_add_u32 s30, s39, s28
	s_addc_u32 s31, s40, s29
	s_load_dword s53, s[30:31], 0x0
	s_load_dword s54, s[0:1], 0x0
                                        ; implicit-def: $vgpr14_vgpr15
	s_waitcnt lgkmcnt(0)
	s_ashr_i32 s0, s53, 31
	v_or_b32_e32 v3, s0, v13
	v_cmp_ne_u64_e32 vcc, 0, v[2:3]
	s_and_saveexec_b64 s[30:31], vcc
	s_xor_b64 s[30:31], exec, s[30:31]
	s_cbranch_execz .LBB0_33
; %bb.32:                               ;   in Loop: Header=BB0_23 Depth=2
	s_add_u32 s36, s53, s0
	s_mov_b32 s34, s0
	s_mov_b32 s35, s0
	s_addc_u32 s37, s0, s0
	s_xor_b64 s[36:37], s[36:37], s[34:35]
	v_cvt_f32_u32_e32 v3, s36
	v_cvt_f32_u32_e32 v5, s37
	s_sub_u32 s0, 0, s36
	s_subb_u32 s1, 0, s37
	v_mac_f32_e32 v3, 0x4f800000, v5
	v_rcp_f32_e32 v3, v3
	v_mul_f32_e32 v3, 0x5f7ffffc, v3
	v_mul_f32_e32 v5, 0x2f800000, v3
	v_trunc_f32_e32 v5, v5
	v_mac_f32_e32 v3, 0xcf800000, v5
	v_cvt_u32_f32_e32 v5, v5
	v_cvt_u32_f32_e32 v3, v3
	v_mul_lo_u32 v7, s0, v5
	v_mul_hi_u32 v11, s0, v3
	v_mul_lo_u32 v9, s1, v3
	v_add_u32_e32 v7, v11, v7
	v_mul_lo_u32 v14, s0, v3
	v_add_u32_e32 v7, v7, v9
	v_mul_lo_u32 v11, v3, v7
	v_mul_hi_u32 v15, v3, v14
	v_mul_hi_u32 v9, v3, v7
	v_add_co_u32_e32 v11, vcc, v15, v11
	v_addc_co_u32_e32 v9, vcc, 0, v9, vcc
	v_mul_hi_u32 v16, v5, v14
	v_mul_lo_u32 v14, v5, v14
	v_add_co_u32_e32 v11, vcc, v11, v14
	v_mul_hi_u32 v15, v5, v7
	v_addc_co_u32_e32 v9, vcc, v9, v16, vcc
	v_addc_co_u32_e32 v11, vcc, 0, v15, vcc
	v_mul_lo_u32 v7, v5, v7
	v_add_co_u32_e32 v7, vcc, v9, v7
	v_addc_co_u32_e32 v9, vcc, 0, v11, vcc
	v_add_co_u32_e32 v3, vcc, v3, v7
	v_addc_co_u32_e32 v5, vcc, v5, v9, vcc
	v_mul_lo_u32 v7, s0, v5
	v_mul_hi_u32 v9, s0, v3
	v_add_u32_e32 v7, v9, v7
	v_mul_lo_u32 v9, s1, v3
	v_add_u32_e32 v7, v7, v9
	v_mul_lo_u32 v11, s0, v3
	v_mul_hi_u32 v14, v5, v11
	v_mul_lo_u32 v15, v5, v11
	v_mul_lo_u32 v17, v3, v7
	v_mul_hi_u32 v11, v3, v11
	v_mul_hi_u32 v16, v3, v7
	v_add_co_u32_e32 v11, vcc, v11, v17
	v_addc_co_u32_e32 v16, vcc, 0, v16, vcc
	v_add_co_u32_e32 v11, vcc, v11, v15
	v_mul_hi_u32 v9, v5, v7
	v_addc_co_u32_e32 v11, vcc, v16, v14, vcc
	v_addc_co_u32_e32 v9, vcc, 0, v9, vcc
	v_mul_lo_u32 v7, v5, v7
	v_add_co_u32_e32 v7, vcc, v11, v7
	v_addc_co_u32_e32 v9, vcc, 0, v9, vcc
	v_add_co_u32_e32 v3, vcc, v3, v7
	v_addc_co_u32_e32 v5, vcc, v5, v9, vcc
	v_ashrrev_i32_e32 v7, 31, v13
	v_add_co_u32_e32 v9, vcc, v12, v7
	v_xor_b32_e32 v9, v9, v7
	v_addc_co_u32_e32 v11, vcc, v13, v7, vcc
	v_mad_u64_u32 v[14:15], s[0:1], v9, v5, 0
	v_mul_hi_u32 v13, v9, v3
	v_xor_b32_e32 v11, v11, v7
	v_add_co_u32_e32 v13, vcc, v13, v14
	v_addc_co_u32_e32 v18, vcc, 0, v15, vcc
	v_mad_u64_u32 v[16:17], s[0:1], v11, v3, 0
	v_add_co_u32_e32 v3, vcc, v13, v16
	v_mad_u64_u32 v[14:15], s[0:1], v11, v5, 0
	v_addc_co_u32_e32 v3, vcc, v18, v17, vcc
	v_addc_co_u32_e32 v5, vcc, 0, v15, vcc
	v_add_co_u32_e32 v3, vcc, v3, v14
	v_addc_co_u32_e32 v5, vcc, 0, v5, vcc
	v_mul_lo_u32 v13, s37, v3
	v_mul_lo_u32 v16, s36, v5
	v_mad_u64_u32 v[14:15], s[0:1], s36, v3, 0
	v_add3_u32 v13, v15, v16, v13
	v_sub_u32_e32 v15, v11, v13
	v_mov_b32_e32 v16, s37
	v_sub_co_u32_e32 v9, vcc, v9, v14
	v_subb_co_u32_e64 v14, s[0:1], v15, v16, vcc
	v_subrev_co_u32_e64 v15, s[0:1], s36, v9
	v_subbrev_co_u32_e64 v14, s[0:1], 0, v14, s[0:1]
	v_cmp_le_u32_e64 s[0:1], s37, v14
	v_cndmask_b32_e64 v16, 0, -1, s[0:1]
	v_cmp_le_u32_e64 s[0:1], s36, v15
	v_cndmask_b32_e64 v15, 0, -1, s[0:1]
	v_cmp_eq_u32_e64 s[0:1], s37, v14
	v_cndmask_b32_e64 v14, v16, v15, s[0:1]
	v_add_co_u32_e64 v15, s[0:1], 2, v3
	v_subb_co_u32_e32 v11, vcc, v11, v13, vcc
	v_addc_co_u32_e64 v16, s[0:1], 0, v5, s[0:1]
	v_cmp_le_u32_e32 vcc, s37, v11
	v_add_co_u32_e64 v17, s[0:1], 1, v3
	v_cndmask_b32_e64 v13, 0, -1, vcc
	v_cmp_le_u32_e32 vcc, s36, v9
	v_addc_co_u32_e64 v18, s[0:1], 0, v5, s[0:1]
	v_cndmask_b32_e64 v9, 0, -1, vcc
	v_cmp_eq_u32_e32 vcc, s37, v11
	v_cmp_ne_u32_e64 s[0:1], 0, v14
	v_cndmask_b32_e32 v9, v13, v9, vcc
	v_cmp_ne_u32_e32 vcc, 0, v9
	v_cndmask_b32_e64 v9, v17, v15, s[0:1]
	v_cndmask_b32_e64 v14, v18, v16, s[0:1]
	v_cndmask_b32_e32 v3, v3, v9, vcc
	v_xor_b32_e32 v9, s35, v7
	v_xor_b32_e32 v7, s34, v7
	v_cndmask_b32_e32 v5, v5, v14, vcc
	v_xor_b32_e32 v3, v3, v7
	v_xor_b32_e32 v5, v5, v9
	v_sub_co_u32_e32 v14, vcc, v3, v7
	v_subb_co_u32_e32 v15, vcc, v5, v9, vcc
.LBB0_33:                               ;   in Loop: Header=BB0_23 Depth=2
	s_andn2_saveexec_b64 s[0:1], s[30:31]
	s_cbranch_execz .LBB0_35
; %bb.34:                               ;   in Loop: Header=BB0_23 Depth=2
	v_cvt_f32_u32_e32 v3, s53
	s_sub_i32 s16, 0, s53
	v_mov_b32_e32 v15, v2
	v_rcp_iflag_f32_e32 v3, v3
	v_mul_f32_e32 v3, 0x4f7ffffe, v3
	v_cvt_u32_f32_e32 v3, v3
	v_mul_lo_u32 v5, s16, v3
	v_mul_hi_u32 v5, v3, v5
	v_add_u32_e32 v3, v3, v5
	v_mul_hi_u32 v3, v12, v3
	v_mul_lo_u32 v5, v3, s53
	v_sub_u32_e32 v5, v12, v5
	v_add_u32_e32 v7, 1, v3
	v_subrev_u32_e32 v9, s53, v5
	v_cmp_le_u32_e32 vcc, s53, v5
	v_cndmask_b32_e32 v5, v5, v9, vcc
	v_cndmask_b32_e32 v3, v3, v7, vcc
	v_add_u32_e32 v7, 1, v3
	v_cmp_le_u32_e32 vcc, s53, v5
	v_cndmask_b32_e32 v14, v3, v7, vcc
.LBB0_35:                               ;   in Loop: Header=BB0_23 Depth=2
	s_or_b64 exec, exec, s[0:1]
	s_add_u32 s0, s43, s28
	s_addc_u32 s1, s44, s29
	s_add_i32 s16, s26, 4
	s_lshl_b64 s[28:29], s[16:17], 2
	s_add_u32 s30, s39, s28
	s_addc_u32 s31, s40, s29
	s_load_dword s55, s[30:31], 0x0
	s_load_dword s56, s[0:1], 0x0
                                        ; implicit-def: $vgpr16_vgpr17
	s_waitcnt lgkmcnt(0)
	s_ashr_i32 s0, s55, 31
	v_or_b32_e32 v3, s0, v15
	v_cmp_ne_u64_e32 vcc, 0, v[2:3]
	s_and_saveexec_b64 s[30:31], vcc
	s_xor_b64 s[30:31], exec, s[30:31]
	s_cbranch_execz .LBB0_37
; %bb.36:                               ;   in Loop: Header=BB0_23 Depth=2
	s_add_u32 s36, s55, s0
	s_mov_b32 s34, s0
	s_mov_b32 s35, s0
	s_addc_u32 s37, s0, s0
	s_xor_b64 s[36:37], s[36:37], s[34:35]
	v_cvt_f32_u32_e32 v3, s36
	v_cvt_f32_u32_e32 v5, s37
	s_sub_u32 s0, 0, s36
	s_subb_u32 s1, 0, s37
	v_mac_f32_e32 v3, 0x4f800000, v5
	v_rcp_f32_e32 v3, v3
	v_mul_f32_e32 v3, 0x5f7ffffc, v3
	v_mul_f32_e32 v5, 0x2f800000, v3
	v_trunc_f32_e32 v5, v5
	v_mac_f32_e32 v3, 0xcf800000, v5
	v_cvt_u32_f32_e32 v5, v5
	v_cvt_u32_f32_e32 v3, v3
	v_mul_lo_u32 v7, s0, v5
	v_mul_hi_u32 v11, s0, v3
	v_mul_lo_u32 v9, s1, v3
	v_add_u32_e32 v7, v11, v7
	v_mul_lo_u32 v13, s0, v3
	v_add_u32_e32 v7, v7, v9
	v_mul_lo_u32 v11, v3, v7
	v_mul_hi_u32 v16, v3, v13
	v_mul_hi_u32 v9, v3, v7
	v_add_co_u32_e32 v11, vcc, v16, v11
	v_addc_co_u32_e32 v9, vcc, 0, v9, vcc
	v_mul_hi_u32 v17, v5, v13
	v_mul_lo_u32 v13, v5, v13
	v_add_co_u32_e32 v11, vcc, v11, v13
	v_mul_hi_u32 v16, v5, v7
	v_addc_co_u32_e32 v9, vcc, v9, v17, vcc
	v_addc_co_u32_e32 v11, vcc, 0, v16, vcc
	v_mul_lo_u32 v7, v5, v7
	v_add_co_u32_e32 v7, vcc, v9, v7
	v_addc_co_u32_e32 v9, vcc, 0, v11, vcc
	v_add_co_u32_e32 v3, vcc, v3, v7
	v_addc_co_u32_e32 v5, vcc, v5, v9, vcc
	v_mul_lo_u32 v7, s0, v5
	v_mul_hi_u32 v9, s0, v3
	v_add_u32_e32 v7, v9, v7
	v_mul_lo_u32 v9, s1, v3
	v_add_u32_e32 v7, v7, v9
	v_mul_lo_u32 v11, s0, v3
	v_mul_hi_u32 v13, v5, v11
	v_mul_lo_u32 v16, v5, v11
	v_mul_lo_u32 v18, v3, v7
	v_mul_hi_u32 v11, v3, v11
	v_mul_hi_u32 v17, v3, v7
	v_add_co_u32_e32 v11, vcc, v11, v18
	v_addc_co_u32_e32 v17, vcc, 0, v17, vcc
	v_add_co_u32_e32 v11, vcc, v11, v16
	v_mul_hi_u32 v9, v5, v7
	v_addc_co_u32_e32 v11, vcc, v17, v13, vcc
	v_addc_co_u32_e32 v9, vcc, 0, v9, vcc
	v_mul_lo_u32 v7, v5, v7
	v_add_co_u32_e32 v7, vcc, v11, v7
	v_addc_co_u32_e32 v9, vcc, 0, v9, vcc
	v_add_co_u32_e32 v3, vcc, v3, v7
	v_addc_co_u32_e32 v5, vcc, v5, v9, vcc
	v_ashrrev_i32_e32 v7, 31, v15
	v_add_co_u32_e32 v9, vcc, v14, v7
	v_xor_b32_e32 v9, v9, v7
	v_addc_co_u32_e32 v11, vcc, v15, v7, vcc
	v_mad_u64_u32 v[16:17], s[0:1], v9, v5, 0
	v_mul_hi_u32 v13, v9, v3
	v_xor_b32_e32 v11, v11, v7
	v_add_co_u32_e32 v13, vcc, v13, v16
	v_addc_co_u32_e32 v15, vcc, 0, v17, vcc
	v_mad_u64_u32 v[18:19], s[0:1], v11, v3, 0
	v_add_co_u32_e32 v3, vcc, v13, v18
	v_mad_u64_u32 v[16:17], s[0:1], v11, v5, 0
	v_addc_co_u32_e32 v3, vcc, v15, v19, vcc
	v_addc_co_u32_e32 v5, vcc, 0, v17, vcc
	v_add_co_u32_e32 v3, vcc, v3, v16
	v_addc_co_u32_e32 v5, vcc, 0, v5, vcc
	v_mul_lo_u32 v13, s37, v3
	v_mul_lo_u32 v15, s36, v5
	v_mad_u64_u32 v[16:17], s[0:1], s36, v3, 0
	v_add3_u32 v13, v17, v15, v13
	v_sub_u32_e32 v15, v11, v13
	v_mov_b32_e32 v17, s37
	v_sub_co_u32_e32 v9, vcc, v9, v16
	v_subb_co_u32_e64 v15, s[0:1], v15, v17, vcc
	v_subrev_co_u32_e64 v16, s[0:1], s36, v9
	v_subbrev_co_u32_e64 v15, s[0:1], 0, v15, s[0:1]
	v_cmp_le_u32_e64 s[0:1], s37, v15
	v_cndmask_b32_e64 v17, 0, -1, s[0:1]
	v_cmp_le_u32_e64 s[0:1], s36, v16
	v_cndmask_b32_e64 v16, 0, -1, s[0:1]
	v_cmp_eq_u32_e64 s[0:1], s37, v15
	v_cndmask_b32_e64 v15, v17, v16, s[0:1]
	v_add_co_u32_e64 v16, s[0:1], 2, v3
	v_subb_co_u32_e32 v11, vcc, v11, v13, vcc
	v_addc_co_u32_e64 v17, s[0:1], 0, v5, s[0:1]
	v_cmp_le_u32_e32 vcc, s37, v11
	v_add_co_u32_e64 v18, s[0:1], 1, v3
	v_cndmask_b32_e64 v13, 0, -1, vcc
	v_cmp_le_u32_e32 vcc, s36, v9
	v_addc_co_u32_e64 v19, s[0:1], 0, v5, s[0:1]
	v_cndmask_b32_e64 v9, 0, -1, vcc
	v_cmp_eq_u32_e32 vcc, s37, v11
	v_cmp_ne_u32_e64 s[0:1], 0, v15
	v_cndmask_b32_e32 v9, v13, v9, vcc
	v_cmp_ne_u32_e32 vcc, 0, v9
	v_cndmask_b32_e64 v9, v18, v16, s[0:1]
	v_cndmask_b32_e64 v15, v19, v17, s[0:1]
	v_cndmask_b32_e32 v3, v3, v9, vcc
	v_xor_b32_e32 v9, s35, v7
	v_xor_b32_e32 v7, s34, v7
	v_cndmask_b32_e32 v5, v5, v15, vcc
	v_xor_b32_e32 v3, v3, v7
	v_xor_b32_e32 v5, v5, v9
	v_sub_co_u32_e32 v16, vcc, v3, v7
	v_subb_co_u32_e32 v17, vcc, v5, v9, vcc
.LBB0_37:                               ;   in Loop: Header=BB0_23 Depth=2
	s_andn2_saveexec_b64 s[0:1], s[30:31]
	s_cbranch_execz .LBB0_39
; %bb.38:                               ;   in Loop: Header=BB0_23 Depth=2
	v_cvt_f32_u32_e32 v3, s55
	s_sub_i32 s16, 0, s55
	v_mov_b32_e32 v17, v2
	v_rcp_iflag_f32_e32 v3, v3
	v_mul_f32_e32 v3, 0x4f7ffffe, v3
	v_cvt_u32_f32_e32 v3, v3
	v_mul_lo_u32 v5, s16, v3
	v_mul_hi_u32 v5, v3, v5
	v_add_u32_e32 v3, v3, v5
	v_mul_hi_u32 v3, v14, v3
	v_mul_lo_u32 v5, v3, s55
	v_sub_u32_e32 v5, v14, v5
	v_add_u32_e32 v7, 1, v3
	v_subrev_u32_e32 v9, s55, v5
	v_cmp_le_u32_e32 vcc, s55, v5
	v_cndmask_b32_e32 v5, v5, v9, vcc
	v_cndmask_b32_e32 v3, v3, v7, vcc
	v_add_u32_e32 v7, 1, v3
	v_cmp_le_u32_e32 vcc, s55, v5
	v_cndmask_b32_e32 v16, v3, v7, vcc
.LBB0_39:                               ;   in Loop: Header=BB0_23 Depth=2
	s_or_b64 exec, exec, s[0:1]
	s_add_u32 s0, s43, s28
	s_addc_u32 s1, s44, s29
	s_add_i32 s16, s26, 3
	s_lshl_b64 s[28:29], s[16:17], 2
	s_add_u32 s30, s39, s28
	s_addc_u32 s31, s40, s29
	s_load_dword s57, s[30:31], 0x0
	s_load_dword s58, s[0:1], 0x0
                                        ; implicit-def: $vgpr18_vgpr19
	s_waitcnt lgkmcnt(0)
	s_ashr_i32 s0, s57, 31
	v_or_b32_e32 v3, s0, v17
	v_cmp_ne_u64_e32 vcc, 0, v[2:3]
	s_and_saveexec_b64 s[30:31], vcc
	s_xor_b64 s[30:31], exec, s[30:31]
	s_cbranch_execz .LBB0_41
; %bb.40:                               ;   in Loop: Header=BB0_23 Depth=2
	s_add_u32 s36, s57, s0
	s_mov_b32 s34, s0
	s_mov_b32 s35, s0
	s_addc_u32 s37, s0, s0
	s_xor_b64 s[36:37], s[36:37], s[34:35]
	v_cvt_f32_u32_e32 v3, s36
	v_cvt_f32_u32_e32 v5, s37
	s_sub_u32 s0, 0, s36
	s_subb_u32 s1, 0, s37
	v_mac_f32_e32 v3, 0x4f800000, v5
	v_rcp_f32_e32 v3, v3
	v_mul_f32_e32 v3, 0x5f7ffffc, v3
	v_mul_f32_e32 v5, 0x2f800000, v3
	v_trunc_f32_e32 v5, v5
	v_mac_f32_e32 v3, 0xcf800000, v5
	v_cvt_u32_f32_e32 v5, v5
	v_cvt_u32_f32_e32 v3, v3
	v_mul_lo_u32 v7, s0, v5
	v_mul_hi_u32 v11, s0, v3
	v_mul_lo_u32 v9, s1, v3
	v_add_u32_e32 v7, v11, v7
	v_mul_lo_u32 v13, s0, v3
	v_add_u32_e32 v7, v7, v9
	v_mul_lo_u32 v11, v3, v7
	v_mul_hi_u32 v15, v3, v13
	v_mul_hi_u32 v9, v3, v7
	v_add_co_u32_e32 v11, vcc, v15, v11
	v_addc_co_u32_e32 v9, vcc, 0, v9, vcc
	v_mul_hi_u32 v18, v5, v13
	v_mul_lo_u32 v13, v5, v13
	v_add_co_u32_e32 v11, vcc, v11, v13
	v_mul_hi_u32 v15, v5, v7
	v_addc_co_u32_e32 v9, vcc, v9, v18, vcc
	v_addc_co_u32_e32 v11, vcc, 0, v15, vcc
	v_mul_lo_u32 v7, v5, v7
	v_add_co_u32_e32 v7, vcc, v9, v7
	v_addc_co_u32_e32 v9, vcc, 0, v11, vcc
	v_add_co_u32_e32 v3, vcc, v3, v7
	v_addc_co_u32_e32 v5, vcc, v5, v9, vcc
	v_mul_lo_u32 v7, s0, v5
	v_mul_hi_u32 v9, s0, v3
	v_add_u32_e32 v7, v9, v7
	v_mul_lo_u32 v9, s1, v3
	v_add_u32_e32 v7, v7, v9
	v_mul_lo_u32 v11, s0, v3
	v_mul_hi_u32 v13, v5, v11
	v_mul_lo_u32 v15, v5, v11
	v_mul_lo_u32 v19, v3, v7
	v_mul_hi_u32 v11, v3, v11
	v_mul_hi_u32 v18, v3, v7
	v_add_co_u32_e32 v11, vcc, v11, v19
	v_addc_co_u32_e32 v18, vcc, 0, v18, vcc
	v_add_co_u32_e32 v11, vcc, v11, v15
	v_mul_hi_u32 v9, v5, v7
	v_addc_co_u32_e32 v11, vcc, v18, v13, vcc
	v_addc_co_u32_e32 v9, vcc, 0, v9, vcc
	v_mul_lo_u32 v7, v5, v7
	v_add_co_u32_e32 v7, vcc, v11, v7
	v_addc_co_u32_e32 v9, vcc, 0, v9, vcc
	v_add_co_u32_e32 v3, vcc, v3, v7
	v_addc_co_u32_e32 v5, vcc, v5, v9, vcc
	v_ashrrev_i32_e32 v7, 31, v17
	v_add_co_u32_e32 v9, vcc, v16, v7
	v_xor_b32_e32 v9, v9, v7
	v_addc_co_u32_e32 v11, vcc, v17, v7, vcc
	v_mad_u64_u32 v[18:19], s[0:1], v9, v5, 0
	v_mul_hi_u32 v13, v9, v3
	v_xor_b32_e32 v11, v11, v7
	v_add_co_u32_e32 v13, vcc, v13, v18
	v_addc_co_u32_e32 v15, vcc, 0, v19, vcc
	v_mad_u64_u32 v[20:21], s[0:1], v11, v3, 0
	v_add_co_u32_e32 v3, vcc, v13, v20
	v_mad_u64_u32 v[18:19], s[0:1], v11, v5, 0
	v_addc_co_u32_e32 v3, vcc, v15, v21, vcc
	v_addc_co_u32_e32 v5, vcc, 0, v19, vcc
	v_add_co_u32_e32 v3, vcc, v3, v18
	v_addc_co_u32_e32 v5, vcc, 0, v5, vcc
	v_mul_lo_u32 v13, s37, v3
	v_mul_lo_u32 v15, s36, v5
	v_mad_u64_u32 v[18:19], s[0:1], s36, v3, 0
	v_add3_u32 v13, v19, v15, v13
	v_sub_u32_e32 v15, v11, v13
	v_mov_b32_e32 v17, s37
	v_sub_co_u32_e32 v9, vcc, v9, v18
	v_subb_co_u32_e64 v15, s[0:1], v15, v17, vcc
	v_subrev_co_u32_e64 v17, s[0:1], s36, v9
	v_subbrev_co_u32_e64 v15, s[0:1], 0, v15, s[0:1]
	v_cmp_le_u32_e64 s[0:1], s37, v15
	v_cndmask_b32_e64 v18, 0, -1, s[0:1]
	v_cmp_le_u32_e64 s[0:1], s36, v17
	v_cndmask_b32_e64 v17, 0, -1, s[0:1]
	v_cmp_eq_u32_e64 s[0:1], s37, v15
	v_cndmask_b32_e64 v15, v18, v17, s[0:1]
	v_add_co_u32_e64 v17, s[0:1], 2, v3
	v_subb_co_u32_e32 v11, vcc, v11, v13, vcc
	v_addc_co_u32_e64 v18, s[0:1], 0, v5, s[0:1]
	v_cmp_le_u32_e32 vcc, s37, v11
	v_add_co_u32_e64 v19, s[0:1], 1, v3
	v_cndmask_b32_e64 v13, 0, -1, vcc
	v_cmp_le_u32_e32 vcc, s36, v9
	v_addc_co_u32_e64 v20, s[0:1], 0, v5, s[0:1]
	v_cndmask_b32_e64 v9, 0, -1, vcc
	v_cmp_eq_u32_e32 vcc, s37, v11
	v_cmp_ne_u32_e64 s[0:1], 0, v15
	v_cndmask_b32_e32 v9, v13, v9, vcc
	v_cmp_ne_u32_e32 vcc, 0, v9
	v_cndmask_b32_e64 v9, v19, v17, s[0:1]
	v_cndmask_b32_e64 v15, v20, v18, s[0:1]
	v_cndmask_b32_e32 v3, v3, v9, vcc
	v_xor_b32_e32 v9, s35, v7
	v_xor_b32_e32 v7, s34, v7
	v_cndmask_b32_e32 v5, v5, v15, vcc
	v_xor_b32_e32 v3, v3, v7
	v_xor_b32_e32 v5, v5, v9
	v_sub_co_u32_e32 v18, vcc, v3, v7
	v_subb_co_u32_e32 v19, vcc, v5, v9, vcc
.LBB0_41:                               ;   in Loop: Header=BB0_23 Depth=2
	s_andn2_saveexec_b64 s[0:1], s[30:31]
	s_cbranch_execz .LBB0_43
; %bb.42:                               ;   in Loop: Header=BB0_23 Depth=2
	v_cvt_f32_u32_e32 v3, s57
	s_sub_i32 s16, 0, s57
	v_mov_b32_e32 v19, v2
	v_rcp_iflag_f32_e32 v3, v3
	v_mul_f32_e32 v3, 0x4f7ffffe, v3
	v_cvt_u32_f32_e32 v3, v3
	v_mul_lo_u32 v5, s16, v3
	v_mul_hi_u32 v5, v3, v5
	v_add_u32_e32 v3, v3, v5
	v_mul_hi_u32 v3, v16, v3
	v_mul_lo_u32 v5, v3, s57
	v_sub_u32_e32 v5, v16, v5
	v_add_u32_e32 v7, 1, v3
	v_subrev_u32_e32 v9, s57, v5
	v_cmp_le_u32_e32 vcc, s57, v5
	v_cndmask_b32_e32 v5, v5, v9, vcc
	v_cndmask_b32_e32 v3, v3, v7, vcc
	v_add_u32_e32 v7, 1, v3
	v_cmp_le_u32_e32 vcc, s57, v5
	v_cndmask_b32_e32 v18, v3, v7, vcc
.LBB0_43:                               ;   in Loop: Header=BB0_23 Depth=2
	s_or_b64 exec, exec, s[0:1]
	s_add_u32 s0, s43, s28
	s_addc_u32 s1, s44, s29
	s_add_i32 s16, s26, 2
	s_lshl_b64 s[28:29], s[16:17], 2
	s_add_u32 s30, s39, s28
	s_addc_u32 s31, s40, s29
	s_load_dword s59, s[30:31], 0x0
	s_load_dword s60, s[0:1], 0x0
                                        ; implicit-def: $vgpr20_vgpr21
	s_waitcnt lgkmcnt(0)
	s_ashr_i32 s0, s59, 31
	v_or_b32_e32 v3, s0, v19
	v_cmp_ne_u64_e32 vcc, 0, v[2:3]
	s_and_saveexec_b64 s[30:31], vcc
	s_xor_b64 s[30:31], exec, s[30:31]
	s_cbranch_execz .LBB0_45
; %bb.44:                               ;   in Loop: Header=BB0_23 Depth=2
	s_add_u32 s36, s59, s0
	s_mov_b32 s34, s0
	s_mov_b32 s35, s0
	s_addc_u32 s37, s0, s0
	s_xor_b64 s[36:37], s[36:37], s[34:35]
	v_cvt_f32_u32_e32 v3, s36
	v_cvt_f32_u32_e32 v5, s37
	s_sub_u32 s0, 0, s36
	s_subb_u32 s1, 0, s37
	v_mac_f32_e32 v3, 0x4f800000, v5
	v_rcp_f32_e32 v3, v3
	v_mul_f32_e32 v3, 0x5f7ffffc, v3
	v_mul_f32_e32 v5, 0x2f800000, v3
	v_trunc_f32_e32 v5, v5
	v_mac_f32_e32 v3, 0xcf800000, v5
	v_cvt_u32_f32_e32 v5, v5
	v_cvt_u32_f32_e32 v3, v3
	v_mul_lo_u32 v7, s0, v5
	v_mul_hi_u32 v11, s0, v3
	v_mul_lo_u32 v9, s1, v3
	v_add_u32_e32 v7, v11, v7
	v_mul_lo_u32 v13, s0, v3
	v_add_u32_e32 v7, v7, v9
	v_mul_lo_u32 v11, v3, v7
	v_mul_hi_u32 v15, v3, v13
	v_mul_hi_u32 v9, v3, v7
	v_add_co_u32_e32 v11, vcc, v15, v11
	v_addc_co_u32_e32 v9, vcc, 0, v9, vcc
	v_mul_hi_u32 v17, v5, v13
	v_mul_lo_u32 v13, v5, v13
	v_add_co_u32_e32 v11, vcc, v11, v13
	v_mul_hi_u32 v15, v5, v7
	v_addc_co_u32_e32 v9, vcc, v9, v17, vcc
	v_addc_co_u32_e32 v11, vcc, 0, v15, vcc
	v_mul_lo_u32 v7, v5, v7
	v_add_co_u32_e32 v7, vcc, v9, v7
	v_addc_co_u32_e32 v9, vcc, 0, v11, vcc
	v_add_co_u32_e32 v3, vcc, v3, v7
	v_addc_co_u32_e32 v5, vcc, v5, v9, vcc
	v_mul_lo_u32 v7, s0, v5
	v_mul_hi_u32 v9, s0, v3
	v_add_u32_e32 v7, v9, v7
	v_mul_lo_u32 v9, s1, v3
	v_add_u32_e32 v7, v7, v9
	v_mul_lo_u32 v11, s0, v3
	v_mul_hi_u32 v13, v5, v11
	v_mul_lo_u32 v15, v5, v11
	v_mul_lo_u32 v20, v3, v7
	v_mul_hi_u32 v11, v3, v11
	v_mul_hi_u32 v17, v3, v7
	v_add_co_u32_e32 v11, vcc, v11, v20
	v_addc_co_u32_e32 v17, vcc, 0, v17, vcc
	v_add_co_u32_e32 v11, vcc, v11, v15
	v_mul_hi_u32 v9, v5, v7
	v_addc_co_u32_e32 v11, vcc, v17, v13, vcc
	v_addc_co_u32_e32 v9, vcc, 0, v9, vcc
	v_mul_lo_u32 v7, v5, v7
	v_add_co_u32_e32 v7, vcc, v11, v7
	v_addc_co_u32_e32 v9, vcc, 0, v9, vcc
	v_add_co_u32_e32 v3, vcc, v3, v7
	v_addc_co_u32_e32 v5, vcc, v5, v9, vcc
	v_ashrrev_i32_e32 v7, 31, v19
	v_add_co_u32_e32 v9, vcc, v18, v7
	v_xor_b32_e32 v9, v9, v7
	v_addc_co_u32_e32 v11, vcc, v19, v7, vcc
	v_mad_u64_u32 v[20:21], s[0:1], v9, v5, 0
	v_mul_hi_u32 v13, v9, v3
	v_xor_b32_e32 v11, v11, v7
	v_add_co_u32_e32 v13, vcc, v13, v20
	v_addc_co_u32_e32 v15, vcc, 0, v21, vcc
	v_mad_u64_u32 v[22:23], s[0:1], v11, v3, 0
	v_add_co_u32_e32 v3, vcc, v13, v22
	v_mad_u64_u32 v[20:21], s[0:1], v11, v5, 0
	v_addc_co_u32_e32 v3, vcc, v15, v23, vcc
	v_addc_co_u32_e32 v5, vcc, 0, v21, vcc
	v_add_co_u32_e32 v3, vcc, v3, v20
	v_addc_co_u32_e32 v5, vcc, 0, v5, vcc
	v_mul_lo_u32 v13, s37, v3
	v_mul_lo_u32 v15, s36, v5
	v_mad_u64_u32 v[20:21], s[0:1], s36, v3, 0
	v_add3_u32 v13, v21, v15, v13
	v_sub_u32_e32 v15, v11, v13
	v_mov_b32_e32 v17, s37
	v_sub_co_u32_e32 v9, vcc, v9, v20
	v_subb_co_u32_e64 v15, s[0:1], v15, v17, vcc
	v_subrev_co_u32_e64 v17, s[0:1], s36, v9
	v_subbrev_co_u32_e64 v15, s[0:1], 0, v15, s[0:1]
	v_cmp_le_u32_e64 s[0:1], s37, v15
	v_cndmask_b32_e64 v19, 0, -1, s[0:1]
	v_cmp_le_u32_e64 s[0:1], s36, v17
	v_cndmask_b32_e64 v17, 0, -1, s[0:1]
	v_cmp_eq_u32_e64 s[0:1], s37, v15
	v_cndmask_b32_e64 v15, v19, v17, s[0:1]
	v_add_co_u32_e64 v17, s[0:1], 2, v3
	v_subb_co_u32_e32 v11, vcc, v11, v13, vcc
	v_addc_co_u32_e64 v19, s[0:1], 0, v5, s[0:1]
	v_cmp_le_u32_e32 vcc, s37, v11
	v_add_co_u32_e64 v20, s[0:1], 1, v3
	v_cndmask_b32_e64 v13, 0, -1, vcc
	v_cmp_le_u32_e32 vcc, s36, v9
	v_addc_co_u32_e64 v21, s[0:1], 0, v5, s[0:1]
	v_cndmask_b32_e64 v9, 0, -1, vcc
	v_cmp_eq_u32_e32 vcc, s37, v11
	v_cmp_ne_u32_e64 s[0:1], 0, v15
	v_cndmask_b32_e32 v9, v13, v9, vcc
	v_cmp_ne_u32_e32 vcc, 0, v9
	v_cndmask_b32_e64 v9, v20, v17, s[0:1]
	v_cndmask_b32_e64 v15, v21, v19, s[0:1]
	v_cndmask_b32_e32 v3, v3, v9, vcc
	v_xor_b32_e32 v9, s35, v7
	v_xor_b32_e32 v7, s34, v7
	v_cndmask_b32_e32 v5, v5, v15, vcc
	v_xor_b32_e32 v3, v3, v7
	v_xor_b32_e32 v5, v5, v9
	v_sub_co_u32_e32 v20, vcc, v3, v7
	v_subb_co_u32_e32 v21, vcc, v5, v9, vcc
.LBB0_45:                               ;   in Loop: Header=BB0_23 Depth=2
	s_andn2_saveexec_b64 s[0:1], s[30:31]
	s_cbranch_execz .LBB0_47
; %bb.46:                               ;   in Loop: Header=BB0_23 Depth=2
	v_cvt_f32_u32_e32 v3, s59
	s_sub_i32 s16, 0, s59
	v_mov_b32_e32 v21, v2
	v_rcp_iflag_f32_e32 v3, v3
	v_mul_f32_e32 v3, 0x4f7ffffe, v3
	v_cvt_u32_f32_e32 v3, v3
	v_mul_lo_u32 v5, s16, v3
	v_mul_hi_u32 v5, v3, v5
	v_add_u32_e32 v3, v3, v5
	v_mul_hi_u32 v3, v18, v3
	v_mul_lo_u32 v5, v3, s59
	v_sub_u32_e32 v5, v18, v5
	v_add_u32_e32 v7, 1, v3
	v_subrev_u32_e32 v9, s59, v5
	v_cmp_le_u32_e32 vcc, s59, v5
	v_cndmask_b32_e32 v5, v5, v9, vcc
	v_cndmask_b32_e32 v3, v3, v7, vcc
	v_add_u32_e32 v7, 1, v3
	v_cmp_le_u32_e32 vcc, s59, v5
	v_cndmask_b32_e32 v20, v3, v7, vcc
.LBB0_47:                               ;   in Loop: Header=BB0_23 Depth=2
	s_or_b64 exec, exec, s[0:1]
	s_add_u32 s0, s43, s28
	s_addc_u32 s1, s44, s29
	s_add_i32 s16, s26, 1
	s_lshl_b64 s[28:29], s[16:17], 2
	s_add_u32 s30, s39, s28
	s_addc_u32 s31, s40, s29
	s_load_dword s16, s[30:31], 0x0
	s_load_dword s61, s[0:1], 0x0
                                        ; implicit-def: $vgpr22_vgpr23
	s_waitcnt lgkmcnt(0)
	s_ashr_i32 s0, s16, 31
	v_or_b32_e32 v3, s0, v21
	v_cmp_ne_u64_e32 vcc, 0, v[2:3]
	s_and_saveexec_b64 s[30:31], vcc
	s_xor_b64 s[30:31], exec, s[30:31]
	s_cbranch_execz .LBB0_49
; %bb.48:                               ;   in Loop: Header=BB0_23 Depth=2
	s_add_u32 s36, s16, s0
	s_mov_b32 s34, s0
	s_mov_b32 s35, s0
	s_addc_u32 s37, s0, s0
	s_xor_b64 s[36:37], s[36:37], s[34:35]
	v_cvt_f32_u32_e32 v3, s36
	v_cvt_f32_u32_e32 v5, s37
	s_sub_u32 s0, 0, s36
	s_subb_u32 s1, 0, s37
	v_mac_f32_e32 v3, 0x4f800000, v5
	v_rcp_f32_e32 v3, v3
	v_mul_f32_e32 v3, 0x5f7ffffc, v3
	v_mul_f32_e32 v5, 0x2f800000, v3
	v_trunc_f32_e32 v5, v5
	v_mac_f32_e32 v3, 0xcf800000, v5
	v_cvt_u32_f32_e32 v5, v5
	v_cvt_u32_f32_e32 v3, v3
	v_mul_lo_u32 v7, s0, v5
	v_mul_hi_u32 v11, s0, v3
	v_mul_lo_u32 v9, s1, v3
	v_add_u32_e32 v7, v11, v7
	v_mul_lo_u32 v13, s0, v3
	v_add_u32_e32 v7, v7, v9
	v_mul_lo_u32 v11, v3, v7
	v_mul_hi_u32 v15, v3, v13
	v_mul_hi_u32 v9, v3, v7
	v_add_co_u32_e32 v11, vcc, v15, v11
	v_addc_co_u32_e32 v9, vcc, 0, v9, vcc
	v_mul_hi_u32 v17, v5, v13
	v_mul_lo_u32 v13, v5, v13
	v_add_co_u32_e32 v11, vcc, v11, v13
	v_mul_hi_u32 v15, v5, v7
	v_addc_co_u32_e32 v9, vcc, v9, v17, vcc
	v_addc_co_u32_e32 v11, vcc, 0, v15, vcc
	v_mul_lo_u32 v7, v5, v7
	v_add_co_u32_e32 v7, vcc, v9, v7
	v_addc_co_u32_e32 v9, vcc, 0, v11, vcc
	v_add_co_u32_e32 v3, vcc, v3, v7
	v_addc_co_u32_e32 v5, vcc, v5, v9, vcc
	v_mul_lo_u32 v7, s0, v5
	v_mul_hi_u32 v9, s0, v3
	v_add_u32_e32 v7, v9, v7
	v_mul_lo_u32 v9, s1, v3
	v_add_u32_e32 v7, v7, v9
	v_mul_lo_u32 v11, s0, v3
	v_mul_hi_u32 v13, v5, v11
	v_mul_lo_u32 v15, v5, v11
	v_mul_lo_u32 v19, v3, v7
	v_mul_hi_u32 v11, v3, v11
	v_mul_hi_u32 v17, v3, v7
	v_add_co_u32_e32 v11, vcc, v11, v19
	v_addc_co_u32_e32 v17, vcc, 0, v17, vcc
	v_add_co_u32_e32 v11, vcc, v11, v15
	v_mul_hi_u32 v9, v5, v7
	v_addc_co_u32_e32 v11, vcc, v17, v13, vcc
	v_addc_co_u32_e32 v9, vcc, 0, v9, vcc
	v_mul_lo_u32 v7, v5, v7
	v_add_co_u32_e32 v7, vcc, v11, v7
	v_addc_co_u32_e32 v9, vcc, 0, v9, vcc
	v_add_co_u32_e32 v3, vcc, v3, v7
	v_addc_co_u32_e32 v5, vcc, v5, v9, vcc
	v_ashrrev_i32_e32 v7, 31, v21
	v_add_co_u32_e32 v9, vcc, v20, v7
	v_xor_b32_e32 v9, v9, v7
	v_addc_co_u32_e32 v11, vcc, v21, v7, vcc
	v_mad_u64_u32 v[22:23], s[0:1], v9, v5, 0
	v_mul_hi_u32 v13, v9, v3
	v_xor_b32_e32 v11, v11, v7
	v_add_co_u32_e32 v13, vcc, v13, v22
	v_addc_co_u32_e32 v15, vcc, 0, v23, vcc
	v_mad_u64_u32 v[24:25], s[0:1], v11, v3, 0
	v_add_co_u32_e32 v3, vcc, v13, v24
	v_mad_u64_u32 v[22:23], s[0:1], v11, v5, 0
	v_addc_co_u32_e32 v3, vcc, v15, v25, vcc
	v_addc_co_u32_e32 v5, vcc, 0, v23, vcc
	v_add_co_u32_e32 v3, vcc, v3, v22
	v_addc_co_u32_e32 v5, vcc, 0, v5, vcc
	v_mul_lo_u32 v13, s37, v3
	v_mul_lo_u32 v15, s36, v5
	v_mad_u64_u32 v[22:23], s[0:1], s36, v3, 0
	v_add3_u32 v13, v23, v15, v13
	v_sub_u32_e32 v15, v11, v13
	v_mov_b32_e32 v17, s37
	v_sub_co_u32_e32 v9, vcc, v9, v22
	v_subb_co_u32_e64 v15, s[0:1], v15, v17, vcc
	v_subrev_co_u32_e64 v17, s[0:1], s36, v9
	v_subbrev_co_u32_e64 v15, s[0:1], 0, v15, s[0:1]
	v_cmp_le_u32_e64 s[0:1], s37, v15
	v_cndmask_b32_e64 v19, 0, -1, s[0:1]
	v_cmp_le_u32_e64 s[0:1], s36, v17
	v_cndmask_b32_e64 v17, 0, -1, s[0:1]
	v_cmp_eq_u32_e64 s[0:1], s37, v15
	v_cndmask_b32_e64 v15, v19, v17, s[0:1]
	v_add_co_u32_e64 v17, s[0:1], 2, v3
	v_subb_co_u32_e32 v11, vcc, v11, v13, vcc
	v_addc_co_u32_e64 v19, s[0:1], 0, v5, s[0:1]
	v_cmp_le_u32_e32 vcc, s37, v11
	v_add_co_u32_e64 v21, s[0:1], 1, v3
	v_cndmask_b32_e64 v13, 0, -1, vcc
	v_cmp_le_u32_e32 vcc, s36, v9
	v_addc_co_u32_e64 v22, s[0:1], 0, v5, s[0:1]
	v_cndmask_b32_e64 v9, 0, -1, vcc
	v_cmp_eq_u32_e32 vcc, s37, v11
	v_cmp_ne_u32_e64 s[0:1], 0, v15
	v_cndmask_b32_e32 v9, v13, v9, vcc
	v_cmp_ne_u32_e32 vcc, 0, v9
	v_cndmask_b32_e64 v9, v21, v17, s[0:1]
	v_cndmask_b32_e64 v15, v22, v19, s[0:1]
	v_cndmask_b32_e32 v3, v3, v9, vcc
	v_xor_b32_e32 v9, s35, v7
	v_xor_b32_e32 v7, s34, v7
	v_cndmask_b32_e32 v5, v5, v15, vcc
	v_xor_b32_e32 v3, v3, v7
	v_xor_b32_e32 v5, v5, v9
	v_sub_co_u32_e32 v22, vcc, v3, v7
	v_subb_co_u32_e32 v23, vcc, v5, v9, vcc
.LBB0_49:                               ;   in Loop: Header=BB0_23 Depth=2
	s_andn2_saveexec_b64 s[0:1], s[30:31]
	s_cbranch_execz .LBB0_51
; %bb.50:                               ;   in Loop: Header=BB0_23 Depth=2
	v_cvt_f32_u32_e32 v3, s16
	s_sub_i32 s27, 0, s16
	v_mov_b32_e32 v23, v2
	v_rcp_iflag_f32_e32 v3, v3
	v_mul_f32_e32 v3, 0x4f7ffffe, v3
	v_cvt_u32_f32_e32 v3, v3
	v_mul_lo_u32 v5, s27, v3
	v_mul_hi_u32 v5, v3, v5
	v_add_u32_e32 v3, v3, v5
	v_mul_hi_u32 v3, v20, v3
	v_mul_lo_u32 v5, v3, s16
	v_sub_u32_e32 v5, v20, v5
	v_add_u32_e32 v7, 1, v3
	v_subrev_u32_e32 v9, s16, v5
	v_cmp_le_u32_e32 vcc, s16, v5
	v_cndmask_b32_e32 v5, v5, v9, vcc
	v_cndmask_b32_e32 v3, v3, v7, vcc
	v_add_u32_e32 v7, 1, v3
	v_cmp_le_u32_e32 vcc, s16, v5
	v_cndmask_b32_e32 v22, v3, v7, vcc
.LBB0_51:                               ;   in Loop: Header=BB0_23 Depth=2
	s_or_b64 exec, exec, s[0:1]
	s_add_u32 s0, s43, s28
	s_mov_b32 s27, s17
	s_addc_u32 s1, s44, s29
	s_lshl_b64 s[28:29], s[26:27], 2
	s_add_u32 s30, s39, s28
	s_addc_u32 s31, s40, s29
	s_load_dword s27, s[30:31], 0x0
	s_load_dword s62, s[0:1], 0x0
                                        ; implicit-def: $vgpr24_vgpr25
	s_waitcnt lgkmcnt(0)
	s_ashr_i32 s0, s27, 31
	v_or_b32_e32 v3, s0, v23
	v_cmp_ne_u64_e32 vcc, 0, v[2:3]
	s_and_saveexec_b64 s[30:31], vcc
	s_xor_b64 s[30:31], exec, s[30:31]
	s_cbranch_execz .LBB0_53
; %bb.52:                               ;   in Loop: Header=BB0_23 Depth=2
	s_add_u32 s36, s27, s0
	s_mov_b32 s34, s0
	s_mov_b32 s35, s0
	s_addc_u32 s37, s0, s0
	s_xor_b64 s[36:37], s[36:37], s[34:35]
	v_cvt_f32_u32_e32 v3, s36
	v_cvt_f32_u32_e32 v5, s37
	s_sub_u32 s0, 0, s36
	s_subb_u32 s1, 0, s37
	v_mac_f32_e32 v3, 0x4f800000, v5
	v_rcp_f32_e32 v3, v3
	v_mul_f32_e32 v3, 0x5f7ffffc, v3
	v_mul_f32_e32 v5, 0x2f800000, v3
	v_trunc_f32_e32 v5, v5
	v_mac_f32_e32 v3, 0xcf800000, v5
	v_cvt_u32_f32_e32 v5, v5
	v_cvt_u32_f32_e32 v3, v3
	v_mul_lo_u32 v7, s0, v5
	v_mul_hi_u32 v11, s0, v3
	v_mul_lo_u32 v9, s1, v3
	v_add_u32_e32 v7, v11, v7
	v_mul_lo_u32 v13, s0, v3
	v_add_u32_e32 v7, v7, v9
	v_mul_lo_u32 v11, v3, v7
	v_mul_hi_u32 v15, v3, v13
	v_mul_hi_u32 v9, v3, v7
	v_add_co_u32_e32 v11, vcc, v15, v11
	v_addc_co_u32_e32 v9, vcc, 0, v9, vcc
	v_mul_hi_u32 v17, v5, v13
	v_mul_lo_u32 v13, v5, v13
	v_add_co_u32_e32 v11, vcc, v11, v13
	v_mul_hi_u32 v15, v5, v7
	v_addc_co_u32_e32 v9, vcc, v9, v17, vcc
	v_addc_co_u32_e32 v11, vcc, 0, v15, vcc
	v_mul_lo_u32 v7, v5, v7
	v_add_co_u32_e32 v7, vcc, v9, v7
	v_addc_co_u32_e32 v9, vcc, 0, v11, vcc
	v_add_co_u32_e32 v3, vcc, v3, v7
	v_addc_co_u32_e32 v5, vcc, v5, v9, vcc
	v_mul_lo_u32 v7, s0, v5
	v_mul_hi_u32 v9, s0, v3
	v_add_u32_e32 v7, v9, v7
	v_mul_lo_u32 v9, s1, v3
	v_add_u32_e32 v7, v7, v9
	v_mul_lo_u32 v11, s0, v3
	v_mul_hi_u32 v13, v5, v11
	v_mul_lo_u32 v15, v5, v11
	v_mul_lo_u32 v19, v3, v7
	v_mul_hi_u32 v11, v3, v11
	v_mul_hi_u32 v17, v3, v7
	v_add_co_u32_e32 v11, vcc, v11, v19
	v_addc_co_u32_e32 v17, vcc, 0, v17, vcc
	v_add_co_u32_e32 v11, vcc, v11, v15
	v_mul_hi_u32 v9, v5, v7
	v_addc_co_u32_e32 v11, vcc, v17, v13, vcc
	v_addc_co_u32_e32 v9, vcc, 0, v9, vcc
	v_mul_lo_u32 v7, v5, v7
	v_add_co_u32_e32 v7, vcc, v11, v7
	v_addc_co_u32_e32 v9, vcc, 0, v9, vcc
	v_add_co_u32_e32 v3, vcc, v3, v7
	v_addc_co_u32_e32 v5, vcc, v5, v9, vcc
	v_ashrrev_i32_e32 v7, 31, v23
	v_add_co_u32_e32 v9, vcc, v22, v7
	v_xor_b32_e32 v9, v9, v7
	v_addc_co_u32_e32 v11, vcc, v23, v7, vcc
	v_mad_u64_u32 v[24:25], s[0:1], v9, v5, 0
	v_mul_hi_u32 v13, v9, v3
	v_xor_b32_e32 v11, v11, v7
	v_add_co_u32_e32 v13, vcc, v13, v24
	v_addc_co_u32_e32 v15, vcc, 0, v25, vcc
	v_mad_u64_u32 v[30:31], s[0:1], v11, v3, 0
	v_add_co_u32_e32 v3, vcc, v13, v30
	v_mad_u64_u32 v[24:25], s[0:1], v11, v5, 0
	v_addc_co_u32_e32 v3, vcc, v15, v31, vcc
	v_addc_co_u32_e32 v5, vcc, 0, v25, vcc
	v_add_co_u32_e32 v3, vcc, v3, v24
	v_addc_co_u32_e32 v5, vcc, 0, v5, vcc
	v_mul_lo_u32 v13, s37, v3
	v_mul_lo_u32 v15, s36, v5
	v_mad_u64_u32 v[24:25], s[0:1], s36, v3, 0
	v_add3_u32 v13, v25, v15, v13
	v_sub_u32_e32 v15, v11, v13
	v_mov_b32_e32 v17, s37
	v_sub_co_u32_e32 v9, vcc, v9, v24
	v_subb_co_u32_e64 v15, s[0:1], v15, v17, vcc
	v_subrev_co_u32_e64 v17, s[0:1], s36, v9
	v_subbrev_co_u32_e64 v15, s[0:1], 0, v15, s[0:1]
	v_cmp_le_u32_e64 s[0:1], s37, v15
	v_cndmask_b32_e64 v19, 0, -1, s[0:1]
	v_cmp_le_u32_e64 s[0:1], s36, v17
	v_cndmask_b32_e64 v17, 0, -1, s[0:1]
	v_cmp_eq_u32_e64 s[0:1], s37, v15
	v_cndmask_b32_e64 v15, v19, v17, s[0:1]
	v_add_co_u32_e64 v17, s[0:1], 2, v3
	v_subb_co_u32_e32 v11, vcc, v11, v13, vcc
	v_addc_co_u32_e64 v19, s[0:1], 0, v5, s[0:1]
	v_cmp_le_u32_e32 vcc, s37, v11
	v_add_co_u32_e64 v21, s[0:1], 1, v3
	v_cndmask_b32_e64 v13, 0, -1, vcc
	v_cmp_le_u32_e32 vcc, s36, v9
	v_addc_co_u32_e64 v23, s[0:1], 0, v5, s[0:1]
	v_cndmask_b32_e64 v9, 0, -1, vcc
	v_cmp_eq_u32_e32 vcc, s37, v11
	v_cmp_ne_u32_e64 s[0:1], 0, v15
	v_cndmask_b32_e32 v9, v13, v9, vcc
	v_cmp_ne_u32_e32 vcc, 0, v9
	v_cndmask_b32_e64 v9, v21, v17, s[0:1]
	v_cndmask_b32_e64 v15, v23, v19, s[0:1]
	v_cndmask_b32_e32 v3, v3, v9, vcc
	v_xor_b32_e32 v9, s35, v7
	v_xor_b32_e32 v7, s34, v7
	v_cndmask_b32_e32 v5, v5, v15, vcc
	v_xor_b32_e32 v3, v3, v7
	v_xor_b32_e32 v5, v5, v9
	v_sub_co_u32_e32 v24, vcc, v3, v7
	v_subb_co_u32_e32 v25, vcc, v5, v9, vcc
.LBB0_53:                               ;   in Loop: Header=BB0_23 Depth=2
	s_andn2_saveexec_b64 s[0:1], s[30:31]
	s_cbranch_execz .LBB0_55
; %bb.54:                               ;   in Loop: Header=BB0_23 Depth=2
	v_cvt_f32_u32_e32 v3, s27
	s_sub_i32 s30, 0, s27
	v_mov_b32_e32 v25, v2
	v_rcp_iflag_f32_e32 v3, v3
	v_mul_f32_e32 v3, 0x4f7ffffe, v3
	v_cvt_u32_f32_e32 v3, v3
	v_mul_lo_u32 v5, s30, v3
	v_mul_hi_u32 v5, v3, v5
	v_add_u32_e32 v3, v3, v5
	v_mul_hi_u32 v3, v22, v3
	v_mul_lo_u32 v5, v3, s27
	v_sub_u32_e32 v5, v22, v5
	v_add_u32_e32 v7, 1, v3
	v_subrev_u32_e32 v9, s27, v5
	v_cmp_le_u32_e32 vcc, s27, v5
	v_cndmask_b32_e32 v5, v5, v9, vcc
	v_cndmask_b32_e32 v3, v3, v7, vcc
	v_add_u32_e32 v7, 1, v3
	v_cmp_le_u32_e32 vcc, s27, v5
	v_cndmask_b32_e32 v24, v3, v7, vcc
.LBB0_55:                               ;   in Loop: Header=BB0_23 Depth=2
	s_or_b64 exec, exec, s[0:1]
	v_mul_lo_u32 v3, v10, s50
	v_mul_lo_u32 v5, v12, s51
	v_sub_u32_e32 v3, v8, v3
	v_sub_u32_e32 v5, v10, v5
	v_mul_lo_u32 v3, s52, v3
	v_mul_lo_u32 v5, s54, v5
	v_add3_u32 v3, v3, v4, v5
	v_mul_lo_u32 v4, v14, s53
	v_mul_lo_u32 v5, v16, s55
	v_sub_u32_e32 v4, v12, v4
	v_sub_u32_e32 v5, v14, v5
	s_add_u32 s0, s43, s28
	v_mul_lo_u32 v4, s56, v4
	v_mul_lo_u32 v5, s58, v5
	s_addc_u32 s1, s44, s29
	v_add3_u32 v3, v4, v3, v5
	v_mul_lo_u32 v4, v18, s57
	v_mul_lo_u32 v5, v20, s59
	s_load_dword s0, s[0:1], 0x0
	v_sub_u32_e32 v4, v16, v4
	v_sub_u32_e32 v5, v18, v5
	v_mul_lo_u32 v4, s60, v4
	v_mul_lo_u32 v5, s61, v5
	v_add3_u32 v3, v4, v3, v5
	v_mul_lo_u32 v4, v22, s16
	v_mul_lo_u32 v5, v24, s27
	v_sub_u32_e32 v4, v20, v4
	v_sub_u32_e32 v5, v22, v5
	v_mul_lo_u32 v4, s62, v4
	s_waitcnt lgkmcnt(0)
	v_mul_lo_u32 v5, s0, v5
	s_add_i32 s26, s26, -8
	s_cmp_eq_u32 s26, -8
	v_add3_u32 v4, v4, v3, v5
	s_cbranch_scc1 .LBB0_57
; %bb.56:                               ;   in Loop: Header=BB0_23 Depth=2
	v_pk_mov_b32 v[8:9], v[24:25], v[24:25] op_sel:[0,1]
	s_branch .LBB0_23
.LBB0_57:                               ;   in Loop: Header=BB0_3 Depth=1
	s_load_dword s16, s[14:15], 0x0
	s_waitcnt lgkmcnt(0)
	v_cmp_gt_i32_e32 vcc, s16, v28
	s_and_b64 exec, exec, vcc
	s_cbranch_execz .LBB0_2
; %bb.58:                               ;   in Loop: Header=BB0_3 Depth=1
	v_ashrrev_i32_e32 v7, 31, v6
	v_cmp_lt_i64_e32 vcc, s[8:9], v[6:7]
	s_and_saveexec_b64 s[0:1], vcc
	s_cbranch_execz .LBB0_60
; %bb.59:                               ;   in Loop: Header=BB0_3 Depth=1
	v_ashrrev_i32_e32 v3, 31, v4
	v_mov_b32_e32 v5, s3
	v_add_co_u32_e32 v6, vcc, s2, v4
	v_addc_co_u32_e32 v7, vcc, v5, v3, vcc
	global_store_byte v[6:7], v2, off
.LBB0_60:                               ;   in Loop: Header=BB0_3 Depth=1
	s_or_b64 exec, exec, s[0:1]
	v_add_u32_e32 v3, 1, v28
	v_cmp_gt_i32_e32 vcc, s16, v3
	s_and_b64 exec, exec, vcc
	s_cbranch_execz .LBB0_2
; %bb.61:                               ;   in Loop: Header=BB0_3 Depth=1
	v_sub_u32_e32 v6, v3, v27
	v_ashrrev_i32_e32 v7, 31, v6
	v_cmp_lt_i64_e32 vcc, s[8:9], v[6:7]
	s_and_saveexec_b64 s[0:1], vcc
	s_cbranch_execz .LBB0_63
; %bb.62:                               ;   in Loop: Header=BB0_3 Depth=1
	v_add_u32_e32 v3, s49, v4
	v_ashrrev_i32_e32 v5, 31, v3
	v_mov_b32_e32 v7, s3
	v_add_co_u32_e32 v6, vcc, s2, v3
	v_addc_co_u32_e32 v7, vcc, v7, v5, vcc
	global_store_byte v[6:7], v2, off
.LBB0_63:                               ;   in Loop: Header=BB0_3 Depth=1
	s_or_b64 exec, exec, s[0:1]
	v_add_u32_e32 v3, 2, v28
	v_cmp_gt_i32_e32 vcc, s16, v3
	s_and_b64 exec, exec, vcc
	s_cbranch_execz .LBB0_2
; %bb.64:                               ;   in Loop: Header=BB0_3 Depth=1
	v_sub_u32_e32 v6, v3, v27
	v_ashrrev_i32_e32 v7, 31, v6
	v_cmp_lt_i64_e32 vcc, s[8:9], v[6:7]
	s_and_saveexec_b64 s[0:1], vcc
	s_cbranch_execz .LBB0_66
; %bb.65:                               ;   in Loop: Header=BB0_3 Depth=1
	v_lshl_add_u32 v3, s49, 1, v4
	v_ashrrev_i32_e32 v5, 31, v3
	v_mov_b32_e32 v7, s3
	v_add_co_u32_e32 v6, vcc, s2, v3
	v_addc_co_u32_e32 v7, vcc, v7, v5, vcc
	global_store_byte v[6:7], v2, off
.LBB0_66:                               ;   in Loop: Header=BB0_3 Depth=1
	s_or_b64 exec, exec, s[0:1]
	v_add_u32_e32 v3, 3, v28
	v_cmp_gt_i32_e32 vcc, s16, v3
	s_and_b64 exec, exec, vcc
	s_cbranch_execz .LBB0_2
; %bb.67:                               ;   in Loop: Header=BB0_3 Depth=1
	v_sub_u32_e32 v6, v3, v27
	v_ashrrev_i32_e32 v7, 31, v6
	v_cmp_lt_i64_e32 vcc, s[8:9], v[6:7]
	s_and_b64 exec, exec, vcc
	s_cbranch_execz .LBB0_2
; %bb.68:                               ;   in Loop: Header=BB0_3 Depth=1
	v_mad_u64_u32 v[4:5], s[0:1], s49, 3, v[4:5]
	v_ashrrev_i32_e32 v3, 31, v4
	v_mov_b32_e32 v5, s3
	v_add_co_u32_e32 v4, vcc, s2, v4
	v_addc_co_u32_e32 v5, vcc, v5, v3, vcc
	global_store_byte v[4:5], v2, off
	s_branch .LBB0_2
.LBB0_69:
	s_endpgm
	.section	.rodata,"a",@progbits
	.p2align	6, 0x0
	.amdhsa_kernel _ZN2at6native16triu_tril_kernelIhiLb0ELi4ELb1EEEvNS_4cuda6detail10TensorInfoIT_T0_EENS4_IKS5_S6_EEllS6_
		.amdhsa_group_segment_fixed_size 0
		.amdhsa_private_segment_fixed_size 0
		.amdhsa_kernarg_size 712
		.amdhsa_user_sgpr_count 6
		.amdhsa_user_sgpr_private_segment_buffer 1
		.amdhsa_user_sgpr_dispatch_ptr 0
		.amdhsa_user_sgpr_queue_ptr 0
		.amdhsa_user_sgpr_kernarg_segment_ptr 1
		.amdhsa_user_sgpr_dispatch_id 0
		.amdhsa_user_sgpr_flat_scratch_init 0
		.amdhsa_user_sgpr_kernarg_preload_length 0
		.amdhsa_user_sgpr_kernarg_preload_offset 0
		.amdhsa_user_sgpr_private_segment_size 0
		.amdhsa_uses_dynamic_stack 0
		.amdhsa_system_sgpr_private_segment_wavefront_offset 0
		.amdhsa_system_sgpr_workgroup_id_x 1
		.amdhsa_system_sgpr_workgroup_id_y 0
		.amdhsa_system_sgpr_workgroup_id_z 0
		.amdhsa_system_sgpr_workgroup_info 0
		.amdhsa_system_vgpr_workitem_id 0
		.amdhsa_next_free_vgpr 32
		.amdhsa_next_free_sgpr 63
		.amdhsa_accum_offset 32
		.amdhsa_reserve_vcc 1
		.amdhsa_reserve_flat_scratch 0
		.amdhsa_float_round_mode_32 0
		.amdhsa_float_round_mode_16_64 0
		.amdhsa_float_denorm_mode_32 3
		.amdhsa_float_denorm_mode_16_64 3
		.amdhsa_dx10_clamp 1
		.amdhsa_ieee_mode 1
		.amdhsa_fp16_overflow 0
		.amdhsa_tg_split 0
		.amdhsa_exception_fp_ieee_invalid_op 0
		.amdhsa_exception_fp_denorm_src 0
		.amdhsa_exception_fp_ieee_div_zero 0
		.amdhsa_exception_fp_ieee_overflow 0
		.amdhsa_exception_fp_ieee_underflow 0
		.amdhsa_exception_fp_ieee_inexact 0
		.amdhsa_exception_int_div_zero 0
	.end_amdhsa_kernel
	.section	.text._ZN2at6native16triu_tril_kernelIhiLb0ELi4ELb1EEEvNS_4cuda6detail10TensorInfoIT_T0_EENS4_IKS5_S6_EEllS6_,"axG",@progbits,_ZN2at6native16triu_tril_kernelIhiLb0ELi4ELb1EEEvNS_4cuda6detail10TensorInfoIT_T0_EENS4_IKS5_S6_EEllS6_,comdat
.Lfunc_end0:
	.size	_ZN2at6native16triu_tril_kernelIhiLb0ELi4ELb1EEEvNS_4cuda6detail10TensorInfoIT_T0_EENS4_IKS5_S6_EEllS6_, .Lfunc_end0-_ZN2at6native16triu_tril_kernelIhiLb0ELi4ELb1EEEvNS_4cuda6detail10TensorInfoIT_T0_EENS4_IKS5_S6_EEllS6_
                                        ; -- End function
	.section	.AMDGPU.csdata,"",@progbits
; Kernel info:
; codeLenInByte = 10264
; NumSgprs: 67
; NumVgprs: 32
; NumAgprs: 0
; TotalNumVgprs: 32
; ScratchSize: 0
; MemoryBound: 0
; FloatMode: 240
; IeeeMode: 1
; LDSByteSize: 0 bytes/workgroup (compile time only)
; SGPRBlocks: 8
; VGPRBlocks: 3
; NumSGPRsForWavesPerEU: 67
; NumVGPRsForWavesPerEU: 32
; AccumOffset: 32
; Occupancy: 8
; WaveLimiterHint : 0
; COMPUTE_PGM_RSRC2:SCRATCH_EN: 0
; COMPUTE_PGM_RSRC2:USER_SGPR: 6
; COMPUTE_PGM_RSRC2:TRAP_HANDLER: 0
; COMPUTE_PGM_RSRC2:TGID_X_EN: 1
; COMPUTE_PGM_RSRC2:TGID_Y_EN: 0
; COMPUTE_PGM_RSRC2:TGID_Z_EN: 0
; COMPUTE_PGM_RSRC2:TIDIG_COMP_CNT: 0
; COMPUTE_PGM_RSRC3_GFX90A:ACCUM_OFFSET: 7
; COMPUTE_PGM_RSRC3_GFX90A:TG_SPLIT: 0
	.section	.text._ZN2at6native16triu_tril_kernelIhiLb0ELi4ELb0EEEvNS_4cuda6detail10TensorInfoIT_T0_EENS4_IKS5_S6_EEllS6_,"axG",@progbits,_ZN2at6native16triu_tril_kernelIhiLb0ELi4ELb0EEEvNS_4cuda6detail10TensorInfoIT_T0_EENS4_IKS5_S6_EEllS6_,comdat
	.protected	_ZN2at6native16triu_tril_kernelIhiLb0ELi4ELb0EEEvNS_4cuda6detail10TensorInfoIT_T0_EENS4_IKS5_S6_EEllS6_ ; -- Begin function _ZN2at6native16triu_tril_kernelIhiLb0ELi4ELb0EEEvNS_4cuda6detail10TensorInfoIT_T0_EENS4_IKS5_S6_EEllS6_
	.globl	_ZN2at6native16triu_tril_kernelIhiLb0ELi4ELb0EEEvNS_4cuda6detail10TensorInfoIT_T0_EENS4_IKS5_S6_EEllS6_
	.p2align	8
	.type	_ZN2at6native16triu_tril_kernelIhiLb0ELi4ELb0EEEvNS_4cuda6detail10TensorInfoIT_T0_EENS4_IKS5_S6_EEllS6_,@function
_ZN2at6native16triu_tril_kernelIhiLb0ELi4ELb0EEEvNS_4cuda6detail10TensorInfoIT_T0_EENS4_IKS5_S6_EEllS6_: ; @_ZN2at6native16triu_tril_kernelIhiLb0ELi4ELb0EEEvNS_4cuda6detail10TensorInfoIT_T0_EENS4_IKS5_S6_EEllS6_
; %bb.0:
	s_load_dword s2, s[4:5], 0x1d4
	s_load_dwordx4 s[8:11], s[4:5], 0x1b0
	s_add_u32 s0, s4, 0x1c8
	v_mov_b32_e32 v2, 0
	s_addc_u32 s1, s5, 0
	s_waitcnt lgkmcnt(0)
	s_and_b32 s2, s2, 0xffff
	v_mov_b32_e32 v1, v2
	v_mov_b32_e32 v3, s6
	v_mad_u64_u32 v[0:1], s[6:7], s2, v3, v[0:1]
	v_lshlrev_b64 v[0:1], 2, v[0:1]
	s_mov_b32 s33, 0xffff
	v_cmp_gt_i64_e32 vcc, s[10:11], v[0:1]
	s_and_saveexec_b64 s[6:7], vcc
	s_cbranch_execz .LBB1_58
; %bb.1:
	s_load_dword s20, s[4:5], 0x1a8
	s_add_u32 s38, s4, 0xd8
	s_addc_u32 s39, s5, 0
	s_load_dword s3, s[0:1], 0x0
	s_load_dwordx2 s[6:7], s[4:5], 0xd8
	s_mov_b64 s[26:27], 0
	s_waitcnt lgkmcnt(0)
	s_ashr_i32 s21, s20, 31
	s_lshl_b64 s[0:1], s[20:21], 2
	s_add_u32 s18, s0, -8
	s_addc_u32 s19, s1, -1
	s_add_u32 s0, s38, s18
	s_addc_u32 s1, s39, s19
	s_load_dwordx2 s[12:13], s[0:1], 0x8
	s_load_dword s40, s[4:5], 0x1c0
	s_load_dwordx2 s[16:17], s[0:1], 0x6c
	s_mul_i32 s3, s3, s2
	v_cmp_gt_i64_e64 s[14:15], s[20:21], 2
	s_waitcnt lgkmcnt(0)
	s_ashr_i32 s41, s12, 31
	v_cvt_f32_u32_e32 v3, s40
	s_ashr_i32 s42, s40, 31
	s_add_u32 s43, s4, 0x6c
	s_addc_u32 s44, s5, 0
	v_rcp_iflag_f32_e32 v3, v3
	s_add_u32 s0, s43, s18
	s_addc_u32 s1, s44, s19
	s_load_dwordx2 s[18:19], s[0:1], 0x0
	v_mul_f32_e32 v3, 0x4f7ffffe, v3
	s_load_dwordx2 s[4:5], s[4:5], 0x0
	s_add_i32 s45, s20, -3
	s_lshl_b32 s46, s3, 2
	s_and_b32 s48, s20, 3
	v_cvt_u32_f32_e32 v22, v3
	s_cmp_lg_u32 s48, 2
	s_mov_b32 s21, 0
	s_cselect_b64 s[22:23], -1, 0
	s_cmp_gt_u32 s45, 2
	s_mov_b32 s47, s21
	s_cselect_b64 s[24:25], -1, 0
	s_ashr_i32 s49, s17, 31
	s_mov_b32 s50, s17
	s_waitcnt lgkmcnt(0)
	s_ashr_i32 s51, s19, 31
	s_mov_b32 s52, s19
	s_branch .LBB1_3
.LBB1_2:                                ;   in Loop: Header=BB1_3 Depth=1
	s_or_b64 exec, exec, s[0:1]
	v_mov_b32_e32 v3, s47
	v_add_co_u32_e32 v0, vcc, s46, v0
	v_addc_co_u32_e32 v1, vcc, v1, v3, vcc
	v_cmp_le_i64_e32 vcc, s[10:11], v[0:1]
	s_or_b64 s[26:27], vcc, s[26:27]
	s_andn2_b64 exec, exec, s[26:27]
	s_cbranch_execz .LBB1_58
.LBB1_3:                                ; =>This Loop Header: Depth=1
                                        ;     Child Loop BB1_37 Depth 2
                                        ;     Child Loop BB1_18 Depth 2
	v_or_b32_e32 v3, s42, v1
	v_cmp_ne_u64_e32 vcc, 0, v[2:3]
                                        ; implicit-def: $vgpr4_vgpr5
                                        ; implicit-def: $vgpr14_vgpr15
	s_and_saveexec_b64 s[0:1], vcc
	s_xor_b64 s[28:29], exec, s[0:1]
	s_cbranch_execz .LBB1_5
; %bb.4:                                ;   in Loop: Header=BB1_3 Depth=1
	s_add_u32 s0, s40, s42
	s_mov_b32 s2, s42
	s_mov_b32 s3, s42
	s_addc_u32 s1, s42, s42
	s_xor_b64 s[30:31], s[0:1], s[2:3]
	v_cvt_f32_u32_e32 v3, s30
	v_cvt_f32_u32_e32 v4, s31
	s_sub_u32 s0, 0, s30
	s_subb_u32 s1, 0, s31
	v_mac_f32_e32 v3, 0x4f800000, v4
	v_rcp_f32_e32 v3, v3
	v_mul_f32_e32 v3, 0x5f7ffffc, v3
	v_mul_f32_e32 v4, 0x2f800000, v3
	v_trunc_f32_e32 v4, v4
	v_mac_f32_e32 v3, 0xcf800000, v4
	v_cvt_u32_f32_e32 v4, v4
	v_cvt_u32_f32_e32 v3, v3
	v_mul_lo_u32 v5, s0, v4
	v_mul_hi_u32 v7, s0, v3
	v_mul_lo_u32 v6, s1, v3
	v_add_u32_e32 v5, v7, v5
	v_mul_lo_u32 v8, s0, v3
	v_add_u32_e32 v5, v5, v6
	v_mul_lo_u32 v7, v3, v5
	v_mul_hi_u32 v9, v3, v8
	v_mul_hi_u32 v6, v3, v5
	v_add_co_u32_e32 v7, vcc, v9, v7
	v_addc_co_u32_e32 v6, vcc, 0, v6, vcc
	v_mul_hi_u32 v10, v4, v8
	v_mul_lo_u32 v8, v4, v8
	v_add_co_u32_e32 v7, vcc, v7, v8
	v_mul_hi_u32 v9, v4, v5
	v_addc_co_u32_e32 v6, vcc, v6, v10, vcc
	v_addc_co_u32_e32 v7, vcc, 0, v9, vcc
	v_mul_lo_u32 v5, v4, v5
	v_add_co_u32_e32 v5, vcc, v6, v5
	v_addc_co_u32_e32 v6, vcc, 0, v7, vcc
	v_add_co_u32_e32 v3, vcc, v3, v5
	v_addc_co_u32_e32 v4, vcc, v4, v6, vcc
	v_mul_lo_u32 v5, s0, v4
	v_mul_hi_u32 v6, s0, v3
	v_add_u32_e32 v5, v6, v5
	v_mul_lo_u32 v6, s1, v3
	v_add_u32_e32 v5, v5, v6
	v_mul_lo_u32 v7, s0, v3
	v_mul_hi_u32 v8, v4, v7
	v_mul_lo_u32 v9, v4, v7
	v_mul_lo_u32 v11, v3, v5
	v_mul_hi_u32 v7, v3, v7
	v_mul_hi_u32 v10, v3, v5
	v_add_co_u32_e32 v7, vcc, v7, v11
	v_addc_co_u32_e32 v10, vcc, 0, v10, vcc
	v_add_co_u32_e32 v7, vcc, v7, v9
	v_mul_hi_u32 v6, v4, v5
	v_addc_co_u32_e32 v7, vcc, v10, v8, vcc
	v_addc_co_u32_e32 v6, vcc, 0, v6, vcc
	v_mul_lo_u32 v5, v4, v5
	v_add_co_u32_e32 v5, vcc, v7, v5
	v_addc_co_u32_e32 v6, vcc, 0, v6, vcc
	v_add_co_u32_e32 v3, vcc, v3, v5
	v_addc_co_u32_e32 v6, vcc, v4, v6, vcc
	v_ashrrev_i32_e32 v8, 31, v1
	v_add_co_u32_e32 v4, vcc, v0, v8
	v_addc_co_u32_e32 v5, vcc, v1, v8, vcc
	v_xor_b32_e32 v10, v4, v8
	v_xor_b32_e32 v9, v5, v8
	v_mad_u64_u32 v[4:5], s[0:1], v10, v6, 0
	v_mul_hi_u32 v7, v10, v3
	v_add_co_u32_e32 v11, vcc, v7, v4
	v_addc_co_u32_e32 v12, vcc, 0, v5, vcc
	v_mad_u64_u32 v[4:5], s[0:1], v9, v6, 0
	v_mad_u64_u32 v[6:7], s[0:1], v9, v3, 0
	v_add_co_u32_e32 v3, vcc, v11, v6
	v_addc_co_u32_e32 v3, vcc, v12, v7, vcc
	v_addc_co_u32_e32 v5, vcc, 0, v5, vcc
	v_add_co_u32_e32 v3, vcc, v3, v4
	v_addc_co_u32_e32 v6, vcc, 0, v5, vcc
	v_mul_lo_u32 v7, s31, v3
	v_mul_lo_u32 v11, s30, v6
	v_mad_u64_u32 v[4:5], s[0:1], s30, v3, 0
	v_add3_u32 v5, v5, v11, v7
	v_sub_u32_e32 v7, v9, v5
	v_mov_b32_e32 v11, s31
	v_sub_co_u32_e32 v4, vcc, v10, v4
	v_subb_co_u32_e64 v7, s[0:1], v7, v11, vcc
	v_subrev_co_u32_e64 v10, s[0:1], s30, v4
	v_subbrev_co_u32_e64 v7, s[0:1], 0, v7, s[0:1]
	v_cmp_le_u32_e64 s[0:1], s31, v7
	v_cndmask_b32_e64 v11, 0, -1, s[0:1]
	v_cmp_le_u32_e64 s[0:1], s30, v10
	v_cndmask_b32_e64 v12, 0, -1, s[0:1]
	v_cmp_eq_u32_e64 s[0:1], s31, v7
	v_cndmask_b32_e64 v7, v11, v12, s[0:1]
	v_add_co_u32_e64 v11, s[0:1], 2, v3
	v_addc_co_u32_e64 v12, s[0:1], 0, v6, s[0:1]
	v_add_co_u32_e64 v13, s[0:1], 1, v3
	v_subb_co_u32_e32 v5, vcc, v9, v5, vcc
	v_addc_co_u32_e64 v14, s[0:1], 0, v6, s[0:1]
	v_cmp_le_u32_e32 vcc, s31, v5
	v_cmp_ne_u32_e64 s[0:1], 0, v7
	v_cndmask_b32_e64 v9, 0, -1, vcc
	v_cmp_le_u32_e32 vcc, s30, v4
	v_cndmask_b32_e64 v7, v14, v12, s[0:1]
	v_cndmask_b32_e64 v12, 0, -1, vcc
	v_cmp_eq_u32_e32 vcc, s31, v5
	v_cndmask_b32_e32 v5, v9, v12, vcc
	v_cmp_ne_u32_e32 vcc, 0, v5
	v_cndmask_b32_e32 v5, v6, v7, vcc
	v_cndmask_b32_e64 v6, v13, v11, s[0:1]
	v_cndmask_b32_e32 v3, v3, v6, vcc
	v_xor_b32_e32 v7, s2, v8
	v_xor_b32_e32 v6, s3, v8
	;; [unrolled: 1-line block ×4, first 2 shown]
	v_sub_co_u32_e64 v14, s[2:3], v3, v7
	v_subb_co_u32_e64 v15, s[2:3], v5, v6, s[2:3]
	v_subrev_co_u32_e64 v3, s[2:3], s30, v10
	v_cndmask_b32_e64 v3, v10, v3, s[0:1]
	v_cndmask_b32_e32 v3, v4, v3, vcc
	v_xor_b32_e32 v3, v3, v8
	v_sub_co_u32_e32 v4, vcc, v3, v8
.LBB1_5:                                ;   in Loop: Header=BB1_3 Depth=1
	s_andn2_saveexec_b64 s[2:3], s[28:29]
	s_cbranch_execz .LBB1_7
; %bb.6:                                ;   in Loop: Header=BB1_3 Depth=1
	s_sub_i32 s0, 0, s40
	v_mul_lo_u32 v3, s0, v22
	v_mul_hi_u32 v3, v22, v3
	v_add_u32_e32 v3, v22, v3
	v_mul_hi_u32 v3, v0, v3
	v_mul_lo_u32 v4, v3, s40
	v_sub_u32_e32 v4, v0, v4
	v_subrev_u32_e32 v5, s40, v4
	v_cmp_le_u32_e32 vcc, s40, v4
	v_cndmask_b32_e32 v4, v4, v5, vcc
	v_subrev_u32_e32 v5, s40, v4
	v_cmp_le_u32_e64 s[0:1], s40, v4
	v_cndmask_b32_e64 v4, v4, v5, s[0:1]
	v_add_u32_e32 v5, 1, v3
	v_cndmask_b32_e32 v3, v3, v5, vcc
	v_add_u32_e32 v5, 1, v3
	v_cndmask_b32_e64 v14, v3, v5, s[0:1]
	v_mov_b32_e32 v15, v2
.LBB1_7:                                ;   in Loop: Header=BB1_3 Depth=1
	s_or_b64 exec, exec, s[2:3]
	v_or_b32_e32 v3, s41, v15
	v_cmp_ne_u64_e32 vcc, 0, v[2:3]
                                        ; implicit-def: $vgpr8_vgpr9
	s_and_saveexec_b64 s[0:1], vcc
	s_xor_b64 s[2:3], exec, s[0:1]
	s_cbranch_execz .LBB1_9
; %bb.8:                                ;   in Loop: Header=BB1_3 Depth=1
	s_add_u32 s28, s12, s41
	s_mov_b32 s0, s41
	s_mov_b32 s1, s41
	s_addc_u32 s29, s41, s41
	s_xor_b64 s[28:29], s[28:29], s[0:1]
	v_cvt_f32_u32_e32 v5, s28
	v_cvt_f32_u32_e32 v6, s29
	s_sub_u32 s0, 0, s28
	s_subb_u32 s1, 0, s29
	v_mac_f32_e32 v5, 0x4f800000, v6
	v_rcp_f32_e32 v5, v5
	v_mul_f32_e32 v5, 0x5f7ffffc, v5
	v_mul_f32_e32 v6, 0x2f800000, v5
	v_trunc_f32_e32 v6, v6
	v_mac_f32_e32 v5, 0xcf800000, v6
	v_cvt_u32_f32_e32 v6, v6
	v_cvt_u32_f32_e32 v5, v5
	v_mul_lo_u32 v7, s0, v6
	v_mul_hi_u32 v9, s0, v5
	v_mul_lo_u32 v8, s1, v5
	v_add_u32_e32 v7, v9, v7
	v_mul_lo_u32 v10, s0, v5
	v_add_u32_e32 v7, v7, v8
	v_mul_lo_u32 v9, v5, v7
	v_mul_hi_u32 v11, v5, v10
	v_mul_hi_u32 v8, v5, v7
	v_add_co_u32_e32 v9, vcc, v11, v9
	v_addc_co_u32_e32 v8, vcc, 0, v8, vcc
	v_mul_hi_u32 v12, v6, v10
	v_mul_lo_u32 v10, v6, v10
	v_add_co_u32_e32 v9, vcc, v9, v10
	v_mul_hi_u32 v11, v6, v7
	v_addc_co_u32_e32 v8, vcc, v8, v12, vcc
	v_addc_co_u32_e32 v9, vcc, 0, v11, vcc
	v_mul_lo_u32 v7, v6, v7
	v_add_co_u32_e32 v7, vcc, v8, v7
	v_addc_co_u32_e32 v8, vcc, 0, v9, vcc
	v_add_co_u32_e32 v5, vcc, v5, v7
	v_addc_co_u32_e32 v6, vcc, v6, v8, vcc
	v_mul_lo_u32 v7, s0, v6
	v_mul_hi_u32 v8, s0, v5
	v_add_u32_e32 v7, v8, v7
	v_mul_lo_u32 v8, s1, v5
	v_add_u32_e32 v7, v7, v8
	v_mul_lo_u32 v9, s0, v5
	v_mul_hi_u32 v10, v6, v9
	v_mul_lo_u32 v11, v6, v9
	v_mul_lo_u32 v13, v5, v7
	v_mul_hi_u32 v9, v5, v9
	v_mul_hi_u32 v12, v5, v7
	v_add_co_u32_e32 v9, vcc, v9, v13
	v_addc_co_u32_e32 v12, vcc, 0, v12, vcc
	v_add_co_u32_e32 v9, vcc, v9, v11
	v_mul_hi_u32 v8, v6, v7
	v_addc_co_u32_e32 v9, vcc, v12, v10, vcc
	v_addc_co_u32_e32 v8, vcc, 0, v8, vcc
	v_mul_lo_u32 v7, v6, v7
	v_add_co_u32_e32 v7, vcc, v9, v7
	v_addc_co_u32_e32 v8, vcc, 0, v8, vcc
	v_add_co_u32_e32 v5, vcc, v5, v7
	v_addc_co_u32_e32 v8, vcc, v6, v8, vcc
	v_ashrrev_i32_e32 v10, 31, v15
	v_add_co_u32_e32 v6, vcc, v14, v10
	v_addc_co_u32_e32 v7, vcc, v15, v10, vcc
	v_xor_b32_e32 v12, v6, v10
	v_xor_b32_e32 v11, v7, v10
	v_mad_u64_u32 v[6:7], s[0:1], v12, v8, 0
	v_mul_hi_u32 v9, v12, v5
	v_add_co_u32_e32 v13, vcc, v9, v6
	v_addc_co_u32_e32 v16, vcc, 0, v7, vcc
	v_mad_u64_u32 v[6:7], s[0:1], v11, v8, 0
	v_mad_u64_u32 v[8:9], s[0:1], v11, v5, 0
	v_add_co_u32_e32 v5, vcc, v13, v8
	v_addc_co_u32_e32 v5, vcc, v16, v9, vcc
	v_addc_co_u32_e32 v7, vcc, 0, v7, vcc
	v_add_co_u32_e32 v5, vcc, v5, v6
	v_addc_co_u32_e32 v6, vcc, 0, v7, vcc
	v_mul_lo_u32 v8, s29, v5
	v_mul_lo_u32 v9, s28, v6
	v_mad_u64_u32 v[6:7], s[0:1], s28, v5, 0
	v_add3_u32 v5, v7, v9, v8
	v_sub_u32_e32 v7, v11, v5
	v_mov_b32_e32 v8, s29
	v_sub_co_u32_e32 v6, vcc, v12, v6
	v_subb_co_u32_e64 v7, s[0:1], v7, v8, vcc
	v_subrev_co_u32_e64 v8, s[0:1], s28, v6
	v_subbrev_co_u32_e64 v7, s[0:1], 0, v7, s[0:1]
	v_cmp_le_u32_e64 s[0:1], s29, v7
	v_subb_co_u32_e32 v5, vcc, v11, v5, vcc
	v_cndmask_b32_e64 v9, 0, -1, s[0:1]
	v_cmp_le_u32_e64 s[0:1], s28, v8
	v_cmp_le_u32_e32 vcc, s29, v5
	v_cndmask_b32_e64 v12, 0, -1, s[0:1]
	v_cmp_eq_u32_e64 s[0:1], s29, v7
	v_cndmask_b32_e64 v11, 0, -1, vcc
	v_cmp_le_u32_e32 vcc, s28, v6
	v_cndmask_b32_e64 v7, v9, v12, s[0:1]
	v_cndmask_b32_e64 v12, 0, -1, vcc
	v_cmp_eq_u32_e32 vcc, s29, v5
	v_subrev_co_u32_e64 v9, s[0:1], s28, v8
	v_cndmask_b32_e32 v5, v11, v12, vcc
	v_cmp_ne_u32_e32 vcc, 0, v7
	v_cndmask_b32_e32 v7, v8, v9, vcc
	v_cmp_ne_u32_e32 vcc, 0, v5
	v_cndmask_b32_e32 v5, v6, v7, vcc
	v_xor_b32_e32 v5, v5, v10
	v_sub_co_u32_e32 v8, vcc, v5, v10
.LBB1_9:                                ;   in Loop: Header=BB1_3 Depth=1
	s_andn2_saveexec_b64 s[0:1], s[2:3]
	s_cbranch_execz .LBB1_11
; %bb.10:                               ;   in Loop: Header=BB1_3 Depth=1
	v_cvt_f32_u32_e32 v5, s12
	s_sub_i32 s2, 0, s12
	v_rcp_iflag_f32_e32 v5, v5
	v_mul_f32_e32 v5, 0x4f7ffffe, v5
	v_cvt_u32_f32_e32 v5, v5
	v_mul_lo_u32 v6, s2, v5
	v_mul_hi_u32 v6, v5, v6
	v_add_u32_e32 v5, v5, v6
	v_mul_hi_u32 v5, v14, v5
	v_mul_lo_u32 v5, v5, s12
	v_sub_u32_e32 v5, v14, v5
	v_subrev_u32_e32 v6, s12, v5
	v_cmp_le_u32_e32 vcc, s12, v5
	v_cndmask_b32_e32 v5, v5, v6, vcc
	v_subrev_u32_e32 v6, s12, v5
	v_cmp_le_u32_e32 vcc, s12, v5
	v_cndmask_b32_e32 v8, v5, v6, vcc
.LBB1_11:                               ;   in Loop: Header=BB1_3 Depth=1
	s_or_b64 exec, exec, s[0:1]
	v_mul_lo_u32 v6, s17, v4
	v_mad_u64_u32 v[10:11], s[0:1], s16, v8, v[6:7]
	v_mul_lo_u32 v6, s19, v4
	s_andn2_b64 vcc, exec, s[14:15]
	v_mad_u64_u32 v[6:7], s[0:1], s18, v8, v[6:7]
	s_cbranch_vccnz .LBB1_41
; %bb.12:                               ;   in Loop: Header=BB1_3 Depth=1
	v_cmp_ne_u64_e32 vcc, 0, v[2:3]
                                        ; implicit-def: $vgpr12_vgpr13
	s_and_saveexec_b64 s[0:1], vcc
	s_xor_b64 s[2:3], exec, s[0:1]
	s_cbranch_execz .LBB1_14
; %bb.13:                               ;   in Loop: Header=BB1_3 Depth=1
	s_add_u32 s0, s12, s41
	s_mov_b32 s28, s41
	s_mov_b32 s29, s41
	s_addc_u32 s1, s41, s41
	s_xor_b64 s[30:31], s[0:1], s[28:29]
	v_cvt_f32_u32_e32 v3, s30
	v_cvt_f32_u32_e32 v5, s31
	s_sub_u32 s0, 0, s30
	s_subb_u32 s1, 0, s31
	v_mac_f32_e32 v3, 0x4f800000, v5
	v_rcp_f32_e32 v3, v3
	v_mul_f32_e32 v3, 0x5f7ffffc, v3
	v_mul_f32_e32 v5, 0x2f800000, v3
	v_trunc_f32_e32 v5, v5
	v_mac_f32_e32 v3, 0xcf800000, v5
	v_cvt_u32_f32_e32 v5, v5
	v_cvt_u32_f32_e32 v3, v3
	v_mul_lo_u32 v7, s0, v5
	v_mul_hi_u32 v11, s0, v3
	v_mul_lo_u32 v9, s1, v3
	v_add_u32_e32 v7, v11, v7
	v_mul_lo_u32 v12, s0, v3
	v_add_u32_e32 v7, v7, v9
	v_mul_lo_u32 v11, v3, v7
	v_mul_hi_u32 v13, v3, v12
	v_mul_hi_u32 v9, v3, v7
	v_add_co_u32_e32 v11, vcc, v13, v11
	v_addc_co_u32_e32 v9, vcc, 0, v9, vcc
	v_mul_hi_u32 v16, v5, v12
	v_mul_lo_u32 v12, v5, v12
	v_add_co_u32_e32 v11, vcc, v11, v12
	v_mul_hi_u32 v13, v5, v7
	v_addc_co_u32_e32 v9, vcc, v9, v16, vcc
	v_addc_co_u32_e32 v11, vcc, 0, v13, vcc
	v_mul_lo_u32 v7, v5, v7
	v_add_co_u32_e32 v7, vcc, v9, v7
	v_addc_co_u32_e32 v9, vcc, 0, v11, vcc
	v_add_co_u32_e32 v3, vcc, v3, v7
	v_addc_co_u32_e32 v5, vcc, v5, v9, vcc
	v_mul_lo_u32 v7, s0, v5
	v_mul_hi_u32 v9, s0, v3
	v_add_u32_e32 v7, v9, v7
	v_mul_lo_u32 v9, s1, v3
	v_add_u32_e32 v7, v7, v9
	v_mul_lo_u32 v11, s0, v3
	v_mul_hi_u32 v12, v5, v11
	v_mul_lo_u32 v13, v5, v11
	v_mul_lo_u32 v17, v3, v7
	v_mul_hi_u32 v11, v3, v11
	v_mul_hi_u32 v16, v3, v7
	v_add_co_u32_e32 v11, vcc, v11, v17
	v_addc_co_u32_e32 v16, vcc, 0, v16, vcc
	v_add_co_u32_e32 v11, vcc, v11, v13
	v_mul_hi_u32 v9, v5, v7
	v_addc_co_u32_e32 v11, vcc, v16, v12, vcc
	v_addc_co_u32_e32 v9, vcc, 0, v9, vcc
	v_mul_lo_u32 v7, v5, v7
	v_add_co_u32_e32 v7, vcc, v11, v7
	v_addc_co_u32_e32 v9, vcc, 0, v9, vcc
	v_add_co_u32_e32 v3, vcc, v3, v7
	v_addc_co_u32_e32 v5, vcc, v5, v9, vcc
	v_ashrrev_i32_e32 v7, 31, v15
	v_add_co_u32_e32 v9, vcc, v14, v7
	v_xor_b32_e32 v9, v9, v7
	v_addc_co_u32_e32 v11, vcc, v15, v7, vcc
	v_mad_u64_u32 v[12:13], s[0:1], v9, v5, 0
	v_mul_hi_u32 v14, v9, v3
	v_xor_b32_e32 v11, v11, v7
	v_add_co_u32_e32 v16, vcc, v14, v12
	v_addc_co_u32_e32 v17, vcc, 0, v13, vcc
	v_mad_u64_u32 v[14:15], s[0:1], v11, v3, 0
	v_add_co_u32_e32 v3, vcc, v16, v14
	v_mad_u64_u32 v[12:13], s[0:1], v11, v5, 0
	v_addc_co_u32_e32 v3, vcc, v17, v15, vcc
	v_addc_co_u32_e32 v5, vcc, 0, v13, vcc
	v_add_co_u32_e32 v3, vcc, v3, v12
	v_addc_co_u32_e32 v5, vcc, 0, v5, vcc
	v_mul_lo_u32 v14, s31, v3
	v_mul_lo_u32 v15, s30, v5
	v_mad_u64_u32 v[12:13], s[0:1], s30, v3, 0
	v_add3_u32 v13, v13, v15, v14
	v_sub_u32_e32 v14, v11, v13
	v_mov_b32_e32 v15, s31
	v_sub_co_u32_e32 v9, vcc, v9, v12
	v_subb_co_u32_e64 v12, s[0:1], v14, v15, vcc
	v_subrev_co_u32_e64 v14, s[0:1], s30, v9
	v_subbrev_co_u32_e64 v12, s[0:1], 0, v12, s[0:1]
	v_cmp_le_u32_e64 s[0:1], s31, v12
	v_cndmask_b32_e64 v15, 0, -1, s[0:1]
	v_cmp_le_u32_e64 s[0:1], s30, v14
	v_cndmask_b32_e64 v14, 0, -1, s[0:1]
	v_cmp_eq_u32_e64 s[0:1], s31, v12
	v_cndmask_b32_e64 v12, v15, v14, s[0:1]
	v_add_co_u32_e64 v14, s[0:1], 2, v3
	v_subb_co_u32_e32 v11, vcc, v11, v13, vcc
	v_addc_co_u32_e64 v15, s[0:1], 0, v5, s[0:1]
	v_cmp_le_u32_e32 vcc, s31, v11
	v_add_co_u32_e64 v16, s[0:1], 1, v3
	v_cndmask_b32_e64 v13, 0, -1, vcc
	v_cmp_le_u32_e32 vcc, s30, v9
	v_addc_co_u32_e64 v17, s[0:1], 0, v5, s[0:1]
	v_cndmask_b32_e64 v9, 0, -1, vcc
	v_cmp_eq_u32_e32 vcc, s31, v11
	v_cmp_ne_u32_e64 s[0:1], 0, v12
	v_cndmask_b32_e32 v9, v13, v9, vcc
	v_cmp_ne_u32_e32 vcc, 0, v9
	v_cndmask_b32_e64 v9, v16, v14, s[0:1]
	v_cndmask_b32_e64 v12, v17, v15, s[0:1]
	v_cndmask_b32_e32 v3, v3, v9, vcc
	v_xor_b32_e32 v9, s29, v7
	v_xor_b32_e32 v7, s28, v7
	v_cndmask_b32_e32 v5, v5, v12, vcc
	v_xor_b32_e32 v3, v3, v7
	v_xor_b32_e32 v5, v5, v9
	v_sub_co_u32_e32 v12, vcc, v3, v7
	v_subb_co_u32_e32 v13, vcc, v5, v9, vcc
                                        ; implicit-def: $vgpr14_vgpr15
.LBB1_14:                               ;   in Loop: Header=BB1_3 Depth=1
	s_andn2_saveexec_b64 s[0:1], s[2:3]
	s_cbranch_execz .LBB1_16
; %bb.15:                               ;   in Loop: Header=BB1_3 Depth=1
	v_cvt_f32_u32_e32 v3, s12
	s_sub_i32 s2, 0, s12
	v_mov_b32_e32 v13, v2
	v_rcp_iflag_f32_e32 v3, v3
	v_mul_f32_e32 v3, 0x4f7ffffe, v3
	v_cvt_u32_f32_e32 v3, v3
	v_mul_lo_u32 v5, s2, v3
	v_mul_hi_u32 v5, v3, v5
	v_add_u32_e32 v3, v3, v5
	v_mul_hi_u32 v3, v14, v3
	v_mul_lo_u32 v5, v3, s12
	v_sub_u32_e32 v5, v14, v5
	v_add_u32_e32 v7, 1, v3
	v_subrev_u32_e32 v9, s12, v5
	v_cmp_le_u32_e32 vcc, s12, v5
	v_cndmask_b32_e32 v5, v5, v9, vcc
	v_cndmask_b32_e32 v3, v3, v7, vcc
	v_add_u32_e32 v7, 1, v3
	v_cmp_le_u32_e32 vcc, s12, v5
	v_cndmask_b32_e32 v12, v3, v7, vcc
.LBB1_16:                               ;   in Loop: Header=BB1_3 Depth=1
	s_or_b64 exec, exec, s[0:1]
	s_andn2_b64 vcc, exec, s[22:23]
	s_mov_b32 s53, 1
	s_mov_b32 s20, s45
	s_cbranch_vccz .LBB1_37
.LBB1_17:                               ;   in Loop: Header=BB1_3 Depth=1
	s_and_b64 vcc, exec, s[24:25]
	s_cbranch_vccz .LBB1_41
.LBB1_18:                               ;   Parent Loop BB1_3 Depth=1
                                        ; =>  This Inner Loop Header: Depth=2
	s_lshl_b64 s[2:3], s[20:21], 2
	s_add_u32 s28, s38, s2
	s_addc_u32 s29, s39, s3
	s_load_dword s53, s[28:29], 0x8
                                        ; implicit-def: $vgpr14_vgpr15
	s_waitcnt lgkmcnt(0)
	s_ashr_i32 s0, s53, 31
	v_or_b32_e32 v3, s0, v13
	v_cmp_ne_u64_e32 vcc, 0, v[2:3]
	s_and_saveexec_b64 s[30:31], vcc
	s_xor_b64 s[30:31], exec, s[30:31]
	s_cbranch_execz .LBB1_20
; %bb.19:                               ;   in Loop: Header=BB1_18 Depth=2
	s_add_u32 s36, s53, s0
	s_mov_b32 s34, s0
	s_mov_b32 s35, s0
	s_addc_u32 s37, s0, s0
	s_xor_b64 s[36:37], s[36:37], s[34:35]
	v_cvt_f32_u32_e32 v3, s36
	v_cvt_f32_u32_e32 v5, s37
	s_sub_u32 s0, 0, s36
	s_subb_u32 s1, 0, s37
	v_mac_f32_e32 v3, 0x4f800000, v5
	v_rcp_f32_e32 v3, v3
	v_mul_f32_e32 v3, 0x5f7ffffc, v3
	v_mul_f32_e32 v5, 0x2f800000, v3
	v_trunc_f32_e32 v5, v5
	v_mac_f32_e32 v3, 0xcf800000, v5
	v_cvt_u32_f32_e32 v5, v5
	v_cvt_u32_f32_e32 v3, v3
	v_mul_lo_u32 v7, s0, v5
	v_mul_hi_u32 v11, s0, v3
	v_mul_lo_u32 v9, s1, v3
	v_add_u32_e32 v7, v11, v7
	v_mul_lo_u32 v14, s0, v3
	v_add_u32_e32 v7, v7, v9
	v_mul_lo_u32 v11, v3, v7
	v_mul_hi_u32 v15, v3, v14
	v_mul_hi_u32 v9, v3, v7
	v_add_co_u32_e32 v11, vcc, v15, v11
	v_addc_co_u32_e32 v9, vcc, 0, v9, vcc
	v_mul_hi_u32 v16, v5, v14
	v_mul_lo_u32 v14, v5, v14
	v_add_co_u32_e32 v11, vcc, v11, v14
	v_mul_hi_u32 v15, v5, v7
	v_addc_co_u32_e32 v9, vcc, v9, v16, vcc
	v_addc_co_u32_e32 v11, vcc, 0, v15, vcc
	v_mul_lo_u32 v7, v5, v7
	v_add_co_u32_e32 v7, vcc, v9, v7
	v_addc_co_u32_e32 v9, vcc, 0, v11, vcc
	v_add_co_u32_e32 v3, vcc, v3, v7
	v_addc_co_u32_e32 v5, vcc, v5, v9, vcc
	v_mul_lo_u32 v7, s0, v5
	v_mul_hi_u32 v9, s0, v3
	v_add_u32_e32 v7, v9, v7
	v_mul_lo_u32 v9, s1, v3
	v_add_u32_e32 v7, v7, v9
	v_mul_lo_u32 v11, s0, v3
	v_mul_hi_u32 v14, v5, v11
	v_mul_lo_u32 v15, v5, v11
	v_mul_lo_u32 v17, v3, v7
	v_mul_hi_u32 v11, v3, v11
	v_mul_hi_u32 v16, v3, v7
	v_add_co_u32_e32 v11, vcc, v11, v17
	v_addc_co_u32_e32 v16, vcc, 0, v16, vcc
	v_add_co_u32_e32 v11, vcc, v11, v15
	v_mul_hi_u32 v9, v5, v7
	v_addc_co_u32_e32 v11, vcc, v16, v14, vcc
	v_addc_co_u32_e32 v9, vcc, 0, v9, vcc
	v_mul_lo_u32 v7, v5, v7
	v_add_co_u32_e32 v7, vcc, v11, v7
	v_addc_co_u32_e32 v9, vcc, 0, v9, vcc
	v_add_co_u32_e32 v3, vcc, v3, v7
	v_addc_co_u32_e32 v5, vcc, v5, v9, vcc
	v_ashrrev_i32_e32 v7, 31, v13
	v_add_co_u32_e32 v9, vcc, v12, v7
	v_xor_b32_e32 v9, v9, v7
	v_addc_co_u32_e32 v11, vcc, v13, v7, vcc
	v_mad_u64_u32 v[14:15], s[0:1], v9, v5, 0
	v_mul_hi_u32 v13, v9, v3
	v_xor_b32_e32 v11, v11, v7
	v_add_co_u32_e32 v13, vcc, v13, v14
	v_addc_co_u32_e32 v18, vcc, 0, v15, vcc
	v_mad_u64_u32 v[16:17], s[0:1], v11, v3, 0
	v_add_co_u32_e32 v3, vcc, v13, v16
	v_mad_u64_u32 v[14:15], s[0:1], v11, v5, 0
	v_addc_co_u32_e32 v3, vcc, v18, v17, vcc
	v_addc_co_u32_e32 v5, vcc, 0, v15, vcc
	v_add_co_u32_e32 v3, vcc, v3, v14
	v_addc_co_u32_e32 v5, vcc, 0, v5, vcc
	v_mul_lo_u32 v13, s37, v3
	v_mul_lo_u32 v16, s36, v5
	v_mad_u64_u32 v[14:15], s[0:1], s36, v3, 0
	v_add3_u32 v13, v15, v16, v13
	v_sub_u32_e32 v15, v11, v13
	v_mov_b32_e32 v16, s37
	v_sub_co_u32_e32 v9, vcc, v9, v14
	v_subb_co_u32_e64 v14, s[0:1], v15, v16, vcc
	v_subrev_co_u32_e64 v15, s[0:1], s36, v9
	v_subbrev_co_u32_e64 v14, s[0:1], 0, v14, s[0:1]
	v_cmp_le_u32_e64 s[0:1], s37, v14
	v_cndmask_b32_e64 v16, 0, -1, s[0:1]
	v_cmp_le_u32_e64 s[0:1], s36, v15
	v_cndmask_b32_e64 v15, 0, -1, s[0:1]
	v_cmp_eq_u32_e64 s[0:1], s37, v14
	v_cndmask_b32_e64 v14, v16, v15, s[0:1]
	v_add_co_u32_e64 v15, s[0:1], 2, v3
	v_subb_co_u32_e32 v11, vcc, v11, v13, vcc
	v_addc_co_u32_e64 v16, s[0:1], 0, v5, s[0:1]
	v_cmp_le_u32_e32 vcc, s37, v11
	v_add_co_u32_e64 v17, s[0:1], 1, v3
	v_cndmask_b32_e64 v13, 0, -1, vcc
	v_cmp_le_u32_e32 vcc, s36, v9
	v_addc_co_u32_e64 v18, s[0:1], 0, v5, s[0:1]
	v_cndmask_b32_e64 v9, 0, -1, vcc
	v_cmp_eq_u32_e32 vcc, s37, v11
	v_cmp_ne_u32_e64 s[0:1], 0, v14
	v_cndmask_b32_e32 v9, v13, v9, vcc
	v_cmp_ne_u32_e32 vcc, 0, v9
	v_cndmask_b32_e64 v9, v17, v15, s[0:1]
	v_cndmask_b32_e64 v14, v18, v16, s[0:1]
	v_cndmask_b32_e32 v3, v3, v9, vcc
	v_xor_b32_e32 v9, s35, v7
	v_xor_b32_e32 v7, s34, v7
	v_cndmask_b32_e32 v5, v5, v14, vcc
	v_xor_b32_e32 v3, v3, v7
	v_xor_b32_e32 v5, v5, v9
	v_sub_co_u32_e32 v14, vcc, v3, v7
	v_subb_co_u32_e32 v15, vcc, v5, v9, vcc
.LBB1_20:                               ;   in Loop: Header=BB1_18 Depth=2
	s_andn2_saveexec_b64 s[0:1], s[30:31]
	s_cbranch_execz .LBB1_22
; %bb.21:                               ;   in Loop: Header=BB1_18 Depth=2
	v_cvt_f32_u32_e32 v3, s53
	s_sub_i32 s30, 0, s53
	v_mov_b32_e32 v15, v2
	v_rcp_iflag_f32_e32 v3, v3
	v_mul_f32_e32 v3, 0x4f7ffffe, v3
	v_cvt_u32_f32_e32 v3, v3
	v_mul_lo_u32 v5, s30, v3
	v_mul_hi_u32 v5, v3, v5
	v_add_u32_e32 v3, v3, v5
	v_mul_hi_u32 v3, v12, v3
	v_mul_lo_u32 v5, v3, s53
	v_sub_u32_e32 v5, v12, v5
	v_add_u32_e32 v7, 1, v3
	v_subrev_u32_e32 v9, s53, v5
	v_cmp_le_u32_e32 vcc, s53, v5
	v_cndmask_b32_e32 v5, v5, v9, vcc
	v_cndmask_b32_e32 v3, v3, v7, vcc
	v_add_u32_e32 v7, 1, v3
	v_cmp_le_u32_e32 vcc, s53, v5
	v_cndmask_b32_e32 v14, v3, v7, vcc
.LBB1_22:                               ;   in Loop: Header=BB1_18 Depth=2
	s_or_b64 exec, exec, s[0:1]
	s_add_u32 s0, s43, s2
	s_addc_u32 s1, s44, s3
	s_add_i32 s2, s20, -1
	s_mov_b32 s3, s21
	s_lshl_b64 s[30:31], s[2:3], 2
	s_add_u32 s2, s38, s30
	s_addc_u32 s3, s39, s31
	s_load_dword s54, s[2:3], 0x8
	s_load_dword s55, s[28:29], 0x6c
	;; [unrolled: 1-line block ×3, first 2 shown]
                                        ; implicit-def: $vgpr16_vgpr17
	s_waitcnt lgkmcnt(0)
	s_ashr_i32 s0, s54, 31
	v_or_b32_e32 v3, s0, v15
	v_cmp_ne_u64_e32 vcc, 0, v[2:3]
	s_and_saveexec_b64 s[28:29], vcc
	s_xor_b64 s[28:29], exec, s[28:29]
	s_cbranch_execz .LBB1_24
; %bb.23:                               ;   in Loop: Header=BB1_18 Depth=2
	s_add_u32 s36, s54, s0
	s_mov_b32 s34, s0
	s_mov_b32 s35, s0
	s_addc_u32 s37, s0, s0
	s_xor_b64 s[36:37], s[36:37], s[34:35]
	v_cvt_f32_u32_e32 v3, s36
	v_cvt_f32_u32_e32 v5, s37
	s_sub_u32 s0, 0, s36
	s_subb_u32 s1, 0, s37
	v_mac_f32_e32 v3, 0x4f800000, v5
	v_rcp_f32_e32 v3, v3
	v_mul_f32_e32 v3, 0x5f7ffffc, v3
	v_mul_f32_e32 v5, 0x2f800000, v3
	v_trunc_f32_e32 v5, v5
	v_mac_f32_e32 v3, 0xcf800000, v5
	v_cvt_u32_f32_e32 v5, v5
	v_cvt_u32_f32_e32 v3, v3
	v_mul_lo_u32 v7, s0, v5
	v_mul_hi_u32 v11, s0, v3
	v_mul_lo_u32 v9, s1, v3
	v_add_u32_e32 v7, v11, v7
	v_mul_lo_u32 v13, s0, v3
	v_add_u32_e32 v7, v7, v9
	v_mul_lo_u32 v11, v3, v7
	v_mul_hi_u32 v16, v3, v13
	v_mul_hi_u32 v9, v3, v7
	v_add_co_u32_e32 v11, vcc, v16, v11
	v_addc_co_u32_e32 v9, vcc, 0, v9, vcc
	v_mul_hi_u32 v17, v5, v13
	v_mul_lo_u32 v13, v5, v13
	v_add_co_u32_e32 v11, vcc, v11, v13
	v_mul_hi_u32 v16, v5, v7
	v_addc_co_u32_e32 v9, vcc, v9, v17, vcc
	v_addc_co_u32_e32 v11, vcc, 0, v16, vcc
	v_mul_lo_u32 v7, v5, v7
	v_add_co_u32_e32 v7, vcc, v9, v7
	v_addc_co_u32_e32 v9, vcc, 0, v11, vcc
	v_add_co_u32_e32 v3, vcc, v3, v7
	v_addc_co_u32_e32 v5, vcc, v5, v9, vcc
	v_mul_lo_u32 v7, s0, v5
	v_mul_hi_u32 v9, s0, v3
	v_add_u32_e32 v7, v9, v7
	v_mul_lo_u32 v9, s1, v3
	v_add_u32_e32 v7, v7, v9
	v_mul_lo_u32 v11, s0, v3
	v_mul_hi_u32 v13, v5, v11
	v_mul_lo_u32 v16, v5, v11
	v_mul_lo_u32 v18, v3, v7
	v_mul_hi_u32 v11, v3, v11
	v_mul_hi_u32 v17, v3, v7
	v_add_co_u32_e32 v11, vcc, v11, v18
	v_addc_co_u32_e32 v17, vcc, 0, v17, vcc
	v_add_co_u32_e32 v11, vcc, v11, v16
	v_mul_hi_u32 v9, v5, v7
	v_addc_co_u32_e32 v11, vcc, v17, v13, vcc
	v_addc_co_u32_e32 v9, vcc, 0, v9, vcc
	v_mul_lo_u32 v7, v5, v7
	v_add_co_u32_e32 v7, vcc, v11, v7
	v_addc_co_u32_e32 v9, vcc, 0, v9, vcc
	v_add_co_u32_e32 v3, vcc, v3, v7
	v_addc_co_u32_e32 v5, vcc, v5, v9, vcc
	v_ashrrev_i32_e32 v7, 31, v15
	v_add_co_u32_e32 v9, vcc, v14, v7
	v_xor_b32_e32 v9, v9, v7
	v_addc_co_u32_e32 v11, vcc, v15, v7, vcc
	v_mad_u64_u32 v[16:17], s[0:1], v9, v5, 0
	v_mul_hi_u32 v13, v9, v3
	v_xor_b32_e32 v11, v11, v7
	v_add_co_u32_e32 v13, vcc, v13, v16
	v_addc_co_u32_e32 v15, vcc, 0, v17, vcc
	v_mad_u64_u32 v[18:19], s[0:1], v11, v3, 0
	v_add_co_u32_e32 v3, vcc, v13, v18
	v_mad_u64_u32 v[16:17], s[0:1], v11, v5, 0
	v_addc_co_u32_e32 v3, vcc, v15, v19, vcc
	v_addc_co_u32_e32 v5, vcc, 0, v17, vcc
	v_add_co_u32_e32 v3, vcc, v3, v16
	v_addc_co_u32_e32 v5, vcc, 0, v5, vcc
	v_mul_lo_u32 v13, s37, v3
	v_mul_lo_u32 v15, s36, v5
	v_mad_u64_u32 v[16:17], s[0:1], s36, v3, 0
	v_add3_u32 v13, v17, v15, v13
	v_sub_u32_e32 v15, v11, v13
	v_mov_b32_e32 v17, s37
	v_sub_co_u32_e32 v9, vcc, v9, v16
	v_subb_co_u32_e64 v15, s[0:1], v15, v17, vcc
	v_subrev_co_u32_e64 v16, s[0:1], s36, v9
	v_subbrev_co_u32_e64 v15, s[0:1], 0, v15, s[0:1]
	v_cmp_le_u32_e64 s[0:1], s37, v15
	v_cndmask_b32_e64 v17, 0, -1, s[0:1]
	v_cmp_le_u32_e64 s[0:1], s36, v16
	v_cndmask_b32_e64 v16, 0, -1, s[0:1]
	v_cmp_eq_u32_e64 s[0:1], s37, v15
	v_cndmask_b32_e64 v15, v17, v16, s[0:1]
	v_add_co_u32_e64 v16, s[0:1], 2, v3
	v_subb_co_u32_e32 v11, vcc, v11, v13, vcc
	v_addc_co_u32_e64 v17, s[0:1], 0, v5, s[0:1]
	v_cmp_le_u32_e32 vcc, s37, v11
	v_add_co_u32_e64 v18, s[0:1], 1, v3
	v_cndmask_b32_e64 v13, 0, -1, vcc
	v_cmp_le_u32_e32 vcc, s36, v9
	v_addc_co_u32_e64 v19, s[0:1], 0, v5, s[0:1]
	v_cndmask_b32_e64 v9, 0, -1, vcc
	v_cmp_eq_u32_e32 vcc, s37, v11
	v_cmp_ne_u32_e64 s[0:1], 0, v15
	v_cndmask_b32_e32 v9, v13, v9, vcc
	v_cmp_ne_u32_e32 vcc, 0, v9
	v_cndmask_b32_e64 v9, v18, v16, s[0:1]
	v_cndmask_b32_e64 v15, v19, v17, s[0:1]
	v_cndmask_b32_e32 v3, v3, v9, vcc
	v_xor_b32_e32 v9, s35, v7
	v_xor_b32_e32 v7, s34, v7
	v_cndmask_b32_e32 v5, v5, v15, vcc
	v_xor_b32_e32 v3, v3, v7
	v_xor_b32_e32 v5, v5, v9
	v_sub_co_u32_e32 v16, vcc, v3, v7
	v_subb_co_u32_e32 v17, vcc, v5, v9, vcc
.LBB1_24:                               ;   in Loop: Header=BB1_18 Depth=2
	s_andn2_saveexec_b64 s[0:1], s[28:29]
	s_cbranch_execz .LBB1_26
; %bb.25:                               ;   in Loop: Header=BB1_18 Depth=2
	v_cvt_f32_u32_e32 v3, s54
	s_sub_i32 s28, 0, s54
	v_mov_b32_e32 v17, v2
	v_rcp_iflag_f32_e32 v3, v3
	v_mul_f32_e32 v3, 0x4f7ffffe, v3
	v_cvt_u32_f32_e32 v3, v3
	v_mul_lo_u32 v5, s28, v3
	v_mul_hi_u32 v5, v3, v5
	v_add_u32_e32 v3, v3, v5
	v_mul_hi_u32 v3, v14, v3
	v_mul_lo_u32 v5, v3, s54
	v_sub_u32_e32 v5, v14, v5
	v_add_u32_e32 v7, 1, v3
	v_subrev_u32_e32 v9, s54, v5
	v_cmp_le_u32_e32 vcc, s54, v5
	v_cndmask_b32_e32 v5, v5, v9, vcc
	v_cndmask_b32_e32 v3, v3, v7, vcc
	v_add_u32_e32 v7, 1, v3
	v_cmp_le_u32_e32 vcc, s54, v5
	v_cndmask_b32_e32 v16, v3, v7, vcc
.LBB1_26:                               ;   in Loop: Header=BB1_18 Depth=2
	s_or_b64 exec, exec, s[0:1]
	s_add_u32 s0, s43, s30
	s_addc_u32 s1, s44, s31
	s_add_i32 s28, s20, -2
	s_mov_b32 s29, s21
	s_lshl_b64 s[28:29], s[28:29], 2
	s_add_u32 s30, s38, s28
	s_addc_u32 s31, s39, s29
	s_load_dword s57, s[30:31], 0x8
	s_load_dword s59, s[2:3], 0x6c
	;; [unrolled: 1-line block ×3, first 2 shown]
                                        ; implicit-def: $vgpr18_vgpr19
	s_waitcnt lgkmcnt(0)
	s_ashr_i32 s0, s57, 31
	v_or_b32_e32 v3, s0, v17
	v_cmp_ne_u64_e32 vcc, 0, v[2:3]
	s_and_saveexec_b64 s[2:3], vcc
	s_xor_b64 s[2:3], exec, s[2:3]
	s_cbranch_execz .LBB1_28
; %bb.27:                               ;   in Loop: Header=BB1_18 Depth=2
	s_add_u32 s36, s57, s0
	s_mov_b32 s34, s0
	s_mov_b32 s35, s0
	s_addc_u32 s37, s0, s0
	s_xor_b64 s[36:37], s[36:37], s[34:35]
	v_cvt_f32_u32_e32 v3, s36
	v_cvt_f32_u32_e32 v5, s37
	s_sub_u32 s0, 0, s36
	s_subb_u32 s1, 0, s37
	v_mac_f32_e32 v3, 0x4f800000, v5
	v_rcp_f32_e32 v3, v3
	v_mul_f32_e32 v3, 0x5f7ffffc, v3
	v_mul_f32_e32 v5, 0x2f800000, v3
	v_trunc_f32_e32 v5, v5
	v_mac_f32_e32 v3, 0xcf800000, v5
	v_cvt_u32_f32_e32 v5, v5
	v_cvt_u32_f32_e32 v3, v3
	v_mul_lo_u32 v7, s0, v5
	v_mul_hi_u32 v11, s0, v3
	v_mul_lo_u32 v9, s1, v3
	v_add_u32_e32 v7, v11, v7
	v_mul_lo_u32 v13, s0, v3
	v_add_u32_e32 v7, v7, v9
	v_mul_lo_u32 v11, v3, v7
	v_mul_hi_u32 v15, v3, v13
	v_mul_hi_u32 v9, v3, v7
	v_add_co_u32_e32 v11, vcc, v15, v11
	v_addc_co_u32_e32 v9, vcc, 0, v9, vcc
	v_mul_hi_u32 v18, v5, v13
	v_mul_lo_u32 v13, v5, v13
	v_add_co_u32_e32 v11, vcc, v11, v13
	v_mul_hi_u32 v15, v5, v7
	v_addc_co_u32_e32 v9, vcc, v9, v18, vcc
	v_addc_co_u32_e32 v11, vcc, 0, v15, vcc
	v_mul_lo_u32 v7, v5, v7
	v_add_co_u32_e32 v7, vcc, v9, v7
	v_addc_co_u32_e32 v9, vcc, 0, v11, vcc
	v_add_co_u32_e32 v3, vcc, v3, v7
	v_addc_co_u32_e32 v5, vcc, v5, v9, vcc
	v_mul_lo_u32 v7, s0, v5
	v_mul_hi_u32 v9, s0, v3
	v_add_u32_e32 v7, v9, v7
	v_mul_lo_u32 v9, s1, v3
	v_add_u32_e32 v7, v7, v9
	v_mul_lo_u32 v11, s0, v3
	v_mul_hi_u32 v13, v5, v11
	v_mul_lo_u32 v15, v5, v11
	v_mul_lo_u32 v19, v3, v7
	v_mul_hi_u32 v11, v3, v11
	v_mul_hi_u32 v18, v3, v7
	v_add_co_u32_e32 v11, vcc, v11, v19
	v_addc_co_u32_e32 v18, vcc, 0, v18, vcc
	v_add_co_u32_e32 v11, vcc, v11, v15
	v_mul_hi_u32 v9, v5, v7
	v_addc_co_u32_e32 v11, vcc, v18, v13, vcc
	v_addc_co_u32_e32 v9, vcc, 0, v9, vcc
	v_mul_lo_u32 v7, v5, v7
	v_add_co_u32_e32 v7, vcc, v11, v7
	v_addc_co_u32_e32 v9, vcc, 0, v9, vcc
	v_add_co_u32_e32 v3, vcc, v3, v7
	v_addc_co_u32_e32 v5, vcc, v5, v9, vcc
	v_ashrrev_i32_e32 v7, 31, v17
	v_add_co_u32_e32 v9, vcc, v16, v7
	v_xor_b32_e32 v9, v9, v7
	v_addc_co_u32_e32 v11, vcc, v17, v7, vcc
	v_mad_u64_u32 v[18:19], s[0:1], v9, v5, 0
	v_mul_hi_u32 v13, v9, v3
	v_xor_b32_e32 v11, v11, v7
	v_add_co_u32_e32 v13, vcc, v13, v18
	v_addc_co_u32_e32 v15, vcc, 0, v19, vcc
	v_mad_u64_u32 v[20:21], s[0:1], v11, v3, 0
	v_add_co_u32_e32 v3, vcc, v13, v20
	v_mad_u64_u32 v[18:19], s[0:1], v11, v5, 0
	v_addc_co_u32_e32 v3, vcc, v15, v21, vcc
	v_addc_co_u32_e32 v5, vcc, 0, v19, vcc
	v_add_co_u32_e32 v3, vcc, v3, v18
	v_addc_co_u32_e32 v5, vcc, 0, v5, vcc
	v_mul_lo_u32 v13, s37, v3
	v_mul_lo_u32 v15, s36, v5
	v_mad_u64_u32 v[18:19], s[0:1], s36, v3, 0
	v_add3_u32 v13, v19, v15, v13
	v_sub_u32_e32 v15, v11, v13
	v_mov_b32_e32 v17, s37
	v_sub_co_u32_e32 v9, vcc, v9, v18
	v_subb_co_u32_e64 v15, s[0:1], v15, v17, vcc
	v_subrev_co_u32_e64 v17, s[0:1], s36, v9
	v_subbrev_co_u32_e64 v15, s[0:1], 0, v15, s[0:1]
	v_cmp_le_u32_e64 s[0:1], s37, v15
	v_cndmask_b32_e64 v18, 0, -1, s[0:1]
	v_cmp_le_u32_e64 s[0:1], s36, v17
	v_cndmask_b32_e64 v17, 0, -1, s[0:1]
	v_cmp_eq_u32_e64 s[0:1], s37, v15
	v_cndmask_b32_e64 v15, v18, v17, s[0:1]
	v_add_co_u32_e64 v17, s[0:1], 2, v3
	v_subb_co_u32_e32 v11, vcc, v11, v13, vcc
	v_addc_co_u32_e64 v18, s[0:1], 0, v5, s[0:1]
	v_cmp_le_u32_e32 vcc, s37, v11
	v_add_co_u32_e64 v19, s[0:1], 1, v3
	v_cndmask_b32_e64 v13, 0, -1, vcc
	v_cmp_le_u32_e32 vcc, s36, v9
	v_addc_co_u32_e64 v20, s[0:1], 0, v5, s[0:1]
	v_cndmask_b32_e64 v9, 0, -1, vcc
	v_cmp_eq_u32_e32 vcc, s37, v11
	v_cmp_ne_u32_e64 s[0:1], 0, v15
	v_cndmask_b32_e32 v9, v13, v9, vcc
	v_cmp_ne_u32_e32 vcc, 0, v9
	v_cndmask_b32_e64 v9, v19, v17, s[0:1]
	v_cndmask_b32_e64 v15, v20, v18, s[0:1]
	v_cndmask_b32_e32 v3, v3, v9, vcc
	v_xor_b32_e32 v9, s35, v7
	v_xor_b32_e32 v7, s34, v7
	v_cndmask_b32_e32 v5, v5, v15, vcc
	v_xor_b32_e32 v3, v3, v7
	v_xor_b32_e32 v5, v5, v9
	v_sub_co_u32_e32 v18, vcc, v3, v7
	v_subb_co_u32_e32 v19, vcc, v5, v9, vcc
.LBB1_28:                               ;   in Loop: Header=BB1_18 Depth=2
	s_andn2_saveexec_b64 s[0:1], s[2:3]
	s_cbranch_execz .LBB1_30
; %bb.29:                               ;   in Loop: Header=BB1_18 Depth=2
	v_cvt_f32_u32_e32 v3, s57
	s_sub_i32 s2, 0, s57
	v_mov_b32_e32 v19, v2
	v_rcp_iflag_f32_e32 v3, v3
	v_mul_f32_e32 v3, 0x4f7ffffe, v3
	v_cvt_u32_f32_e32 v3, v3
	v_mul_lo_u32 v5, s2, v3
	v_mul_hi_u32 v5, v3, v5
	v_add_u32_e32 v3, v3, v5
	v_mul_hi_u32 v3, v16, v3
	v_mul_lo_u32 v5, v3, s57
	v_sub_u32_e32 v5, v16, v5
	v_add_u32_e32 v7, 1, v3
	v_subrev_u32_e32 v9, s57, v5
	v_cmp_le_u32_e32 vcc, s57, v5
	v_cndmask_b32_e32 v5, v5, v9, vcc
	v_cndmask_b32_e32 v3, v3, v7, vcc
	v_add_u32_e32 v7, 1, v3
	v_cmp_le_u32_e32 vcc, s57, v5
	v_cndmask_b32_e32 v18, v3, v7, vcc
.LBB1_30:                               ;   in Loop: Header=BB1_18 Depth=2
	s_or_b64 exec, exec, s[0:1]
	s_add_u32 s0, s43, s28
	s_addc_u32 s1, s44, s29
	s_add_i32 s2, s20, -3
	s_mov_b32 s3, s21
	s_lshl_b64 s[2:3], s[2:3], 2
	s_add_u32 s28, s38, s2
	s_addc_u32 s29, s39, s3
	s_load_dword s60, s[28:29], 0x8
	s_load_dword s61, s[30:31], 0x6c
	;; [unrolled: 1-line block ×3, first 2 shown]
                                        ; implicit-def: $vgpr20_vgpr21
	s_waitcnt lgkmcnt(0)
	s_ashr_i32 s0, s60, 31
	v_or_b32_e32 v3, s0, v19
	v_cmp_ne_u64_e32 vcc, 0, v[2:3]
	s_and_saveexec_b64 s[30:31], vcc
	s_xor_b64 s[30:31], exec, s[30:31]
	s_cbranch_execz .LBB1_32
; %bb.31:                               ;   in Loop: Header=BB1_18 Depth=2
	s_add_u32 s36, s60, s0
	s_mov_b32 s34, s0
	s_mov_b32 s35, s0
	s_addc_u32 s37, s0, s0
	s_xor_b64 s[36:37], s[36:37], s[34:35]
	v_cvt_f32_u32_e32 v3, s36
	v_cvt_f32_u32_e32 v5, s37
	s_sub_u32 s0, 0, s36
	s_subb_u32 s1, 0, s37
	v_mac_f32_e32 v3, 0x4f800000, v5
	v_rcp_f32_e32 v3, v3
	v_mul_f32_e32 v3, 0x5f7ffffc, v3
	v_mul_f32_e32 v5, 0x2f800000, v3
	v_trunc_f32_e32 v5, v5
	v_mac_f32_e32 v3, 0xcf800000, v5
	v_cvt_u32_f32_e32 v5, v5
	v_cvt_u32_f32_e32 v3, v3
	v_mul_lo_u32 v7, s0, v5
	v_mul_hi_u32 v11, s0, v3
	v_mul_lo_u32 v9, s1, v3
	v_add_u32_e32 v7, v11, v7
	v_mul_lo_u32 v13, s0, v3
	v_add_u32_e32 v7, v7, v9
	v_mul_lo_u32 v11, v3, v7
	v_mul_hi_u32 v15, v3, v13
	v_mul_hi_u32 v9, v3, v7
	v_add_co_u32_e32 v11, vcc, v15, v11
	v_addc_co_u32_e32 v9, vcc, 0, v9, vcc
	v_mul_hi_u32 v17, v5, v13
	v_mul_lo_u32 v13, v5, v13
	v_add_co_u32_e32 v11, vcc, v11, v13
	v_mul_hi_u32 v15, v5, v7
	v_addc_co_u32_e32 v9, vcc, v9, v17, vcc
	v_addc_co_u32_e32 v11, vcc, 0, v15, vcc
	v_mul_lo_u32 v7, v5, v7
	v_add_co_u32_e32 v7, vcc, v9, v7
	v_addc_co_u32_e32 v9, vcc, 0, v11, vcc
	v_add_co_u32_e32 v3, vcc, v3, v7
	v_addc_co_u32_e32 v5, vcc, v5, v9, vcc
	v_mul_lo_u32 v7, s0, v5
	v_mul_hi_u32 v9, s0, v3
	v_add_u32_e32 v7, v9, v7
	v_mul_lo_u32 v9, s1, v3
	v_add_u32_e32 v7, v7, v9
	v_mul_lo_u32 v11, s0, v3
	v_mul_hi_u32 v13, v5, v11
	v_mul_lo_u32 v15, v5, v11
	v_mul_lo_u32 v20, v3, v7
	v_mul_hi_u32 v11, v3, v11
	v_mul_hi_u32 v17, v3, v7
	v_add_co_u32_e32 v11, vcc, v11, v20
	v_addc_co_u32_e32 v17, vcc, 0, v17, vcc
	v_add_co_u32_e32 v11, vcc, v11, v15
	v_mul_hi_u32 v9, v5, v7
	v_addc_co_u32_e32 v11, vcc, v17, v13, vcc
	v_addc_co_u32_e32 v9, vcc, 0, v9, vcc
	v_mul_lo_u32 v7, v5, v7
	v_add_co_u32_e32 v7, vcc, v11, v7
	v_addc_co_u32_e32 v9, vcc, 0, v9, vcc
	v_add_co_u32_e32 v3, vcc, v3, v7
	v_addc_co_u32_e32 v5, vcc, v5, v9, vcc
	v_ashrrev_i32_e32 v7, 31, v19
	v_add_co_u32_e32 v9, vcc, v18, v7
	v_xor_b32_e32 v9, v9, v7
	v_addc_co_u32_e32 v11, vcc, v19, v7, vcc
	v_mad_u64_u32 v[20:21], s[0:1], v9, v5, 0
	v_mul_hi_u32 v13, v9, v3
	v_xor_b32_e32 v11, v11, v7
	v_add_co_u32_e32 v13, vcc, v13, v20
	v_addc_co_u32_e32 v15, vcc, 0, v21, vcc
	v_mad_u64_u32 v[24:25], s[0:1], v11, v3, 0
	v_add_co_u32_e32 v3, vcc, v13, v24
	v_mad_u64_u32 v[20:21], s[0:1], v11, v5, 0
	v_addc_co_u32_e32 v3, vcc, v15, v25, vcc
	v_addc_co_u32_e32 v5, vcc, 0, v21, vcc
	v_add_co_u32_e32 v3, vcc, v3, v20
	v_addc_co_u32_e32 v5, vcc, 0, v5, vcc
	v_mul_lo_u32 v13, s37, v3
	v_mul_lo_u32 v15, s36, v5
	v_mad_u64_u32 v[20:21], s[0:1], s36, v3, 0
	v_add3_u32 v13, v21, v15, v13
	v_sub_u32_e32 v15, v11, v13
	v_mov_b32_e32 v17, s37
	v_sub_co_u32_e32 v9, vcc, v9, v20
	v_subb_co_u32_e64 v15, s[0:1], v15, v17, vcc
	v_subrev_co_u32_e64 v17, s[0:1], s36, v9
	v_subbrev_co_u32_e64 v15, s[0:1], 0, v15, s[0:1]
	v_cmp_le_u32_e64 s[0:1], s37, v15
	v_cndmask_b32_e64 v19, 0, -1, s[0:1]
	v_cmp_le_u32_e64 s[0:1], s36, v17
	v_cndmask_b32_e64 v17, 0, -1, s[0:1]
	v_cmp_eq_u32_e64 s[0:1], s37, v15
	v_cndmask_b32_e64 v15, v19, v17, s[0:1]
	v_add_co_u32_e64 v17, s[0:1], 2, v3
	v_subb_co_u32_e32 v11, vcc, v11, v13, vcc
	v_addc_co_u32_e64 v19, s[0:1], 0, v5, s[0:1]
	v_cmp_le_u32_e32 vcc, s37, v11
	v_add_co_u32_e64 v20, s[0:1], 1, v3
	v_cndmask_b32_e64 v13, 0, -1, vcc
	v_cmp_le_u32_e32 vcc, s36, v9
	v_addc_co_u32_e64 v21, s[0:1], 0, v5, s[0:1]
	v_cndmask_b32_e64 v9, 0, -1, vcc
	v_cmp_eq_u32_e32 vcc, s37, v11
	v_cmp_ne_u32_e64 s[0:1], 0, v15
	v_cndmask_b32_e32 v9, v13, v9, vcc
	v_cmp_ne_u32_e32 vcc, 0, v9
	v_cndmask_b32_e64 v9, v20, v17, s[0:1]
	v_cndmask_b32_e64 v15, v21, v19, s[0:1]
	v_cndmask_b32_e32 v3, v3, v9, vcc
	v_xor_b32_e32 v9, s35, v7
	v_xor_b32_e32 v7, s34, v7
	v_cndmask_b32_e32 v5, v5, v15, vcc
	v_xor_b32_e32 v3, v3, v7
	v_xor_b32_e32 v5, v5, v9
	v_sub_co_u32_e32 v20, vcc, v3, v7
	v_subb_co_u32_e32 v21, vcc, v5, v9, vcc
.LBB1_32:                               ;   in Loop: Header=BB1_18 Depth=2
	s_andn2_saveexec_b64 s[0:1], s[30:31]
	s_cbranch_execz .LBB1_34
; %bb.33:                               ;   in Loop: Header=BB1_18 Depth=2
	v_cvt_f32_u32_e32 v3, s60
	s_sub_i32 s30, 0, s60
	v_mov_b32_e32 v21, v2
	v_rcp_iflag_f32_e32 v3, v3
	v_mul_f32_e32 v3, 0x4f7ffffe, v3
	v_cvt_u32_f32_e32 v3, v3
	v_mul_lo_u32 v5, s30, v3
	v_mul_hi_u32 v5, v3, v5
	v_add_u32_e32 v3, v3, v5
	v_mul_hi_u32 v3, v18, v3
	v_mul_lo_u32 v5, v3, s60
	v_sub_u32_e32 v5, v18, v5
	v_add_u32_e32 v7, 1, v3
	v_subrev_u32_e32 v9, s60, v5
	v_cmp_le_u32_e32 vcc, s60, v5
	v_cndmask_b32_e32 v5, v5, v9, vcc
	v_cndmask_b32_e32 v3, v3, v7, vcc
	v_add_u32_e32 v7, 1, v3
	v_cmp_le_u32_e32 vcc, s60, v5
	v_cndmask_b32_e32 v20, v3, v7, vcc
.LBB1_34:                               ;   in Loop: Header=BB1_18 Depth=2
	s_or_b64 exec, exec, s[0:1]
	s_add_u32 s0, s43, s2
	v_mul_lo_u32 v3, v14, s53
	v_mul_lo_u32 v7, v16, s54
	s_load_dword s2, s[28:29], 0x6c
	s_addc_u32 s1, s44, s3
	s_load_dword s0, s[0:1], 0x0
	v_sub_u32_e32 v3, v12, v3
	v_sub_u32_e32 v7, v14, v7
	v_mul_lo_u32 v5, s55, v3
	v_mul_lo_u32 v3, s56, v3
	;; [unrolled: 1-line block ×4, first 2 shown]
	v_add3_u32 v5, v5, v10, v9
	v_add3_u32 v3, v3, v6, v7
	v_mul_lo_u32 v6, v18, s57
	v_mul_lo_u32 v9, v20, s60
	v_sub_u32_e32 v6, v16, v6
	v_sub_u32_e32 v9, v18, v9
	v_mul_lo_u32 v7, s61, v6
	s_waitcnt lgkmcnt(0)
	v_mul_lo_u32 v10, s2, v9
	v_mul_lo_u32 v6, s62, v6
	v_add3_u32 v10, v7, v5, v10
	v_mul_lo_u32 v5, s0, v9
	s_add_i32 s20, s20, -4
	s_cmp_eq_u32 s20, -1
	v_add3_u32 v6, v6, v3, v5
	s_cbranch_scc1 .LBB1_41
; %bb.35:                               ;   in Loop: Header=BB1_18 Depth=2
	v_pk_mov_b32 v[12:13], v[20:21], v[20:21] op_sel:[0,1]
	s_branch .LBB1_18
.LBB1_36:                               ;   in Loop: Header=BB1_37 Depth=2
	s_or_b64 exec, exec, s[0:1]
	s_load_dword s28, s[28:29], 0x6c
	s_add_u32 s0, s43, s2
	s_addc_u32 s1, s44, s3
	s_load_dword s2, s[0:1], 0x0
	v_mul_lo_u32 v3, v12, s54
	v_sub_u32_e32 v3, v14, v3
	s_waitcnt lgkmcnt(0)
	v_mad_u64_u32 v[10:11], s[0:1], s28, v3, v[10:11]
	s_add_i32 s20, s20, -1
	s_xor_b32 s0, s48, s53
	s_add_i32 s53, s53, 1
	s_cmp_lg_u32 s0, 2
	v_mad_u64_u32 v[6:7], s[0:1], s2, v3, v[6:7]
	s_cbranch_scc0 .LBB1_17
.LBB1_37:                               ;   Parent Loop BB1_3 Depth=1
                                        ; =>  This Inner Loop Header: Depth=2
	s_lshl_b64 s[2:3], s[20:21], 2
	s_add_u32 s28, s38, s2
	s_addc_u32 s29, s39, s3
	s_load_dword s54, s[28:29], 0x8
	v_pk_mov_b32 v[14:15], v[12:13], v[12:13] op_sel:[0,1]
                                        ; implicit-def: $vgpr12_vgpr13
	s_waitcnt lgkmcnt(0)
	s_ashr_i32 s0, s54, 31
	v_or_b32_e32 v3, s0, v15
	v_cmp_ne_u64_e32 vcc, 0, v[2:3]
	s_and_saveexec_b64 s[30:31], vcc
	s_xor_b64 s[30:31], exec, s[30:31]
	s_cbranch_execz .LBB1_39
; %bb.38:                               ;   in Loop: Header=BB1_37 Depth=2
	s_add_u32 s36, s54, s0
	s_mov_b32 s34, s0
	s_mov_b32 s35, s0
	s_addc_u32 s37, s0, s0
	s_xor_b64 s[36:37], s[36:37], s[34:35]
	v_cvt_f32_u32_e32 v3, s36
	v_cvt_f32_u32_e32 v5, s37
	s_sub_u32 s0, 0, s36
	s_subb_u32 s1, 0, s37
	v_mac_f32_e32 v3, 0x4f800000, v5
	v_rcp_f32_e32 v3, v3
	v_mul_f32_e32 v3, 0x5f7ffffc, v3
	v_mul_f32_e32 v5, 0x2f800000, v3
	v_trunc_f32_e32 v5, v5
	v_mac_f32_e32 v3, 0xcf800000, v5
	v_cvt_u32_f32_e32 v5, v5
	v_cvt_u32_f32_e32 v3, v3
	v_mul_lo_u32 v7, s0, v5
	v_mul_hi_u32 v11, s0, v3
	v_mul_lo_u32 v9, s1, v3
	v_add_u32_e32 v7, v11, v7
	v_mul_lo_u32 v12, s0, v3
	v_add_u32_e32 v7, v7, v9
	v_mul_lo_u32 v11, v3, v7
	v_mul_hi_u32 v13, v3, v12
	v_mul_hi_u32 v9, v3, v7
	v_add_co_u32_e32 v11, vcc, v13, v11
	v_addc_co_u32_e32 v9, vcc, 0, v9, vcc
	v_mul_hi_u32 v16, v5, v12
	v_mul_lo_u32 v12, v5, v12
	v_add_co_u32_e32 v11, vcc, v11, v12
	v_mul_hi_u32 v13, v5, v7
	v_addc_co_u32_e32 v9, vcc, v9, v16, vcc
	v_addc_co_u32_e32 v11, vcc, 0, v13, vcc
	v_mul_lo_u32 v7, v5, v7
	v_add_co_u32_e32 v7, vcc, v9, v7
	v_addc_co_u32_e32 v9, vcc, 0, v11, vcc
	v_add_co_u32_e32 v3, vcc, v3, v7
	v_addc_co_u32_e32 v5, vcc, v5, v9, vcc
	v_mul_lo_u32 v7, s0, v5
	v_mul_hi_u32 v9, s0, v3
	v_add_u32_e32 v7, v9, v7
	v_mul_lo_u32 v9, s1, v3
	v_add_u32_e32 v7, v7, v9
	v_mul_lo_u32 v11, s0, v3
	v_mul_hi_u32 v12, v5, v11
	v_mul_lo_u32 v13, v5, v11
	v_mul_lo_u32 v17, v3, v7
	v_mul_hi_u32 v11, v3, v11
	v_mul_hi_u32 v16, v3, v7
	v_add_co_u32_e32 v11, vcc, v11, v17
	v_addc_co_u32_e32 v16, vcc, 0, v16, vcc
	v_add_co_u32_e32 v11, vcc, v11, v13
	v_mul_hi_u32 v9, v5, v7
	v_addc_co_u32_e32 v11, vcc, v16, v12, vcc
	v_addc_co_u32_e32 v9, vcc, 0, v9, vcc
	v_mul_lo_u32 v7, v5, v7
	v_add_co_u32_e32 v7, vcc, v11, v7
	v_addc_co_u32_e32 v9, vcc, 0, v9, vcc
	v_add_co_u32_e32 v3, vcc, v3, v7
	v_addc_co_u32_e32 v5, vcc, v5, v9, vcc
	v_ashrrev_i32_e32 v7, 31, v15
	v_add_co_u32_e32 v9, vcc, v14, v7
	v_xor_b32_e32 v9, v9, v7
	v_addc_co_u32_e32 v11, vcc, v15, v7, vcc
	v_mad_u64_u32 v[12:13], s[0:1], v9, v5, 0
	v_mul_hi_u32 v15, v9, v3
	v_xor_b32_e32 v11, v11, v7
	v_add_co_u32_e32 v15, vcc, v15, v12
	v_addc_co_u32_e32 v18, vcc, 0, v13, vcc
	v_mad_u64_u32 v[16:17], s[0:1], v11, v3, 0
	v_add_co_u32_e32 v3, vcc, v15, v16
	v_mad_u64_u32 v[12:13], s[0:1], v11, v5, 0
	v_addc_co_u32_e32 v3, vcc, v18, v17, vcc
	v_addc_co_u32_e32 v5, vcc, 0, v13, vcc
	v_add_co_u32_e32 v3, vcc, v3, v12
	v_addc_co_u32_e32 v5, vcc, 0, v5, vcc
	v_mul_lo_u32 v15, s37, v3
	v_mul_lo_u32 v16, s36, v5
	v_mad_u64_u32 v[12:13], s[0:1], s36, v3, 0
	v_add3_u32 v13, v13, v16, v15
	v_sub_u32_e32 v15, v11, v13
	v_mov_b32_e32 v16, s37
	v_sub_co_u32_e32 v9, vcc, v9, v12
	v_subb_co_u32_e64 v12, s[0:1], v15, v16, vcc
	v_subrev_co_u32_e64 v15, s[0:1], s36, v9
	v_subbrev_co_u32_e64 v12, s[0:1], 0, v12, s[0:1]
	v_cmp_le_u32_e64 s[0:1], s37, v12
	v_cndmask_b32_e64 v16, 0, -1, s[0:1]
	v_cmp_le_u32_e64 s[0:1], s36, v15
	v_cndmask_b32_e64 v15, 0, -1, s[0:1]
	v_cmp_eq_u32_e64 s[0:1], s37, v12
	v_cndmask_b32_e64 v12, v16, v15, s[0:1]
	v_add_co_u32_e64 v15, s[0:1], 2, v3
	v_subb_co_u32_e32 v11, vcc, v11, v13, vcc
	v_addc_co_u32_e64 v16, s[0:1], 0, v5, s[0:1]
	v_cmp_le_u32_e32 vcc, s37, v11
	v_add_co_u32_e64 v17, s[0:1], 1, v3
	v_cndmask_b32_e64 v13, 0, -1, vcc
	v_cmp_le_u32_e32 vcc, s36, v9
	v_addc_co_u32_e64 v18, s[0:1], 0, v5, s[0:1]
	v_cndmask_b32_e64 v9, 0, -1, vcc
	v_cmp_eq_u32_e32 vcc, s37, v11
	v_cmp_ne_u32_e64 s[0:1], 0, v12
	v_cndmask_b32_e32 v9, v13, v9, vcc
	v_cmp_ne_u32_e32 vcc, 0, v9
	v_cndmask_b32_e64 v9, v17, v15, s[0:1]
	v_cndmask_b32_e64 v12, v18, v16, s[0:1]
	v_cndmask_b32_e32 v3, v3, v9, vcc
	v_xor_b32_e32 v9, s35, v7
	v_xor_b32_e32 v7, s34, v7
	v_cndmask_b32_e32 v5, v5, v12, vcc
	v_xor_b32_e32 v3, v3, v7
	v_xor_b32_e32 v5, v5, v9
	v_sub_co_u32_e32 v12, vcc, v3, v7
	v_subb_co_u32_e32 v13, vcc, v5, v9, vcc
.LBB1_39:                               ;   in Loop: Header=BB1_37 Depth=2
	s_andn2_saveexec_b64 s[0:1], s[30:31]
	s_cbranch_execz .LBB1_36
; %bb.40:                               ;   in Loop: Header=BB1_37 Depth=2
	v_cvt_f32_u32_e32 v3, s54
	s_sub_i32 s30, 0, s54
	v_mov_b32_e32 v13, v2
	v_rcp_iflag_f32_e32 v3, v3
	v_mul_f32_e32 v3, 0x4f7ffffe, v3
	v_cvt_u32_f32_e32 v3, v3
	v_mul_lo_u32 v5, s30, v3
	v_mul_hi_u32 v5, v3, v5
	v_add_u32_e32 v3, v3, v5
	v_mul_hi_u32 v3, v14, v3
	v_mul_lo_u32 v5, v3, s54
	v_sub_u32_e32 v5, v14, v5
	v_add_u32_e32 v7, 1, v3
	v_subrev_u32_e32 v9, s54, v5
	v_cmp_le_u32_e32 vcc, s54, v5
	v_cndmask_b32_e32 v5, v5, v9, vcc
	v_cndmask_b32_e32 v3, v3, v7, vcc
	v_add_u32_e32 v7, 1, v3
	v_cmp_le_u32_e32 vcc, s54, v5
	v_cndmask_b32_e32 v12, v3, v7, vcc
	s_branch .LBB1_36
.LBB1_41:                               ;   in Loop: Header=BB1_3 Depth=1
	v_mov_b32_e32 v3, v4
	v_sub_u32_e32 v4, v4, v8
	v_ashrrev_i32_e32 v5, 31, v4
	v_cmp_ge_i64_e32 vcc, s[8:9], v[4:5]
                                        ; implicit-def: $vgpr7
	s_and_saveexec_b64 s[0:1], vcc
	s_xor_b64 s[0:1], exec, s[0:1]
	s_cbranch_execnz .LBB1_44
; %bb.42:                               ;   in Loop: Header=BB1_3 Depth=1
	s_andn2_saveexec_b64 s[0:1], s[0:1]
	s_cbranch_execnz .LBB1_53
.LBB1_43:                               ;   in Loop: Header=BB1_3 Depth=1
	s_or_b64 exec, exec, s[0:1]
	v_cmp_gt_i32_e32 vcc, s13, v3
	s_and_saveexec_b64 s[0:1], vcc
	s_cbranch_execz .LBB1_2
	s_branch .LBB1_54
.LBB1_44:                               ;   in Loop: Header=BB1_3 Depth=1
	v_cmp_gt_i32_e32 vcc, s13, v3
	v_mov_b32_e32 v7, 0
	s_and_saveexec_b64 s[2:3], vcc
	s_cbranch_execz .LBB1_52
; %bb.45:                               ;   in Loop: Header=BB1_3 Depth=1
	v_ashrrev_i32_e32 v5, 31, v10
	v_mov_b32_e32 v7, s7
	v_add_co_u32_e32 v4, vcc, s6, v10
	v_addc_co_u32_e32 v5, vcc, v7, v5, vcc
	global_load_ubyte v7, v[4:5], off
	v_add_u32_e32 v9, 1, v3
	v_cmp_gt_i32_e32 vcc, s13, v9
	s_and_saveexec_b64 s[28:29], vcc
	s_xor_b64 s[28:29], exec, s[28:29]
	s_cbranch_execz .LBB1_51
; %bb.46:                               ;   in Loop: Header=BB1_3 Depth=1
	v_mov_b32_e32 v9, s49
	v_add_co_u32_e32 v4, vcc, s50, v4
	v_addc_co_u32_e32 v5, vcc, v5, v9, vcc
	global_load_ubyte v4, v[4:5], off
	v_add_u32_e32 v5, 2, v3
	v_cmp_gt_i32_e32 vcc, s13, v5
	s_waitcnt vmcnt(0)
	v_lshlrev_b16_e32 v4, 8, v4
	v_or_b32_e32 v4, v7, v4
	v_and_b32_e32 v7, 0xffff, v4
	s_and_saveexec_b64 s[30:31], vcc
	s_xor_b64 s[30:31], exec, s[30:31]
	s_cbranch_execz .LBB1_50
; %bb.47:                               ;   in Loop: Header=BB1_3 Depth=1
	s_add_i32 s20, s50, s50
	v_add_u32_e32 v4, s20, v10
	v_ashrrev_i32_e32 v5, 31, v4
	v_mov_b32_e32 v9, s7
	v_add_co_u32_e32 v10, vcc, s6, v4
	v_addc_co_u32_e32 v11, vcc, v9, v5, vcc
	global_load_ubyte v5, v[10:11], off
	v_add_u32_e32 v9, 3, v3
	v_cmp_gt_i32_e32 vcc, s13, v9
	s_waitcnt vmcnt(0)
	v_lshl_or_b32 v7, v5, 16, v7
	s_and_saveexec_b64 s[34:35], vcc
	s_xor_b64 s[34:35], exec, s[34:35]
	s_cbranch_execz .LBB1_49
; %bb.48:                               ;   in Loop: Header=BB1_3 Depth=1
	v_add_u32_e32 v4, s50, v4
	v_ashrrev_i32_e32 v5, 31, v4
	v_mov_b32_e32 v9, s7
	v_add_co_u32_e32 v4, vcc, s6, v4
	v_addc_co_u32_e32 v5, vcc, v9, v5, vcc
	global_load_ubyte v4, v[4:5], off
	s_waitcnt vmcnt(0)
	v_lshlrev_b16_e32 v4, 8, v4
	v_or_b32_sdwa v4, v7, v4 dst_sel:WORD_1 dst_unused:UNUSED_PAD src0_sel:WORD_1 src1_sel:DWORD
	v_and_or_b32 v7, v7, s33, v4
.LBB1_49:                               ;   in Loop: Header=BB1_3 Depth=1
	s_or_b64 exec, exec, s[34:35]
.LBB1_50:                               ;   in Loop: Header=BB1_3 Depth=1
	s_or_b64 exec, exec, s[30:31]
.LBB1_51:                               ;   in Loop: Header=BB1_3 Depth=1
	s_or_b64 exec, exec, s[28:29]
.LBB1_52:                               ;   in Loop: Header=BB1_3 Depth=1
	s_or_b64 exec, exec, s[2:3]
	v_sub_u32_e32 v4, v3, v8
	v_ashrrev_i32_e32 v5, 31, v4
	v_add_u32_e32 v8, 1, v4
	v_cmp_ge_i64_e32 vcc, s[8:9], v[4:5]
	v_ashrrev_i32_e32 v9, 31, v8
	s_waitcnt vmcnt(0)
	v_cndmask_b32_e32 v11, 0, v7, vcc
	v_cmp_ge_i64_e32 vcc, s[8:9], v[8:9]
	v_add_u32_e32 v8, 2, v4
	v_lshrrev_b32_e32 v5, 8, v7
	v_ashrrev_i32_e32 v9, 31, v8
	v_add_u32_e32 v4, 3, v4
	v_lshrrev_b32_e32 v10, 16, v7
	v_cndmask_b32_e32 v12, 0, v5, vcc
	v_cmp_ge_i64_e32 vcc, s[8:9], v[8:9]
	v_ashrrev_i32_e32 v5, 31, v4
	v_cndmask_b32_e32 v8, 0, v10, vcc
	v_lshrrev_b32_e32 v7, 24, v7
	v_cmp_ge_i64_e32 vcc, s[8:9], v[4:5]
	v_cndmask_b32_e32 v4, 0, v7, vcc
	v_lshlrev_b16_e32 v5, 8, v12
	v_lshlrev_b16_e32 v4, 8, v4
	v_or_b32_sdwa v5, v11, v5 dst_sel:DWORD dst_unused:UNUSED_PAD src0_sel:BYTE_0 src1_sel:DWORD
	v_or_b32_sdwa v4, v8, v4 dst_sel:WORD_1 dst_unused:UNUSED_PAD src0_sel:BYTE_0 src1_sel:DWORD
	v_or_b32_sdwa v7, v5, v4 dst_sel:DWORD dst_unused:UNUSED_PAD src0_sel:WORD_0 src1_sel:DWORD
	s_andn2_saveexec_b64 s[0:1], s[0:1]
	s_cbranch_execz .LBB1_43
.LBB1_53:                               ;   in Loop: Header=BB1_3 Depth=1
	v_mov_b32_e32 v7, 0
	s_or_b64 exec, exec, s[0:1]
	v_cmp_gt_i32_e32 vcc, s13, v3
	s_and_saveexec_b64 s[0:1], vcc
	s_cbranch_execz .LBB1_2
.LBB1_54:                               ;   in Loop: Header=BB1_3 Depth=1
	v_ashrrev_i32_e32 v5, 31, v6
	v_mov_b32_e32 v8, s5
	v_add_co_u32_e32 v4, vcc, s4, v6
	v_addc_co_u32_e32 v5, vcc, v8, v5, vcc
	v_add_u32_e32 v8, 1, v3
	v_cmp_gt_i32_e32 vcc, s13, v8
	global_store_byte v[4:5], v7, off
	s_and_saveexec_b64 s[2:3], vcc
	s_xor_b64 s[2:3], exec, s[2:3]
	s_cbranch_execz .LBB1_2
; %bb.55:                               ;   in Loop: Header=BB1_3 Depth=1
	v_mov_b32_e32 v9, s51
	v_add_co_u32_e32 v4, vcc, s52, v4
	v_lshrrev_b32_e32 v8, 8, v7
	v_addc_co_u32_e32 v5, vcc, v5, v9, vcc
	global_store_byte v[4:5], v8, off
	v_add_u32_e32 v4, 2, v3
	v_cmp_gt_i32_e32 vcc, s13, v4
	s_and_saveexec_b64 s[2:3], vcc
	s_xor_b64 s[2:3], exec, s[2:3]
	s_cbranch_execz .LBB1_2
; %bb.56:                               ;   in Loop: Header=BB1_3 Depth=1
	s_add_i32 s2, s52, s52
	v_add_u32_e32 v4, s2, v6
	v_ashrrev_i32_e32 v5, 31, v4
	v_mov_b32_e32 v6, s5
	v_add_co_u32_e32 v8, vcc, s4, v4
	v_addc_co_u32_e32 v9, vcc, v6, v5, vcc
	v_add_u32_e32 v3, 3, v3
	v_cmp_gt_i32_e32 vcc, s13, v3
	global_store_byte_d16_hi v[8:9], v7, off
	s_and_saveexec_b64 s[2:3], vcc
	s_xor_b64 s[2:3], exec, s[2:3]
	s_cbranch_execz .LBB1_2
; %bb.57:                               ;   in Loop: Header=BB1_3 Depth=1
	v_add_u32_e32 v4, s52, v4
	v_ashrrev_i32_e32 v5, 31, v4
	v_mov_b32_e32 v6, s5
	v_add_co_u32_e32 v4, vcc, s4, v4
	v_lshrrev_b32_e32 v3, 24, v7
	v_addc_co_u32_e32 v5, vcc, v6, v5, vcc
	global_store_byte v[4:5], v3, off
	s_branch .LBB1_2
.LBB1_58:
	s_endpgm
	.section	.rodata,"a",@progbits
	.p2align	6, 0x0
	.amdhsa_kernel _ZN2at6native16triu_tril_kernelIhiLb0ELi4ELb0EEEvNS_4cuda6detail10TensorInfoIT_T0_EENS4_IKS5_S6_EEllS6_
		.amdhsa_group_segment_fixed_size 0
		.amdhsa_private_segment_fixed_size 0
		.amdhsa_kernarg_size 712
		.amdhsa_user_sgpr_count 6
		.amdhsa_user_sgpr_private_segment_buffer 1
		.amdhsa_user_sgpr_dispatch_ptr 0
		.amdhsa_user_sgpr_queue_ptr 0
		.amdhsa_user_sgpr_kernarg_segment_ptr 1
		.amdhsa_user_sgpr_dispatch_id 0
		.amdhsa_user_sgpr_flat_scratch_init 0
		.amdhsa_user_sgpr_kernarg_preload_length 0
		.amdhsa_user_sgpr_kernarg_preload_offset 0
		.amdhsa_user_sgpr_private_segment_size 0
		.amdhsa_uses_dynamic_stack 0
		.amdhsa_system_sgpr_private_segment_wavefront_offset 0
		.amdhsa_system_sgpr_workgroup_id_x 1
		.amdhsa_system_sgpr_workgroup_id_y 0
		.amdhsa_system_sgpr_workgroup_id_z 0
		.amdhsa_system_sgpr_workgroup_info 0
		.amdhsa_system_vgpr_workitem_id 0
		.amdhsa_next_free_vgpr 26
		.amdhsa_next_free_sgpr 63
		.amdhsa_accum_offset 28
		.amdhsa_reserve_vcc 1
		.amdhsa_reserve_flat_scratch 0
		.amdhsa_float_round_mode_32 0
		.amdhsa_float_round_mode_16_64 0
		.amdhsa_float_denorm_mode_32 3
		.amdhsa_float_denorm_mode_16_64 3
		.amdhsa_dx10_clamp 1
		.amdhsa_ieee_mode 1
		.amdhsa_fp16_overflow 0
		.amdhsa_tg_split 0
		.amdhsa_exception_fp_ieee_invalid_op 0
		.amdhsa_exception_fp_denorm_src 0
		.amdhsa_exception_fp_ieee_div_zero 0
		.amdhsa_exception_fp_ieee_overflow 0
		.amdhsa_exception_fp_ieee_underflow 0
		.amdhsa_exception_fp_ieee_inexact 0
		.amdhsa_exception_int_div_zero 0
	.end_amdhsa_kernel
	.section	.text._ZN2at6native16triu_tril_kernelIhiLb0ELi4ELb0EEEvNS_4cuda6detail10TensorInfoIT_T0_EENS4_IKS5_S6_EEllS6_,"axG",@progbits,_ZN2at6native16triu_tril_kernelIhiLb0ELi4ELb0EEEvNS_4cuda6detail10TensorInfoIT_T0_EENS4_IKS5_S6_EEllS6_,comdat
.Lfunc_end1:
	.size	_ZN2at6native16triu_tril_kernelIhiLb0ELi4ELb0EEEvNS_4cuda6detail10TensorInfoIT_T0_EENS4_IKS5_S6_EEllS6_, .Lfunc_end1-_ZN2at6native16triu_tril_kernelIhiLb0ELi4ELb0EEEvNS_4cuda6detail10TensorInfoIT_T0_EENS4_IKS5_S6_EEllS6_
                                        ; -- End function
	.section	.AMDGPU.csdata,"",@progbits
; Kernel info:
; codeLenInByte = 7956
; NumSgprs: 67
; NumVgprs: 26
; NumAgprs: 0
; TotalNumVgprs: 26
; ScratchSize: 0
; MemoryBound: 0
; FloatMode: 240
; IeeeMode: 1
; LDSByteSize: 0 bytes/workgroup (compile time only)
; SGPRBlocks: 8
; VGPRBlocks: 3
; NumSGPRsForWavesPerEU: 67
; NumVGPRsForWavesPerEU: 26
; AccumOffset: 28
; Occupancy: 8
; WaveLimiterHint : 0
; COMPUTE_PGM_RSRC2:SCRATCH_EN: 0
; COMPUTE_PGM_RSRC2:USER_SGPR: 6
; COMPUTE_PGM_RSRC2:TRAP_HANDLER: 0
; COMPUTE_PGM_RSRC2:TGID_X_EN: 1
; COMPUTE_PGM_RSRC2:TGID_Y_EN: 0
; COMPUTE_PGM_RSRC2:TGID_Z_EN: 0
; COMPUTE_PGM_RSRC2:TIDIG_COMP_CNT: 0
; COMPUTE_PGM_RSRC3_GFX90A:ACCUM_OFFSET: 6
; COMPUTE_PGM_RSRC3_GFX90A:TG_SPLIT: 0
	.section	.text._ZN2at6native16triu_tril_kernelIhlLb0ELi4ELb1EEEvNS_4cuda6detail10TensorInfoIT_T0_EENS4_IKS5_S6_EEllS6_,"axG",@progbits,_ZN2at6native16triu_tril_kernelIhlLb0ELi4ELb1EEEvNS_4cuda6detail10TensorInfoIT_T0_EENS4_IKS5_S6_EEllS6_,comdat
	.protected	_ZN2at6native16triu_tril_kernelIhlLb0ELi4ELb1EEEvNS_4cuda6detail10TensorInfoIT_T0_EENS4_IKS5_S6_EEllS6_ ; -- Begin function _ZN2at6native16triu_tril_kernelIhlLb0ELi4ELb1EEEvNS_4cuda6detail10TensorInfoIT_T0_EENS4_IKS5_S6_EEllS6_
	.globl	_ZN2at6native16triu_tril_kernelIhlLb0ELi4ELb1EEEvNS_4cuda6detail10TensorInfoIT_T0_EENS4_IKS5_S6_EEllS6_
	.p2align	8
	.type	_ZN2at6native16triu_tril_kernelIhlLb0ELi4ELb1EEEvNS_4cuda6detail10TensorInfoIT_T0_EENS4_IKS5_S6_EEllS6_,@function
_ZN2at6native16triu_tril_kernelIhlLb0ELi4ELb1EEEvNS_4cuda6detail10TensorInfoIT_T0_EENS4_IKS5_S6_EEllS6_: ; @_ZN2at6native16triu_tril_kernelIhlLb0ELi4ELb1EEEvNS_4cuda6detail10TensorInfoIT_T0_EENS4_IKS5_S6_EEllS6_
; %bb.0:
	s_load_dword s2, s[4:5], 0x364
	s_load_dwordx4 s[8:11], s[4:5], 0x340
	s_add_u32 s0, s4, 0x358
	v_mov_b32_e32 v2, 0
	s_addc_u32 s1, s5, 0
	s_waitcnt lgkmcnt(0)
	s_and_b32 s12, s2, 0xffff
	v_mov_b32_e32 v1, v2
	v_mov_b32_e32 v3, s6
	v_mad_u64_u32 v[0:1], s[2:3], s12, v3, v[0:1]
	v_lshlrev_b64 v[0:1], 2, v[0:1]
	v_cmp_gt_i64_e32 vcc, s[10:11], v[0:1]
	s_and_saveexec_b64 s[2:3], vcc
	s_cbranch_execz .LBB2_29
; %bb.1:
	s_load_dword s13, s[0:1], 0x0
	s_load_dword s18, s[4:5], 0x338
	s_load_dwordx2 s[2:3], s[4:5], 0x350
	s_load_dwordx2 s[6:7], s[4:5], 0x0
	s_mov_b32 s48, 0
	s_waitcnt lgkmcnt(0)
	s_mul_i32 s20, s13, s12
	s_ashr_i32 s19, s18, 31
	s_add_u32 s24, s4, 0x1a8
	s_addc_u32 s25, s5, 0
	s_lshl_b64 s[0:1], s[18:19], 3
	s_add_u32 s16, s0, -16
	s_addc_u32 s17, s1, -1
	s_add_u32 s14, s24, s16
	s_addc_u32 s15, s25, s17
	v_cmp_gt_i64_e64 s[12:13], s[18:19], 2
	s_add_u32 s19, s0, -8
	s_addc_u32 s21, s1, -1
	s_add_u32 s26, s4, 0xd0
	s_addc_u32 s27, s5, 0
	s_add_u32 s4, s26, s19
	v_cvt_f32_u32_e32 v3, s2
	s_addc_u32 s5, s27, s21
	s_add_u32 s16, s26, s16
	s_addc_u32 s17, s27, s17
	s_add_i32 s0, s18, -3
	s_ashr_i32 s1, s0, 31
	v_rcp_iflag_f32_e32 v3, v3
	s_add_u32 s18, s24, s19
	s_addc_u32 s19, s25, s21
	s_lshl_b32 s33, s20, 2
	s_lshl_b64 s[22:23], s[0:1], 3
	s_add_u32 s20, s26, s22
	s_load_dwordx2 s[14:15], s[14:15], 0x0
	s_addc_u32 s21, s27, s23
	v_mul_f32_e32 v3, 0x4f7ffffe, v3
	s_add_u32 s22, s24, s22
	v_cvt_u32_f32_e32 v14, v3
	s_addc_u32 s23, s25, s23
	s_add_u32 s24, s0, 1
	s_addc_u32 s25, s1, 0
	s_mov_b64 s[26:27], 0
	s_branch .LBB2_3
.LBB2_2:                                ;   in Loop: Header=BB2_3 Depth=1
	s_or_b64 exec, exec, s[28:29]
	v_mov_b32_e32 v3, s48
	v_add_co_u32_e32 v0, vcc, s33, v0
	v_addc_co_u32_e32 v1, vcc, v1, v3, vcc
	v_cmp_le_i64_e32 vcc, s[10:11], v[0:1]
	s_or_b64 s[26:27], vcc, s[26:27]
	s_andn2_b64 exec, exec, s[26:27]
	s_cbranch_execz .LBB2_29
.LBB2_3:                                ; =>This Loop Header: Depth=1
                                        ;     Child Loop BB2_25 Depth 2
	v_or_b32_e32 v3, s3, v1
	v_cmp_ne_u64_e32 vcc, 0, v[2:3]
                                        ; implicit-def: $vgpr6_vgpr7
	s_and_saveexec_b64 s[0:1], vcc
	s_xor_b64 s[28:29], exec, s[0:1]
	s_cbranch_execz .LBB2_5
; %bb.4:                                ;   in Loop: Header=BB2_3 Depth=1
	s_ashr_i32 s30, s3, 31
	s_add_u32 s0, s2, s30
	s_mov_b32 s31, s30
	s_addc_u32 s1, s3, s30
	s_xor_b64 s[34:35], s[0:1], s[30:31]
	v_cvt_f32_u32_e32 v3, s34
	v_cvt_f32_u32_e32 v4, s35
	s_sub_u32 s0, 0, s34
	s_subb_u32 s1, 0, s35
	v_mac_f32_e32 v3, 0x4f800000, v4
	v_rcp_f32_e32 v3, v3
	v_mul_f32_e32 v3, 0x5f7ffffc, v3
	v_mul_f32_e32 v4, 0x2f800000, v3
	v_trunc_f32_e32 v4, v4
	v_mac_f32_e32 v3, 0xcf800000, v4
	v_cvt_u32_f32_e32 v4, v4
	v_cvt_u32_f32_e32 v3, v3
	v_mul_lo_u32 v5, s0, v4
	v_mul_hi_u32 v7, s0, v3
	v_mul_lo_u32 v6, s1, v3
	v_add_u32_e32 v5, v7, v5
	v_mul_lo_u32 v8, s0, v3
	v_add_u32_e32 v5, v5, v6
	v_mul_lo_u32 v7, v3, v5
	v_mul_hi_u32 v9, v3, v8
	v_mul_hi_u32 v6, v3, v5
	v_add_co_u32_e32 v7, vcc, v9, v7
	v_addc_co_u32_e32 v6, vcc, 0, v6, vcc
	v_mul_hi_u32 v10, v4, v8
	v_mul_lo_u32 v8, v4, v8
	v_add_co_u32_e32 v7, vcc, v7, v8
	v_mul_hi_u32 v9, v4, v5
	v_addc_co_u32_e32 v6, vcc, v6, v10, vcc
	v_addc_co_u32_e32 v7, vcc, 0, v9, vcc
	v_mul_lo_u32 v5, v4, v5
	v_add_co_u32_e32 v5, vcc, v6, v5
	v_addc_co_u32_e32 v6, vcc, 0, v7, vcc
	v_add_co_u32_e32 v3, vcc, v3, v5
	v_addc_co_u32_e32 v4, vcc, v4, v6, vcc
	v_mul_lo_u32 v5, s0, v4
	v_mul_hi_u32 v6, s0, v3
	v_add_u32_e32 v5, v6, v5
	v_mul_lo_u32 v6, s1, v3
	v_add_u32_e32 v5, v5, v6
	v_mul_lo_u32 v7, s0, v3
	v_mul_hi_u32 v8, v4, v7
	v_mul_lo_u32 v9, v4, v7
	v_mul_lo_u32 v11, v3, v5
	v_mul_hi_u32 v7, v3, v7
	v_mul_hi_u32 v10, v3, v5
	v_add_co_u32_e32 v7, vcc, v7, v11
	v_addc_co_u32_e32 v10, vcc, 0, v10, vcc
	v_add_co_u32_e32 v7, vcc, v7, v9
	v_mul_hi_u32 v6, v4, v5
	v_addc_co_u32_e32 v7, vcc, v10, v8, vcc
	v_addc_co_u32_e32 v6, vcc, 0, v6, vcc
	v_mul_lo_u32 v5, v4, v5
	v_add_co_u32_e32 v5, vcc, v7, v5
	v_addc_co_u32_e32 v6, vcc, 0, v6, vcc
	v_add_co_u32_e32 v3, vcc, v3, v5
	v_addc_co_u32_e32 v6, vcc, v4, v6, vcc
	v_ashrrev_i32_e32 v8, 31, v1
	v_add_co_u32_e32 v4, vcc, v0, v8
	v_addc_co_u32_e32 v5, vcc, v1, v8, vcc
	v_xor_b32_e32 v10, v4, v8
	v_xor_b32_e32 v9, v5, v8
	v_mad_u64_u32 v[4:5], s[0:1], v10, v6, 0
	v_mul_hi_u32 v7, v10, v3
	v_add_co_u32_e32 v11, vcc, v7, v4
	v_addc_co_u32_e32 v12, vcc, 0, v5, vcc
	v_mad_u64_u32 v[4:5], s[0:1], v9, v6, 0
	v_mad_u64_u32 v[6:7], s[0:1], v9, v3, 0
	v_add_co_u32_e32 v3, vcc, v11, v6
	v_addc_co_u32_e32 v3, vcc, v12, v7, vcc
	v_addc_co_u32_e32 v5, vcc, 0, v5, vcc
	v_add_co_u32_e32 v3, vcc, v3, v4
	v_addc_co_u32_e32 v6, vcc, 0, v5, vcc
	v_mul_lo_u32 v7, s35, v3
	v_mul_lo_u32 v11, s34, v6
	v_mad_u64_u32 v[4:5], s[0:1], s34, v3, 0
	v_add3_u32 v5, v5, v11, v7
	v_sub_u32_e32 v7, v9, v5
	v_mov_b32_e32 v11, s35
	v_sub_co_u32_e32 v4, vcc, v10, v4
	v_subb_co_u32_e64 v7, s[0:1], v7, v11, vcc
	v_subrev_co_u32_e64 v10, s[0:1], s34, v4
	v_subbrev_co_u32_e64 v7, s[0:1], 0, v7, s[0:1]
	v_cmp_le_u32_e64 s[0:1], s35, v7
	v_cndmask_b32_e64 v11, 0, -1, s[0:1]
	v_cmp_le_u32_e64 s[0:1], s34, v10
	v_cndmask_b32_e64 v10, 0, -1, s[0:1]
	v_cmp_eq_u32_e64 s[0:1], s35, v7
	v_cndmask_b32_e64 v7, v11, v10, s[0:1]
	v_add_co_u32_e64 v10, s[0:1], 2, v3
	v_subb_co_u32_e32 v5, vcc, v9, v5, vcc
	v_addc_co_u32_e64 v11, s[0:1], 0, v6, s[0:1]
	v_cmp_le_u32_e32 vcc, s35, v5
	v_add_co_u32_e64 v12, s[0:1], 1, v3
	v_cndmask_b32_e64 v9, 0, -1, vcc
	v_cmp_le_u32_e32 vcc, s34, v4
	v_addc_co_u32_e64 v13, s[0:1], 0, v6, s[0:1]
	v_cndmask_b32_e64 v4, 0, -1, vcc
	v_cmp_eq_u32_e32 vcc, s35, v5
	v_cmp_ne_u32_e64 s[0:1], 0, v7
	v_cndmask_b32_e32 v4, v9, v4, vcc
	v_cmp_ne_u32_e32 vcc, 0, v4
	v_cndmask_b32_e64 v5, v12, v10, s[0:1]
	v_cndmask_b32_e64 v7, v13, v11, s[0:1]
	v_cndmask_b32_e32 v3, v3, v5, vcc
	v_xor_b32_e32 v5, s30, v8
	v_cndmask_b32_e32 v4, v6, v7, vcc
	v_xor_b32_e32 v3, v3, v5
	v_xor_b32_e32 v4, v4, v5
	v_sub_co_u32_e32 v6, vcc, v3, v5
	v_subb_co_u32_e32 v7, vcc, v4, v5, vcc
.LBB2_5:                                ;   in Loop: Header=BB2_3 Depth=1
	s_andn2_saveexec_b64 s[0:1], s[28:29]
	s_cbranch_execz .LBB2_7
; %bb.6:                                ;   in Loop: Header=BB2_3 Depth=1
	s_sub_i32 s28, 0, s2
	v_mul_lo_u32 v3, s28, v14
	v_mul_hi_u32 v3, v14, v3
	v_add_u32_e32 v3, v14, v3
	v_mul_hi_u32 v3, v0, v3
	v_mul_lo_u32 v4, v3, s2
	v_sub_u32_e32 v4, v0, v4
	v_subrev_u32_e32 v5, s2, v4
	v_cmp_le_u32_e32 vcc, s2, v4
	v_cndmask_b32_e32 v4, v4, v5, vcc
	v_add_u32_e32 v5, 1, v3
	v_cndmask_b32_e32 v3, v3, v5, vcc
	v_add_u32_e32 v5, 1, v3
	v_cmp_le_u32_e32 vcc, s2, v4
	v_cndmask_b32_e32 v6, v3, v5, vcc
	v_mov_b32_e32 v7, v2
.LBB2_7:                                ;   in Loop: Header=BB2_3 Depth=1
	s_or_b64 exec, exec, s[0:1]
	s_waitcnt lgkmcnt(0)
	v_or_b32_e32 v3, s15, v7
	v_cmp_ne_u64_e32 vcc, 0, v[2:3]
                                        ; implicit-def: $vgpr8_vgpr9
	s_and_saveexec_b64 s[0:1], vcc
	s_xor_b64 s[28:29], exec, s[0:1]
	s_cbranch_execz .LBB2_9
; %bb.8:                                ;   in Loop: Header=BB2_3 Depth=1
	s_ashr_i32 s30, s15, 31
	s_add_u32 s0, s14, s30
	s_mov_b32 s31, s30
	s_addc_u32 s1, s15, s30
	s_xor_b64 s[34:35], s[0:1], s[30:31]
	v_cvt_f32_u32_e32 v3, s34
	v_cvt_f32_u32_e32 v4, s35
	s_sub_u32 s0, 0, s34
	s_subb_u32 s1, 0, s35
	v_mac_f32_e32 v3, 0x4f800000, v4
	v_rcp_f32_e32 v3, v3
	v_mul_f32_e32 v3, 0x5f7ffffc, v3
	v_mul_f32_e32 v4, 0x2f800000, v3
	v_trunc_f32_e32 v4, v4
	v_mac_f32_e32 v3, 0xcf800000, v4
	v_cvt_u32_f32_e32 v4, v4
	v_cvt_u32_f32_e32 v3, v3
	v_mul_lo_u32 v5, s0, v4
	v_mul_hi_u32 v9, s0, v3
	v_mul_lo_u32 v8, s1, v3
	v_add_u32_e32 v5, v9, v5
	v_mul_lo_u32 v10, s0, v3
	v_add_u32_e32 v5, v5, v8
	v_mul_lo_u32 v9, v3, v5
	v_mul_hi_u32 v11, v3, v10
	v_mul_hi_u32 v8, v3, v5
	v_add_co_u32_e32 v9, vcc, v11, v9
	v_addc_co_u32_e32 v8, vcc, 0, v8, vcc
	v_mul_hi_u32 v12, v4, v10
	v_mul_lo_u32 v10, v4, v10
	v_add_co_u32_e32 v9, vcc, v9, v10
	v_mul_hi_u32 v11, v4, v5
	v_addc_co_u32_e32 v8, vcc, v8, v12, vcc
	v_addc_co_u32_e32 v9, vcc, 0, v11, vcc
	v_mul_lo_u32 v5, v4, v5
	v_add_co_u32_e32 v5, vcc, v8, v5
	v_addc_co_u32_e32 v8, vcc, 0, v9, vcc
	v_add_co_u32_e32 v3, vcc, v3, v5
	v_addc_co_u32_e32 v4, vcc, v4, v8, vcc
	v_mul_lo_u32 v5, s0, v4
	v_mul_hi_u32 v8, s0, v3
	v_add_u32_e32 v5, v8, v5
	v_mul_lo_u32 v8, s1, v3
	v_add_u32_e32 v5, v5, v8
	v_mul_lo_u32 v9, s0, v3
	v_mul_hi_u32 v10, v4, v9
	v_mul_lo_u32 v11, v4, v9
	v_mul_lo_u32 v13, v3, v5
	v_mul_hi_u32 v9, v3, v9
	v_mul_hi_u32 v12, v3, v5
	v_add_co_u32_e32 v9, vcc, v9, v13
	v_addc_co_u32_e32 v12, vcc, 0, v12, vcc
	v_add_co_u32_e32 v9, vcc, v9, v11
	v_mul_hi_u32 v8, v4, v5
	v_addc_co_u32_e32 v9, vcc, v12, v10, vcc
	v_addc_co_u32_e32 v8, vcc, 0, v8, vcc
	v_mul_lo_u32 v5, v4, v5
	v_add_co_u32_e32 v5, vcc, v9, v5
	v_addc_co_u32_e32 v8, vcc, 0, v8, vcc
	v_add_co_u32_e32 v3, vcc, v3, v5
	v_addc_co_u32_e32 v8, vcc, v4, v8, vcc
	v_ashrrev_i32_e32 v10, 31, v7
	v_add_co_u32_e32 v4, vcc, v6, v10
	v_addc_co_u32_e32 v5, vcc, v7, v10, vcc
	v_xor_b32_e32 v12, v4, v10
	v_xor_b32_e32 v11, v5, v10
	v_mad_u64_u32 v[4:5], s[0:1], v12, v8, 0
	v_mul_hi_u32 v9, v12, v3
	v_add_co_u32_e32 v13, vcc, v9, v4
	v_addc_co_u32_e32 v15, vcc, 0, v5, vcc
	v_mad_u64_u32 v[4:5], s[0:1], v11, v8, 0
	v_mad_u64_u32 v[8:9], s[0:1], v11, v3, 0
	v_add_co_u32_e32 v3, vcc, v13, v8
	v_addc_co_u32_e32 v3, vcc, v15, v9, vcc
	v_addc_co_u32_e32 v5, vcc, 0, v5, vcc
	v_add_co_u32_e32 v3, vcc, v3, v4
	v_addc_co_u32_e32 v8, vcc, 0, v5, vcc
	v_mul_lo_u32 v9, s35, v3
	v_mul_lo_u32 v13, s34, v8
	v_mad_u64_u32 v[4:5], s[0:1], s34, v3, 0
	v_add3_u32 v5, v5, v13, v9
	v_sub_u32_e32 v9, v11, v5
	v_mov_b32_e32 v13, s35
	v_sub_co_u32_e32 v4, vcc, v12, v4
	v_subb_co_u32_e64 v9, s[0:1], v9, v13, vcc
	v_subrev_co_u32_e64 v12, s[0:1], s34, v4
	v_subbrev_co_u32_e64 v9, s[0:1], 0, v9, s[0:1]
	v_cmp_le_u32_e64 s[0:1], s35, v9
	v_cndmask_b32_e64 v13, 0, -1, s[0:1]
	v_cmp_le_u32_e64 s[0:1], s34, v12
	v_cndmask_b32_e64 v12, 0, -1, s[0:1]
	v_cmp_eq_u32_e64 s[0:1], s35, v9
	v_cndmask_b32_e64 v9, v13, v12, s[0:1]
	v_add_co_u32_e64 v12, s[0:1], 2, v3
	v_subb_co_u32_e32 v5, vcc, v11, v5, vcc
	v_addc_co_u32_e64 v13, s[0:1], 0, v8, s[0:1]
	v_cmp_le_u32_e32 vcc, s35, v5
	v_add_co_u32_e64 v15, s[0:1], 1, v3
	v_cndmask_b32_e64 v11, 0, -1, vcc
	v_cmp_le_u32_e32 vcc, s34, v4
	v_addc_co_u32_e64 v16, s[0:1], 0, v8, s[0:1]
	v_cndmask_b32_e64 v4, 0, -1, vcc
	v_cmp_eq_u32_e32 vcc, s35, v5
	v_cmp_ne_u32_e64 s[0:1], 0, v9
	v_cndmask_b32_e32 v4, v11, v4, vcc
	v_cmp_ne_u32_e32 vcc, 0, v4
	v_cndmask_b32_e64 v5, v15, v12, s[0:1]
	v_cndmask_b32_e64 v9, v16, v13, s[0:1]
	v_cndmask_b32_e32 v3, v3, v5, vcc
	v_xor_b32_e32 v5, s30, v10
	v_cndmask_b32_e32 v4, v8, v9, vcc
	v_xor_b32_e32 v3, v3, v5
	v_xor_b32_e32 v4, v4, v5
	v_sub_co_u32_e32 v8, vcc, v3, v5
	v_subb_co_u32_e32 v9, vcc, v4, v5, vcc
.LBB2_9:                                ;   in Loop: Header=BB2_3 Depth=1
	s_andn2_saveexec_b64 s[0:1], s[28:29]
	s_cbranch_execz .LBB2_11
; %bb.10:                               ;   in Loop: Header=BB2_3 Depth=1
	v_cvt_f32_u32_e32 v3, s14
	s_sub_i32 s28, 0, s14
	v_mov_b32_e32 v9, v2
	v_rcp_iflag_f32_e32 v3, v3
	v_mul_f32_e32 v3, 0x4f7ffffe, v3
	v_cvt_u32_f32_e32 v3, v3
	v_mul_lo_u32 v4, s28, v3
	v_mul_hi_u32 v4, v3, v4
	v_add_u32_e32 v3, v3, v4
	v_mul_hi_u32 v3, v6, v3
	v_mul_lo_u32 v4, v3, s14
	v_sub_u32_e32 v4, v6, v4
	v_add_u32_e32 v5, 1, v3
	v_subrev_u32_e32 v8, s14, v4
	v_cmp_le_u32_e32 vcc, s14, v4
	v_cndmask_b32_e32 v4, v4, v8, vcc
	v_cndmask_b32_e32 v3, v3, v5, vcc
	v_add_u32_e32 v5, 1, v3
	v_cmp_le_u32_e32 vcc, s14, v4
	v_cndmask_b32_e32 v8, v3, v5, vcc
.LBB2_11:                               ;   in Loop: Header=BB2_3 Depth=1
	s_or_b64 exec, exec, s[0:1]
	v_mul_lo_u32 v3, v7, s2
	v_mul_lo_u32 v10, v6, s3
	v_mad_u64_u32 v[4:5], s[0:1], v6, s2, 0
	v_add3_u32 v3, v5, v10, v3
	v_sub_co_u32_e32 v4, vcc, v0, v4
	v_subb_co_u32_e32 v5, vcc, v1, v3, vcc
	v_mul_lo_u32 v3, v9, s14
	v_mul_lo_u32 v12, v8, s15
	v_mad_u64_u32 v[10:11], s[0:1], v8, s14, 0
	v_add3_u32 v3, v11, v12, v3
	v_sub_co_u32_e32 v15, vcc, v6, v10
	v_subb_co_u32_e32 v16, vcc, v7, v3, vcc
	v_sub_co_u32_e32 v6, vcc, v4, v15
	v_subb_co_u32_e32 v7, vcc, v5, v16, vcc
	v_add_co_u32_e32 v10, vcc, 4, v6
	v_addc_co_u32_e32 v11, vcc, 0, v7, vcc
	v_cmp_lt_i64_e32 vcc, s[8:9], v[10:11]
	s_and_saveexec_b64 s[28:29], vcc
	s_cbranch_execz .LBB2_2
; %bb.12:                               ;   in Loop: Header=BB2_3 Depth=1
	s_load_dwordx2 s[30:31], s[4:5], 0x0
	s_load_dwordx2 s[0:1], s[16:17], 0x0
	s_and_b64 vcc, exec, s[12:13]
	s_mov_b64 s[36:37], s[22:23]
	s_mov_b64 s[38:39], s[20:21]
	s_waitcnt lgkmcnt(0)
	v_mul_lo_u32 v3, s31, v4
	v_mul_lo_u32 v12, s30, v5
	v_mad_u64_u32 v[10:11], s[34:35], s30, v4, 0
	v_add3_u32 v11, v11, v12, v3
	v_mad_u64_u32 v[10:11], s[34:35], s0, v15, v[10:11]
	v_mul_lo_u32 v3, s0, v16
	v_mul_lo_u32 v12, s1, v15
	v_add3_u32 v11, v12, v11, v3
	s_mov_b64 s[34:35], s[24:25]
	s_cbranch_vccnz .LBB2_25
.LBB2_13:                               ;   in Loop: Header=BB2_3 Depth=1
	s_load_dwordx2 s[0:1], s[18:19], 0x0
	s_waitcnt lgkmcnt(0)
	v_cmp_gt_i64_e32 vcc, s[0:1], v[4:5]
	s_and_b64 exec, exec, vcc
	s_cbranch_execz .LBB2_2
; %bb.14:                               ;   in Loop: Header=BB2_3 Depth=1
	v_mov_b32_e32 v3, s7
	v_add_co_u32_e32 v8, vcc, s6, v10
	v_addc_co_u32_e32 v9, vcc, v3, v11, vcc
	v_cmp_lt_i64_e32 vcc, s[8:9], v[6:7]
	s_and_saveexec_b64 s[34:35], vcc
	s_cbranch_execz .LBB2_16
; %bb.15:                               ;   in Loop: Header=BB2_3 Depth=1
	global_store_byte v[8:9], v2, off
.LBB2_16:                               ;   in Loop: Header=BB2_3 Depth=1
	s_or_b64 exec, exec, s[34:35]
	v_add_co_u32_e32 v6, vcc, 1, v4
	v_addc_co_u32_e32 v7, vcc, 0, v5, vcc
	v_cmp_gt_i64_e32 vcc, s[0:1], v[6:7]
	s_and_b64 exec, exec, vcc
	s_cbranch_execz .LBB2_2
; %bb.17:                               ;   in Loop: Header=BB2_3 Depth=1
	v_sub_co_u32_e32 v6, vcc, v6, v15
	v_subb_co_u32_e32 v7, vcc, v7, v16, vcc
	v_cmp_lt_i64_e32 vcc, s[8:9], v[6:7]
	s_and_saveexec_b64 s[34:35], vcc
	s_cbranch_execz .LBB2_19
; %bb.18:                               ;   in Loop: Header=BB2_3 Depth=1
	v_mov_b32_e32 v3, s31
	v_add_co_u32_e32 v6, vcc, s30, v8
	v_addc_co_u32_e32 v7, vcc, v9, v3, vcc
	global_store_byte v[6:7], v2, off
.LBB2_19:                               ;   in Loop: Header=BB2_3 Depth=1
	s_or_b64 exec, exec, s[34:35]
	v_add_co_u32_e32 v6, vcc, 2, v4
	v_addc_co_u32_e32 v7, vcc, 0, v5, vcc
	v_cmp_gt_i64_e32 vcc, s[0:1], v[6:7]
	s_and_b64 exec, exec, vcc
	s_cbranch_execz .LBB2_2
; %bb.20:                               ;   in Loop: Header=BB2_3 Depth=1
	v_sub_co_u32_e32 v6, vcc, v6, v15
	v_subb_co_u32_e32 v7, vcc, v7, v16, vcc
	v_cmp_lt_i64_e32 vcc, s[8:9], v[6:7]
	s_and_saveexec_b64 s[34:35], vcc
	s_cbranch_execz .LBB2_22
; %bb.21:                               ;   in Loop: Header=BB2_3 Depth=1
	s_lshl_b64 s[36:37], s[30:31], 1
	v_mov_b32_e32 v3, s37
	v_add_co_u32_e32 v6, vcc, s36, v8
	v_addc_co_u32_e32 v7, vcc, v9, v3, vcc
	global_store_byte v[6:7], v2, off
.LBB2_22:                               ;   in Loop: Header=BB2_3 Depth=1
	s_or_b64 exec, exec, s[34:35]
	v_add_co_u32_e32 v4, vcc, 3, v4
	v_addc_co_u32_e32 v5, vcc, 0, v5, vcc
	v_cmp_gt_i64_e32 vcc, s[0:1], v[4:5]
	v_sub_co_u32_e64 v4, s[0:1], v4, v15
	v_subb_co_u32_e64 v5, s[0:1], v5, v16, s[0:1]
	v_cmp_lt_i64_e64 s[0:1], s[8:9], v[4:5]
	s_and_b64 s[0:1], vcc, s[0:1]
	s_and_b64 exec, exec, s[0:1]
	s_cbranch_execz .LBB2_2
; %bb.23:                               ;   in Loop: Header=BB2_3 Depth=1
	v_mad_u64_u32 v[4:5], s[0:1], s30, 3, v[8:9]
	v_mov_b32_e32 v6, v5
	v_mad_u64_u32 v[6:7], s[0:1], s31, 3, v[6:7]
	v_mov_b32_e32 v5, v6
	global_store_byte v[4:5], v2, off
	s_branch .LBB2_2
.LBB2_24:                               ;   in Loop: Header=BB2_25 Depth=2
	s_or_b64 exec, exec, s[0:1]
	v_mad_u64_u32 v[18:19], s[0:1], v12, s40, 0
	s_load_dwordx2 s[0:1], s[38:39], 0x0
	s_add_u32 s38, s38, -8
	s_addc_u32 s39, s39, -1
	v_mul_lo_u32 v3, v13, s40
	v_mul_lo_u32 v17, v12, s41
	s_add_u32 s36, s36, -8
	v_add3_u32 v3, v19, v17, v3
	v_sub_co_u32_e32 v8, vcc, v8, v18
	s_addc_u32 s37, s37, -1
	v_subb_co_u32_e32 v3, vcc, v9, v3, vcc
	s_add_u32 s34, s34, -1
	s_waitcnt lgkmcnt(0)
	v_mul_lo_u32 v3, s0, v3
	v_mul_lo_u32 v9, s1, v8
	v_mad_u64_u32 v[10:11], s[0:1], s0, v8, v[10:11]
	s_addc_u32 s35, s35, -1
	v_cmp_lt_i64_e64 s[0:1], s[34:35], 1
	v_add3_u32 v11, v9, v11, v3
	s_and_b64 vcc, exec, s[0:1]
	v_pk_mov_b32 v[8:9], v[12:13], v[12:13] op_sel:[0,1]
	s_cbranch_vccnz .LBB2_13
.LBB2_25:                               ;   Parent Loop BB2_3 Depth=1
                                        ; =>  This Inner Loop Header: Depth=2
	s_load_dwordx2 s[40:41], s[36:37], 0x0
                                        ; implicit-def: $vgpr12_vgpr13
	s_waitcnt lgkmcnt(0)
	v_or_b32_e32 v3, s41, v9
	v_cmp_ne_u64_e32 vcc, 0, v[2:3]
	s_and_saveexec_b64 s[0:1], vcc
	s_xor_b64 s[42:43], exec, s[0:1]
	s_cbranch_execz .LBB2_27
; %bb.26:                               ;   in Loop: Header=BB2_25 Depth=2
	s_ashr_i32 s44, s41, 31
	s_add_u32 s0, s40, s44
	s_mov_b32 s45, s44
	s_addc_u32 s1, s41, s44
	s_xor_b64 s[46:47], s[0:1], s[44:45]
	v_cvt_f32_u32_e32 v3, s46
	v_cvt_f32_u32_e32 v12, s47
	s_sub_u32 s0, 0, s46
	s_subb_u32 s1, 0, s47
	v_mac_f32_e32 v3, 0x4f800000, v12
	v_rcp_f32_e32 v3, v3
	v_mul_f32_e32 v3, 0x5f7ffffc, v3
	v_mul_f32_e32 v12, 0x2f800000, v3
	v_trunc_f32_e32 v12, v12
	v_mac_f32_e32 v3, 0xcf800000, v12
	v_cvt_u32_f32_e32 v12, v12
	v_cvt_u32_f32_e32 v3, v3
	v_mul_lo_u32 v13, s0, v12
	v_mul_hi_u32 v18, s0, v3
	v_mul_lo_u32 v17, s1, v3
	v_add_u32_e32 v13, v18, v13
	v_mul_lo_u32 v19, s0, v3
	v_add_u32_e32 v13, v13, v17
	v_mul_lo_u32 v18, v3, v13
	v_mul_hi_u32 v20, v3, v19
	v_mul_hi_u32 v17, v3, v13
	v_add_co_u32_e32 v18, vcc, v20, v18
	v_addc_co_u32_e32 v17, vcc, 0, v17, vcc
	v_mul_hi_u32 v21, v12, v19
	v_mul_lo_u32 v19, v12, v19
	v_add_co_u32_e32 v18, vcc, v18, v19
	v_mul_hi_u32 v20, v12, v13
	v_addc_co_u32_e32 v17, vcc, v17, v21, vcc
	v_addc_co_u32_e32 v18, vcc, 0, v20, vcc
	v_mul_lo_u32 v13, v12, v13
	v_add_co_u32_e32 v13, vcc, v17, v13
	v_addc_co_u32_e32 v17, vcc, 0, v18, vcc
	v_add_co_u32_e32 v3, vcc, v3, v13
	v_addc_co_u32_e32 v12, vcc, v12, v17, vcc
	v_mul_lo_u32 v13, s0, v12
	v_mul_hi_u32 v17, s0, v3
	v_add_u32_e32 v13, v17, v13
	v_mul_lo_u32 v17, s1, v3
	v_add_u32_e32 v13, v13, v17
	v_mul_lo_u32 v18, s0, v3
	v_mul_hi_u32 v19, v12, v18
	v_mul_lo_u32 v20, v12, v18
	v_mul_lo_u32 v22, v3, v13
	v_mul_hi_u32 v18, v3, v18
	v_mul_hi_u32 v21, v3, v13
	v_add_co_u32_e32 v18, vcc, v18, v22
	v_addc_co_u32_e32 v21, vcc, 0, v21, vcc
	v_add_co_u32_e32 v18, vcc, v18, v20
	v_mul_hi_u32 v17, v12, v13
	v_addc_co_u32_e32 v18, vcc, v21, v19, vcc
	v_addc_co_u32_e32 v17, vcc, 0, v17, vcc
	v_mul_lo_u32 v13, v12, v13
	v_add_co_u32_e32 v13, vcc, v18, v13
	v_addc_co_u32_e32 v17, vcc, 0, v17, vcc
	v_add_co_u32_e32 v3, vcc, v3, v13
	v_addc_co_u32_e32 v17, vcc, v12, v17, vcc
	v_ashrrev_i32_e32 v20, 31, v9
	v_add_co_u32_e32 v12, vcc, v8, v20
	v_addc_co_u32_e32 v13, vcc, v9, v20, vcc
	v_xor_b32_e32 v22, v12, v20
	v_xor_b32_e32 v21, v13, v20
	v_mad_u64_u32 v[12:13], s[0:1], v22, v17, 0
	v_mul_hi_u32 v18, v22, v3
	v_add_co_u32_e32 v23, vcc, v18, v12
	v_addc_co_u32_e32 v24, vcc, 0, v13, vcc
	v_mad_u64_u32 v[18:19], s[0:1], v21, v3, 0
	v_add_co_u32_e32 v3, vcc, v23, v18
	v_mad_u64_u32 v[12:13], s[0:1], v21, v17, 0
	v_addc_co_u32_e32 v3, vcc, v24, v19, vcc
	v_addc_co_u32_e32 v13, vcc, 0, v13, vcc
	v_add_co_u32_e32 v3, vcc, v3, v12
	v_addc_co_u32_e32 v17, vcc, 0, v13, vcc
	v_mul_lo_u32 v18, s47, v3
	v_mul_lo_u32 v19, s46, v17
	v_mad_u64_u32 v[12:13], s[0:1], s46, v3, 0
	v_add3_u32 v13, v13, v19, v18
	v_sub_u32_e32 v18, v21, v13
	v_mov_b32_e32 v19, s47
	v_sub_co_u32_e32 v12, vcc, v22, v12
	v_subb_co_u32_e64 v18, s[0:1], v18, v19, vcc
	v_subrev_co_u32_e64 v19, s[0:1], s46, v12
	v_subbrev_co_u32_e64 v18, s[0:1], 0, v18, s[0:1]
	v_cmp_le_u32_e64 s[0:1], s47, v18
	v_cndmask_b32_e64 v22, 0, -1, s[0:1]
	v_cmp_le_u32_e64 s[0:1], s46, v19
	v_cndmask_b32_e64 v19, 0, -1, s[0:1]
	v_cmp_eq_u32_e64 s[0:1], s47, v18
	v_cndmask_b32_e64 v18, v22, v19, s[0:1]
	v_add_co_u32_e64 v19, s[0:1], 2, v3
	v_subb_co_u32_e32 v13, vcc, v21, v13, vcc
	v_addc_co_u32_e64 v22, s[0:1], 0, v17, s[0:1]
	v_cmp_le_u32_e32 vcc, s47, v13
	v_add_co_u32_e64 v23, s[0:1], 1, v3
	v_cndmask_b32_e64 v21, 0, -1, vcc
	v_cmp_le_u32_e32 vcc, s46, v12
	v_addc_co_u32_e64 v24, s[0:1], 0, v17, s[0:1]
	v_cndmask_b32_e64 v12, 0, -1, vcc
	v_cmp_eq_u32_e32 vcc, s47, v13
	v_cmp_ne_u32_e64 s[0:1], 0, v18
	v_cndmask_b32_e32 v12, v21, v12, vcc
	v_cmp_ne_u32_e32 vcc, 0, v12
	v_cndmask_b32_e64 v13, v23, v19, s[0:1]
	v_cndmask_b32_e64 v18, v24, v22, s[0:1]
	v_cndmask_b32_e32 v3, v3, v13, vcc
	v_xor_b32_e32 v13, s44, v20
	v_cndmask_b32_e32 v12, v17, v18, vcc
	v_xor_b32_e32 v3, v3, v13
	v_xor_b32_e32 v17, v12, v13
	v_sub_co_u32_e32 v12, vcc, v3, v13
	v_subb_co_u32_e32 v13, vcc, v17, v13, vcc
.LBB2_27:                               ;   in Loop: Header=BB2_25 Depth=2
	s_andn2_saveexec_b64 s[0:1], s[42:43]
	s_cbranch_execz .LBB2_24
; %bb.28:                               ;   in Loop: Header=BB2_25 Depth=2
	v_cvt_f32_u32_e32 v3, s40
	s_sub_i32 s42, 0, s40
	v_rcp_iflag_f32_e32 v3, v3
	v_mul_f32_e32 v3, 0x4f7ffffe, v3
	v_cvt_u32_f32_e32 v3, v3
	v_mul_lo_u32 v12, s42, v3
	v_mul_hi_u32 v12, v3, v12
	v_add_u32_e32 v3, v3, v12
	v_mul_hi_u32 v3, v8, v3
	v_mul_lo_u32 v12, v3, s40
	v_sub_u32_e32 v12, v8, v12
	v_add_u32_e32 v13, 1, v3
	v_subrev_u32_e32 v17, s40, v12
	v_cmp_le_u32_e32 vcc, s40, v12
	v_cndmask_b32_e32 v12, v12, v17, vcc
	v_cndmask_b32_e32 v3, v3, v13, vcc
	v_add_u32_e32 v13, 1, v3
	v_cmp_le_u32_e32 vcc, s40, v12
	v_cndmask_b32_e32 v12, v3, v13, vcc
	v_mov_b32_e32 v13, v2
	s_branch .LBB2_24
.LBB2_29:
	s_endpgm
	.section	.rodata,"a",@progbits
	.p2align	6, 0x0
	.amdhsa_kernel _ZN2at6native16triu_tril_kernelIhlLb0ELi4ELb1EEEvNS_4cuda6detail10TensorInfoIT_T0_EENS4_IKS5_S6_EEllS6_
		.amdhsa_group_segment_fixed_size 0
		.amdhsa_private_segment_fixed_size 0
		.amdhsa_kernarg_size 1112
		.amdhsa_user_sgpr_count 6
		.amdhsa_user_sgpr_private_segment_buffer 1
		.amdhsa_user_sgpr_dispatch_ptr 0
		.amdhsa_user_sgpr_queue_ptr 0
		.amdhsa_user_sgpr_kernarg_segment_ptr 1
		.amdhsa_user_sgpr_dispatch_id 0
		.amdhsa_user_sgpr_flat_scratch_init 0
		.amdhsa_user_sgpr_kernarg_preload_length 0
		.amdhsa_user_sgpr_kernarg_preload_offset 0
		.amdhsa_user_sgpr_private_segment_size 0
		.amdhsa_uses_dynamic_stack 0
		.amdhsa_system_sgpr_private_segment_wavefront_offset 0
		.amdhsa_system_sgpr_workgroup_id_x 1
		.amdhsa_system_sgpr_workgroup_id_y 0
		.amdhsa_system_sgpr_workgroup_id_z 0
		.amdhsa_system_sgpr_workgroup_info 0
		.amdhsa_system_vgpr_workitem_id 0
		.amdhsa_next_free_vgpr 25
		.amdhsa_next_free_sgpr 49
		.amdhsa_accum_offset 28
		.amdhsa_reserve_vcc 1
		.amdhsa_reserve_flat_scratch 0
		.amdhsa_float_round_mode_32 0
		.amdhsa_float_round_mode_16_64 0
		.amdhsa_float_denorm_mode_32 3
		.amdhsa_float_denorm_mode_16_64 3
		.amdhsa_dx10_clamp 1
		.amdhsa_ieee_mode 1
		.amdhsa_fp16_overflow 0
		.amdhsa_tg_split 0
		.amdhsa_exception_fp_ieee_invalid_op 0
		.amdhsa_exception_fp_denorm_src 0
		.amdhsa_exception_fp_ieee_div_zero 0
		.amdhsa_exception_fp_ieee_overflow 0
		.amdhsa_exception_fp_ieee_underflow 0
		.amdhsa_exception_fp_ieee_inexact 0
		.amdhsa_exception_int_div_zero 0
	.end_amdhsa_kernel
	.section	.text._ZN2at6native16triu_tril_kernelIhlLb0ELi4ELb1EEEvNS_4cuda6detail10TensorInfoIT_T0_EENS4_IKS5_S6_EEllS6_,"axG",@progbits,_ZN2at6native16triu_tril_kernelIhlLb0ELi4ELb1EEEvNS_4cuda6detail10TensorInfoIT_T0_EENS4_IKS5_S6_EEllS6_,comdat
.Lfunc_end2:
	.size	_ZN2at6native16triu_tril_kernelIhlLb0ELi4ELb1EEEvNS_4cuda6detail10TensorInfoIT_T0_EENS4_IKS5_S6_EEllS6_, .Lfunc_end2-_ZN2at6native16triu_tril_kernelIhlLb0ELi4ELb1EEEvNS_4cuda6detail10TensorInfoIT_T0_EENS4_IKS5_S6_EEllS6_
                                        ; -- End function
	.section	.AMDGPU.csdata,"",@progbits
; Kernel info:
; codeLenInByte = 3344
; NumSgprs: 53
; NumVgprs: 25
; NumAgprs: 0
; TotalNumVgprs: 25
; ScratchSize: 0
; MemoryBound: 0
; FloatMode: 240
; IeeeMode: 1
; LDSByteSize: 0 bytes/workgroup (compile time only)
; SGPRBlocks: 6
; VGPRBlocks: 3
; NumSGPRsForWavesPerEU: 53
; NumVGPRsForWavesPerEU: 25
; AccumOffset: 28
; Occupancy: 8
; WaveLimiterHint : 0
; COMPUTE_PGM_RSRC2:SCRATCH_EN: 0
; COMPUTE_PGM_RSRC2:USER_SGPR: 6
; COMPUTE_PGM_RSRC2:TRAP_HANDLER: 0
; COMPUTE_PGM_RSRC2:TGID_X_EN: 1
; COMPUTE_PGM_RSRC2:TGID_Y_EN: 0
; COMPUTE_PGM_RSRC2:TGID_Z_EN: 0
; COMPUTE_PGM_RSRC2:TIDIG_COMP_CNT: 0
; COMPUTE_PGM_RSRC3_GFX90A:ACCUM_OFFSET: 6
; COMPUTE_PGM_RSRC3_GFX90A:TG_SPLIT: 0
	.section	.text._ZN2at6native16triu_tril_kernelIhlLb0ELi4ELb0EEEvNS_4cuda6detail10TensorInfoIT_T0_EENS4_IKS5_S6_EEllS6_,"axG",@progbits,_ZN2at6native16triu_tril_kernelIhlLb0ELi4ELb0EEEvNS_4cuda6detail10TensorInfoIT_T0_EENS4_IKS5_S6_EEllS6_,comdat
	.protected	_ZN2at6native16triu_tril_kernelIhlLb0ELi4ELb0EEEvNS_4cuda6detail10TensorInfoIT_T0_EENS4_IKS5_S6_EEllS6_ ; -- Begin function _ZN2at6native16triu_tril_kernelIhlLb0ELi4ELb0EEEvNS_4cuda6detail10TensorInfoIT_T0_EENS4_IKS5_S6_EEllS6_
	.globl	_ZN2at6native16triu_tril_kernelIhlLb0ELi4ELb0EEEvNS_4cuda6detail10TensorInfoIT_T0_EENS4_IKS5_S6_EEllS6_
	.p2align	8
	.type	_ZN2at6native16triu_tril_kernelIhlLb0ELi4ELb0EEEvNS_4cuda6detail10TensorInfoIT_T0_EENS4_IKS5_S6_EEllS6_,@function
_ZN2at6native16triu_tril_kernelIhlLb0ELi4ELb0EEEvNS_4cuda6detail10TensorInfoIT_T0_EENS4_IKS5_S6_EEllS6_: ; @_ZN2at6native16triu_tril_kernelIhlLb0ELi4ELb0EEEvNS_4cuda6detail10TensorInfoIT_T0_EENS4_IKS5_S6_EEllS6_
; %bb.0:
	s_load_dword s2, s[4:5], 0x364
	s_load_dwordx4 s[8:11], s[4:5], 0x340
	s_add_u32 s0, s4, 0x358
	v_mov_b32_e32 v2, 0
	s_addc_u32 s1, s5, 0
	s_waitcnt lgkmcnt(0)
	s_and_b32 s7, s2, 0xffff
	v_mov_b32_e32 v1, v2
	v_mov_b32_e32 v3, s6
	v_mad_u64_u32 v[0:1], s[2:3], s7, v3, v[0:1]
	v_lshlrev_b64 v[0:1], 2, v[0:1]
	s_mov_b32 s33, 0xffff
	v_cmp_gt_i64_e32 vcc, s[10:11], v[0:1]
	s_and_saveexec_b64 s[2:3], vcc
	s_cbranch_execz .LBB3_32
; %bb.1:
	s_load_dword s6, s[0:1], 0x0
	s_load_dwordx2 s[2:3], s[4:5], 0x350
	s_load_dword s26, s[4:5], 0x338
	s_add_u32 s12, s4, 0x1a0
	s_addc_u32 s13, s5, 0
	s_waitcnt lgkmcnt(0)
	s_mul_i32 s28, s6, s7
	v_cvt_f32_u32_e32 v3, s2
	s_ashr_i32 s27, s26, 31
	s_add_u32 s30, s4, 0x1a8
	s_addc_u32 s31, s5, 0
	s_lshl_b64 s[0:1], s[26:27], 3
	s_add_u32 s22, s0, -16
	s_addc_u32 s23, s1, -1
	s_add_u32 s0, s30, s22
	s_addc_u32 s1, s31, s23
	s_add_u32 s20, s12, s22
	s_addc_u32 s21, s13, s23
	v_cmp_gt_i64_e64 s[24:25], s[26:27], 2
	s_add_u32 s27, s4, 0xd0
	s_addc_u32 s34, s5, 0
	s_load_dwordx4 s[12:15], s[0:1], 0x0
	s_load_dwordx4 s[16:19], s[20:21], 0xd0
	s_add_u32 s0, s27, s22
	s_addc_u32 s1, s34, s23
	s_load_dwordx2 s[6:7], s[4:5], 0x1a0
	s_load_dwordx4 s[20:23], s[0:1], 0x0
	v_rcp_iflag_f32_e32 v3, v3
	s_load_dwordx2 s[4:5], s[4:5], 0x0
	s_add_i32 s0, s26, -3
	s_ashr_i32 s1, s0, 31
	s_lshl_b32 s50, s28, 2
	s_lshl_b64 s[28:29], s[0:1], 3
	s_add_u32 s26, s27, s28
	s_addc_u32 s27, s34, s29
	v_mul_f32_e32 v3, 0x4f7ffffe, v3
	s_add_u32 s28, s30, s28
	v_cvt_u32_f32_e32 v14, v3
	s_addc_u32 s29, s31, s29
	s_add_u32 s30, s0, 1
	s_mov_b32 s51, 0
	s_addc_u32 s31, s1, 0
	s_mov_b64 s[34:35], 0
	s_branch .LBB3_3
.LBB3_2:                                ;   in Loop: Header=BB3_3 Depth=1
	s_or_b64 exec, exec, s[0:1]
	v_mov_b32_e32 v3, s51
	v_add_co_u32_e32 v0, vcc, s50, v0
	v_addc_co_u32_e32 v1, vcc, v1, v3, vcc
	v_cmp_le_i64_e32 vcc, s[10:11], v[0:1]
	s_or_b64 s[34:35], vcc, s[34:35]
	s_andn2_b64 exec, exec, s[34:35]
	s_cbranch_execz .LBB3_32
.LBB3_3:                                ; =>This Loop Header: Depth=1
                                        ;     Child Loop BB3_28 Depth 2
	v_or_b32_e32 v3, s3, v1
	v_cmp_ne_u64_e32 vcc, 0, v[2:3]
                                        ; implicit-def: $vgpr6_vgpr7
	s_and_saveexec_b64 s[0:1], vcc
	s_xor_b64 s[36:37], exec, s[0:1]
	s_cbranch_execz .LBB3_5
; %bb.4:                                ;   in Loop: Header=BB3_3 Depth=1
	s_ashr_i32 s38, s3, 31
	s_add_u32 s0, s2, s38
	s_mov_b32 s39, s38
	s_addc_u32 s1, s3, s38
	s_xor_b64 s[40:41], s[0:1], s[38:39]
	v_cvt_f32_u32_e32 v3, s40
	v_cvt_f32_u32_e32 v4, s41
	s_sub_u32 s0, 0, s40
	s_subb_u32 s1, 0, s41
	v_mac_f32_e32 v3, 0x4f800000, v4
	v_rcp_f32_e32 v3, v3
	v_mul_f32_e32 v3, 0x5f7ffffc, v3
	v_mul_f32_e32 v4, 0x2f800000, v3
	v_trunc_f32_e32 v4, v4
	v_mac_f32_e32 v3, 0xcf800000, v4
	v_cvt_u32_f32_e32 v4, v4
	v_cvt_u32_f32_e32 v3, v3
	v_mul_lo_u32 v5, s0, v4
	v_mul_hi_u32 v7, s0, v3
	v_mul_lo_u32 v6, s1, v3
	v_add_u32_e32 v5, v7, v5
	v_mul_lo_u32 v8, s0, v3
	v_add_u32_e32 v5, v5, v6
	v_mul_lo_u32 v7, v3, v5
	v_mul_hi_u32 v9, v3, v8
	v_mul_hi_u32 v6, v3, v5
	v_add_co_u32_e32 v7, vcc, v9, v7
	v_addc_co_u32_e32 v6, vcc, 0, v6, vcc
	v_mul_hi_u32 v10, v4, v8
	v_mul_lo_u32 v8, v4, v8
	v_add_co_u32_e32 v7, vcc, v7, v8
	v_mul_hi_u32 v9, v4, v5
	v_addc_co_u32_e32 v6, vcc, v6, v10, vcc
	v_addc_co_u32_e32 v7, vcc, 0, v9, vcc
	v_mul_lo_u32 v5, v4, v5
	v_add_co_u32_e32 v5, vcc, v6, v5
	v_addc_co_u32_e32 v6, vcc, 0, v7, vcc
	v_add_co_u32_e32 v3, vcc, v3, v5
	v_addc_co_u32_e32 v4, vcc, v4, v6, vcc
	v_mul_lo_u32 v5, s0, v4
	v_mul_hi_u32 v6, s0, v3
	v_add_u32_e32 v5, v6, v5
	v_mul_lo_u32 v6, s1, v3
	v_add_u32_e32 v5, v5, v6
	v_mul_lo_u32 v7, s0, v3
	v_mul_hi_u32 v8, v4, v7
	v_mul_lo_u32 v9, v4, v7
	v_mul_lo_u32 v11, v3, v5
	v_mul_hi_u32 v7, v3, v7
	v_mul_hi_u32 v10, v3, v5
	v_add_co_u32_e32 v7, vcc, v7, v11
	v_addc_co_u32_e32 v10, vcc, 0, v10, vcc
	v_add_co_u32_e32 v7, vcc, v7, v9
	v_mul_hi_u32 v6, v4, v5
	v_addc_co_u32_e32 v7, vcc, v10, v8, vcc
	v_addc_co_u32_e32 v6, vcc, 0, v6, vcc
	v_mul_lo_u32 v5, v4, v5
	v_add_co_u32_e32 v5, vcc, v7, v5
	v_addc_co_u32_e32 v6, vcc, 0, v6, vcc
	v_add_co_u32_e32 v3, vcc, v3, v5
	v_addc_co_u32_e32 v6, vcc, v4, v6, vcc
	v_ashrrev_i32_e32 v8, 31, v1
	v_add_co_u32_e32 v4, vcc, v0, v8
	v_addc_co_u32_e32 v5, vcc, v1, v8, vcc
	v_xor_b32_e32 v10, v4, v8
	v_xor_b32_e32 v9, v5, v8
	v_mad_u64_u32 v[4:5], s[0:1], v10, v6, 0
	v_mul_hi_u32 v7, v10, v3
	v_add_co_u32_e32 v11, vcc, v7, v4
	v_addc_co_u32_e32 v12, vcc, 0, v5, vcc
	v_mad_u64_u32 v[4:5], s[0:1], v9, v6, 0
	v_mad_u64_u32 v[6:7], s[0:1], v9, v3, 0
	v_add_co_u32_e32 v3, vcc, v11, v6
	v_addc_co_u32_e32 v3, vcc, v12, v7, vcc
	v_addc_co_u32_e32 v5, vcc, 0, v5, vcc
	v_add_co_u32_e32 v3, vcc, v3, v4
	v_addc_co_u32_e32 v6, vcc, 0, v5, vcc
	v_mul_lo_u32 v7, s41, v3
	v_mul_lo_u32 v11, s40, v6
	v_mad_u64_u32 v[4:5], s[0:1], s40, v3, 0
	v_add3_u32 v5, v5, v11, v7
	v_sub_u32_e32 v7, v9, v5
	v_mov_b32_e32 v11, s41
	v_sub_co_u32_e32 v4, vcc, v10, v4
	v_subb_co_u32_e64 v7, s[0:1], v7, v11, vcc
	v_subrev_co_u32_e64 v10, s[0:1], s40, v4
	v_subbrev_co_u32_e64 v7, s[0:1], 0, v7, s[0:1]
	v_cmp_le_u32_e64 s[0:1], s41, v7
	v_cndmask_b32_e64 v11, 0, -1, s[0:1]
	v_cmp_le_u32_e64 s[0:1], s40, v10
	v_cndmask_b32_e64 v10, 0, -1, s[0:1]
	v_cmp_eq_u32_e64 s[0:1], s41, v7
	v_cndmask_b32_e64 v7, v11, v10, s[0:1]
	v_add_co_u32_e64 v10, s[0:1], 2, v3
	v_subb_co_u32_e32 v5, vcc, v9, v5, vcc
	v_addc_co_u32_e64 v11, s[0:1], 0, v6, s[0:1]
	v_cmp_le_u32_e32 vcc, s41, v5
	v_add_co_u32_e64 v12, s[0:1], 1, v3
	v_cndmask_b32_e64 v9, 0, -1, vcc
	v_cmp_le_u32_e32 vcc, s40, v4
	v_addc_co_u32_e64 v13, s[0:1], 0, v6, s[0:1]
	v_cndmask_b32_e64 v4, 0, -1, vcc
	v_cmp_eq_u32_e32 vcc, s41, v5
	v_cmp_ne_u32_e64 s[0:1], 0, v7
	v_cndmask_b32_e32 v4, v9, v4, vcc
	v_cmp_ne_u32_e32 vcc, 0, v4
	v_cndmask_b32_e64 v5, v12, v10, s[0:1]
	v_cndmask_b32_e64 v7, v13, v11, s[0:1]
	v_cndmask_b32_e32 v3, v3, v5, vcc
	v_xor_b32_e32 v5, s38, v8
	v_cndmask_b32_e32 v4, v6, v7, vcc
	v_xor_b32_e32 v3, v3, v5
	v_xor_b32_e32 v4, v4, v5
	v_sub_co_u32_e32 v6, vcc, v3, v5
	v_subb_co_u32_e32 v7, vcc, v4, v5, vcc
.LBB3_5:                                ;   in Loop: Header=BB3_3 Depth=1
	s_andn2_saveexec_b64 s[0:1], s[36:37]
	s_cbranch_execz .LBB3_7
; %bb.6:                                ;   in Loop: Header=BB3_3 Depth=1
	s_sub_i32 s36, 0, s2
	v_mul_lo_u32 v3, s36, v14
	v_mul_hi_u32 v3, v14, v3
	v_add_u32_e32 v3, v14, v3
	v_mul_hi_u32 v3, v0, v3
	v_mul_lo_u32 v4, v3, s2
	v_sub_u32_e32 v4, v0, v4
	v_subrev_u32_e32 v5, s2, v4
	v_cmp_le_u32_e32 vcc, s2, v4
	v_cndmask_b32_e32 v4, v4, v5, vcc
	v_add_u32_e32 v5, 1, v3
	v_cndmask_b32_e32 v3, v3, v5, vcc
	v_add_u32_e32 v5, 1, v3
	v_cmp_le_u32_e32 vcc, s2, v4
	v_cndmask_b32_e32 v6, v3, v5, vcc
	v_mov_b32_e32 v7, v2
.LBB3_7:                                ;   in Loop: Header=BB3_3 Depth=1
	s_or_b64 exec, exec, s[0:1]
	s_waitcnt lgkmcnt(0)
	v_or_b32_e32 v3, s13, v7
	v_cmp_ne_u64_e32 vcc, 0, v[2:3]
                                        ; implicit-def: $vgpr10_vgpr11
	s_and_saveexec_b64 s[0:1], vcc
	s_xor_b64 s[36:37], exec, s[0:1]
	s_cbranch_execz .LBB3_9
; %bb.8:                                ;   in Loop: Header=BB3_3 Depth=1
	s_ashr_i32 s38, s13, 31
	s_add_u32 s0, s12, s38
	s_mov_b32 s39, s38
	s_addc_u32 s1, s13, s38
	s_xor_b64 s[40:41], s[0:1], s[38:39]
	v_cvt_f32_u32_e32 v3, s40
	v_cvt_f32_u32_e32 v4, s41
	s_sub_u32 s0, 0, s40
	s_subb_u32 s1, 0, s41
	v_mac_f32_e32 v3, 0x4f800000, v4
	v_rcp_f32_e32 v3, v3
	v_mul_f32_e32 v3, 0x5f7ffffc, v3
	v_mul_f32_e32 v4, 0x2f800000, v3
	v_trunc_f32_e32 v4, v4
	v_mac_f32_e32 v3, 0xcf800000, v4
	v_cvt_u32_f32_e32 v4, v4
	v_cvt_u32_f32_e32 v3, v3
	v_mul_lo_u32 v5, s0, v4
	v_mul_hi_u32 v9, s0, v3
	v_mul_lo_u32 v8, s1, v3
	v_add_u32_e32 v5, v9, v5
	v_mul_lo_u32 v10, s0, v3
	v_add_u32_e32 v5, v5, v8
	v_mul_lo_u32 v9, v3, v5
	v_mul_hi_u32 v11, v3, v10
	v_mul_hi_u32 v8, v3, v5
	v_add_co_u32_e32 v9, vcc, v11, v9
	v_addc_co_u32_e32 v8, vcc, 0, v8, vcc
	v_mul_hi_u32 v12, v4, v10
	v_mul_lo_u32 v10, v4, v10
	v_add_co_u32_e32 v9, vcc, v9, v10
	v_mul_hi_u32 v11, v4, v5
	v_addc_co_u32_e32 v8, vcc, v8, v12, vcc
	v_addc_co_u32_e32 v9, vcc, 0, v11, vcc
	v_mul_lo_u32 v5, v4, v5
	v_add_co_u32_e32 v5, vcc, v8, v5
	v_addc_co_u32_e32 v8, vcc, 0, v9, vcc
	v_add_co_u32_e32 v3, vcc, v3, v5
	v_addc_co_u32_e32 v4, vcc, v4, v8, vcc
	v_mul_lo_u32 v5, s0, v4
	v_mul_hi_u32 v8, s0, v3
	v_add_u32_e32 v5, v8, v5
	v_mul_lo_u32 v8, s1, v3
	v_add_u32_e32 v5, v5, v8
	v_mul_lo_u32 v9, s0, v3
	v_mul_hi_u32 v10, v4, v9
	v_mul_lo_u32 v11, v4, v9
	v_mul_lo_u32 v13, v3, v5
	v_mul_hi_u32 v9, v3, v9
	v_mul_hi_u32 v12, v3, v5
	v_add_co_u32_e32 v9, vcc, v9, v13
	v_addc_co_u32_e32 v12, vcc, 0, v12, vcc
	v_add_co_u32_e32 v9, vcc, v9, v11
	v_mul_hi_u32 v8, v4, v5
	v_addc_co_u32_e32 v9, vcc, v12, v10, vcc
	v_addc_co_u32_e32 v8, vcc, 0, v8, vcc
	v_mul_lo_u32 v5, v4, v5
	v_add_co_u32_e32 v5, vcc, v9, v5
	v_addc_co_u32_e32 v8, vcc, 0, v8, vcc
	v_add_co_u32_e32 v3, vcc, v3, v5
	v_addc_co_u32_e32 v8, vcc, v4, v8, vcc
	v_ashrrev_i32_e32 v10, 31, v7
	v_add_co_u32_e32 v4, vcc, v6, v10
	v_addc_co_u32_e32 v5, vcc, v7, v10, vcc
	v_xor_b32_e32 v12, v4, v10
	v_xor_b32_e32 v11, v5, v10
	v_mad_u64_u32 v[4:5], s[0:1], v12, v8, 0
	v_mul_hi_u32 v9, v12, v3
	v_add_co_u32_e32 v13, vcc, v9, v4
	v_addc_co_u32_e32 v15, vcc, 0, v5, vcc
	v_mad_u64_u32 v[4:5], s[0:1], v11, v8, 0
	v_mad_u64_u32 v[8:9], s[0:1], v11, v3, 0
	v_add_co_u32_e32 v3, vcc, v13, v8
	v_addc_co_u32_e32 v3, vcc, v15, v9, vcc
	v_addc_co_u32_e32 v5, vcc, 0, v5, vcc
	v_add_co_u32_e32 v3, vcc, v3, v4
	v_addc_co_u32_e32 v8, vcc, 0, v5, vcc
	v_mul_lo_u32 v9, s41, v3
	v_mul_lo_u32 v13, s40, v8
	v_mad_u64_u32 v[4:5], s[0:1], s40, v3, 0
	v_add3_u32 v5, v5, v13, v9
	v_sub_u32_e32 v9, v11, v5
	v_mov_b32_e32 v13, s41
	v_sub_co_u32_e32 v4, vcc, v12, v4
	v_subb_co_u32_e64 v9, s[0:1], v9, v13, vcc
	v_subrev_co_u32_e64 v12, s[0:1], s40, v4
	v_subbrev_co_u32_e64 v9, s[0:1], 0, v9, s[0:1]
	v_cmp_le_u32_e64 s[0:1], s41, v9
	v_cndmask_b32_e64 v13, 0, -1, s[0:1]
	v_cmp_le_u32_e64 s[0:1], s40, v12
	v_cndmask_b32_e64 v12, 0, -1, s[0:1]
	v_cmp_eq_u32_e64 s[0:1], s41, v9
	v_cndmask_b32_e64 v9, v13, v12, s[0:1]
	v_add_co_u32_e64 v12, s[0:1], 2, v3
	v_subb_co_u32_e32 v5, vcc, v11, v5, vcc
	v_addc_co_u32_e64 v13, s[0:1], 0, v8, s[0:1]
	v_cmp_le_u32_e32 vcc, s41, v5
	v_add_co_u32_e64 v15, s[0:1], 1, v3
	v_cndmask_b32_e64 v11, 0, -1, vcc
	v_cmp_le_u32_e32 vcc, s40, v4
	v_addc_co_u32_e64 v16, s[0:1], 0, v8, s[0:1]
	v_cndmask_b32_e64 v4, 0, -1, vcc
	v_cmp_eq_u32_e32 vcc, s41, v5
	v_cmp_ne_u32_e64 s[0:1], 0, v9
	v_cndmask_b32_e32 v4, v11, v4, vcc
	v_cmp_ne_u32_e32 vcc, 0, v4
	v_cndmask_b32_e64 v5, v15, v12, s[0:1]
	v_cndmask_b32_e64 v9, v16, v13, s[0:1]
	v_cndmask_b32_e32 v3, v3, v5, vcc
	v_xor_b32_e32 v5, s38, v10
	v_cndmask_b32_e32 v4, v8, v9, vcc
	v_xor_b32_e32 v3, v3, v5
	v_xor_b32_e32 v4, v4, v5
	v_sub_co_u32_e32 v10, vcc, v3, v5
	v_subb_co_u32_e32 v11, vcc, v4, v5, vcc
.LBB3_9:                                ;   in Loop: Header=BB3_3 Depth=1
	s_andn2_saveexec_b64 s[0:1], s[36:37]
	s_cbranch_execz .LBB3_11
; %bb.10:                               ;   in Loop: Header=BB3_3 Depth=1
	v_cvt_f32_u32_e32 v3, s12
	s_sub_i32 s36, 0, s12
	v_mov_b32_e32 v11, v2
	v_rcp_iflag_f32_e32 v3, v3
	v_mul_f32_e32 v3, 0x4f7ffffe, v3
	v_cvt_u32_f32_e32 v3, v3
	v_mul_lo_u32 v4, s36, v3
	v_mul_hi_u32 v4, v3, v4
	v_add_u32_e32 v3, v3, v4
	v_mul_hi_u32 v3, v6, v3
	v_mul_lo_u32 v4, v3, s12
	v_sub_u32_e32 v4, v6, v4
	v_add_u32_e32 v5, 1, v3
	v_subrev_u32_e32 v8, s12, v4
	v_cmp_le_u32_e32 vcc, s12, v4
	v_cndmask_b32_e32 v4, v4, v8, vcc
	v_cndmask_b32_e32 v3, v3, v5, vcc
	v_add_u32_e32 v5, 1, v3
	v_cmp_le_u32_e32 vcc, s12, v4
	v_cndmask_b32_e32 v10, v3, v5, vcc
.LBB3_11:                               ;   in Loop: Header=BB3_3 Depth=1
	s_or_b64 exec, exec, s[0:1]
	v_mul_lo_u32 v3, v7, s2
	v_mul_lo_u32 v8, v6, s3
	v_mad_u64_u32 v[4:5], s[0:1], v6, s2, 0
	v_add3_u32 v3, v5, v8, v3
	v_sub_co_u32_e32 v4, vcc, v0, v4
	v_subb_co_u32_e32 v5, vcc, v1, v3, vcc
	v_mul_lo_u32 v3, v11, s12
	v_mul_lo_u32 v12, v10, s13
	v_mad_u64_u32 v[8:9], s[0:1], v10, s12, 0
	v_add3_u32 v3, v9, v12, v3
	v_sub_co_u32_e32 v15, vcc, v6, v8
	v_subb_co_u32_e32 v16, vcc, v7, v3, vcc
	v_mul_lo_u32 v3, s19, v4
	v_mul_lo_u32 v8, s18, v5
	v_mad_u64_u32 v[6:7], s[0:1], s18, v4, 0
	v_add3_u32 v7, v7, v8, v3
	v_mul_lo_u32 v3, s23, v4
	v_mul_lo_u32 v8, s22, v5
	v_mad_u64_u32 v[12:13], s[0:1], s22, v4, 0
	v_add3_u32 v13, v13, v8, v3
	v_mad_u64_u32 v[8:9], s[0:1], s16, v15, v[6:7]
	v_mul_lo_u32 v3, s16, v16
	v_mul_lo_u32 v6, s17, v15
	v_add3_u32 v9, v6, v9, v3
	v_mad_u64_u32 v[6:7], s[0:1], s20, v15, v[12:13]
	v_mul_lo_u32 v3, s20, v16
	v_mul_lo_u32 v12, s21, v15
	v_add3_u32 v7, v12, v7, v3
	s_and_b64 vcc, exec, s[24:25]
	s_mov_b64 s[36:37], s[30:31]
	s_mov_b64 s[38:39], s[28:29]
	;; [unrolled: 1-line block ×3, first 2 shown]
	s_cbranch_vccnz .LBB3_28
.LBB3_12:                               ;   in Loop: Header=BB3_3 Depth=1
	v_sub_co_u32_e32 v10, vcc, v4, v15
	v_subb_co_u32_e32 v11, vcc, v5, v16, vcc
	v_cmp_ge_i64_e32 vcc, s[8:9], v[10:11]
	v_mov_b32_e32 v3, 0
	s_and_saveexec_b64 s[0:1], vcc
	s_cbranch_execz .LBB3_22
; %bb.13:                               ;   in Loop: Header=BB3_3 Depth=1
	v_cmp_gt_i64_e32 vcc, s[14:15], v[4:5]
	v_mov_b32_e32 v3, 0
	s_and_saveexec_b64 s[36:37], vcc
	s_cbranch_execz .LBB3_21
; %bb.14:                               ;   in Loop: Header=BB3_3 Depth=1
	v_mov_b32_e32 v3, s7
	v_add_co_u32_e32 v8, vcc, s6, v8
	v_addc_co_u32_e32 v9, vcc, v3, v9, vcc
	global_load_ubyte v3, v[8:9], off
	v_add_co_u32_e32 v12, vcc, 1, v4
	v_addc_co_u32_e32 v13, vcc, 0, v5, vcc
	v_cmp_gt_i64_e32 vcc, s[14:15], v[12:13]
	s_and_saveexec_b64 s[38:39], vcc
	s_xor_b64 s[38:39], exec, s[38:39]
	s_cbranch_execz .LBB3_20
; %bb.15:                               ;   in Loop: Header=BB3_3 Depth=1
	v_mov_b32_e32 v12, s19
	v_add_co_u32_e32 v8, vcc, s18, v8
	v_addc_co_u32_e32 v9, vcc, v9, v12, vcc
	global_load_ubyte v15, v[8:9], off
	v_add_co_u32_e32 v12, vcc, 2, v4
	v_addc_co_u32_e32 v13, vcc, 0, v5, vcc
	v_cmp_gt_i64_e32 vcc, s[14:15], v[12:13]
	s_waitcnt vmcnt(0)
	v_lshlrev_b16_e32 v15, 8, v15
	v_or_b32_e32 v3, v3, v15
	v_and_b32_e32 v3, 0xffff, v3
	s_and_saveexec_b64 s[40:41], vcc
	s_xor_b64 s[40:41], exec, s[40:41]
	s_cbranch_execz .LBB3_19
; %bb.16:                               ;   in Loop: Header=BB3_3 Depth=1
	v_mov_b32_e32 v12, s19
	v_add_co_u32_e32 v8, vcc, s18, v8
	v_addc_co_u32_e32 v9, vcc, v9, v12, vcc
	global_load_ubyte v15, v[8:9], off
	v_add_co_u32_e32 v12, vcc, 3, v4
	v_addc_co_u32_e32 v13, vcc, 0, v5, vcc
	v_cmp_gt_i64_e32 vcc, s[14:15], v[12:13]
	s_waitcnt vmcnt(0)
	v_lshl_or_b32 v3, v15, 16, v3
	s_and_saveexec_b64 s[42:43], vcc
	s_xor_b64 s[42:43], exec, s[42:43]
	s_cbranch_execz .LBB3_18
; %bb.17:                               ;   in Loop: Header=BB3_3 Depth=1
	v_mov_b32_e32 v12, s19
	v_add_co_u32_e32 v8, vcc, s18, v8
	v_addc_co_u32_e32 v9, vcc, v9, v12, vcc
	global_load_ubyte v8, v[8:9], off
	s_waitcnt vmcnt(0)
	v_lshlrev_b16_e32 v8, 8, v8
	v_or_b32_sdwa v8, v3, v8 dst_sel:WORD_1 dst_unused:UNUSED_PAD src0_sel:WORD_1 src1_sel:DWORD
	v_and_or_b32 v3, v3, s33, v8
.LBB3_18:                               ;   in Loop: Header=BB3_3 Depth=1
	s_or_b64 exec, exec, s[42:43]
.LBB3_19:                               ;   in Loop: Header=BB3_3 Depth=1
	s_or_b64 exec, exec, s[40:41]
.LBB3_20:                               ;   in Loop: Header=BB3_3 Depth=1
	s_or_b64 exec, exec, s[38:39]
.LBB3_21:                               ;   in Loop: Header=BB3_3 Depth=1
	s_or_b64 exec, exec, s[36:37]
	v_add_co_u32_e32 v8, vcc, 1, v10
	v_addc_co_u32_e32 v9, vcc, 0, v11, vcc
	s_waitcnt vmcnt(0)
	v_lshrrev_b32_e32 v13, 8, v3
	v_cmp_ge_i64_e32 vcc, s[8:9], v[8:9]
	v_cndmask_b32_e32 v8, 0, v13, vcc
	v_lshlrev_b16_e32 v8, 8, v8
	v_or_b32_sdwa v13, v3, v8 dst_sel:DWORD dst_unused:UNUSED_PAD src0_sel:BYTE_0 src1_sel:DWORD
	v_add_co_u32_e32 v8, vcc, 2, v10
	v_addc_co_u32_e32 v9, vcc, 0, v11, vcc
	v_lshrrev_b32_e32 v12, 16, v3
	v_cmp_ge_i64_e32 vcc, s[8:9], v[8:9]
	v_cndmask_b32_e32 v12, 0, v12, vcc
	v_add_co_u32_e32 v8, vcc, 3, v10
	v_addc_co_u32_e32 v9, vcc, 0, v11, vcc
	v_lshrrev_b32_e32 v3, 24, v3
	v_cmp_ge_i64_e32 vcc, s[8:9], v[8:9]
	v_cndmask_b32_e32 v3, 0, v3, vcc
	v_lshlrev_b16_e32 v3, 8, v3
	v_or_b32_sdwa v3, v12, v3 dst_sel:WORD_1 dst_unused:UNUSED_PAD src0_sel:BYTE_0 src1_sel:DWORD
	v_or_b32_sdwa v3, v13, v3 dst_sel:DWORD dst_unused:UNUSED_PAD src0_sel:WORD_0 src1_sel:DWORD
.LBB3_22:                               ;   in Loop: Header=BB3_3 Depth=1
	s_or_b64 exec, exec, s[0:1]
	v_cmp_gt_i64_e32 vcc, s[14:15], v[4:5]
	s_and_saveexec_b64 s[0:1], vcc
	s_cbranch_execz .LBB3_2
; %bb.23:                               ;   in Loop: Header=BB3_3 Depth=1
	v_mov_b32_e32 v8, s5
	v_add_co_u32_e32 v6, vcc, s4, v6
	v_addc_co_u32_e32 v7, vcc, v8, v7, vcc
	v_add_co_u32_e32 v8, vcc, 1, v4
	v_addc_co_u32_e32 v9, vcc, 0, v5, vcc
	v_cmp_gt_i64_e32 vcc, s[14:15], v[8:9]
	global_store_byte v[6:7], v3, off
	s_and_saveexec_b64 s[36:37], vcc
	s_xor_b64 s[36:37], exec, s[36:37]
	s_cbranch_execz .LBB3_2
; %bb.24:                               ;   in Loop: Header=BB3_3 Depth=1
	v_mov_b32_e32 v9, s23
	v_add_co_u32_e32 v6, vcc, s22, v6
	v_lshrrev_b32_e32 v8, 8, v3
	v_addc_co_u32_e32 v7, vcc, v7, v9, vcc
	global_store_byte v[6:7], v8, off
	v_add_co_u32_e32 v8, vcc, 2, v4
	v_addc_co_u32_e32 v9, vcc, 0, v5, vcc
	v_cmp_gt_i64_e32 vcc, s[14:15], v[8:9]
	s_and_saveexec_b64 s[36:37], vcc
	s_xor_b64 s[36:37], exec, s[36:37]
	s_cbranch_execz .LBB3_2
; %bb.25:                               ;   in Loop: Header=BB3_3 Depth=1
	v_mov_b32_e32 v8, s23
	v_add_co_u32_e32 v6, vcc, s22, v6
	v_addc_co_u32_e32 v7, vcc, v7, v8, vcc
	v_add_co_u32_e32 v4, vcc, 3, v4
	v_addc_co_u32_e32 v5, vcc, 0, v5, vcc
	v_cmp_gt_i64_e32 vcc, s[14:15], v[4:5]
	global_store_byte_d16_hi v[6:7], v3, off
	s_and_saveexec_b64 s[36:37], vcc
	s_xor_b64 s[36:37], exec, s[36:37]
	s_cbranch_execz .LBB3_2
; %bb.26:                               ;   in Loop: Header=BB3_3 Depth=1
	v_mov_b32_e32 v5, s23
	v_add_co_u32_e32 v4, vcc, s22, v6
	v_lshrrev_b32_e32 v3, 24, v3
	v_addc_co_u32_e32 v5, vcc, v7, v5, vcc
	global_store_byte v[4:5], v3, off
	s_branch .LBB3_2
.LBB3_27:                               ;   in Loop: Header=BB3_28 Depth=2
	s_or_b64 exec, exec, s[0:1]
	v_mad_u64_u32 v[18:19], s[0:1], v12, s42, 0
	v_mul_lo_u32 v3, v13, s42
	v_mul_lo_u32 v17, v12, s43
	s_load_dwordx2 s[0:1], s[38:39], 0xc8
	s_load_dwordx2 s[42:43], s[40:41], 0x0
	s_add_u32 s40, s40, -8
	s_addc_u32 s41, s41, -1
	s_add_u32 s38, s38, -8
	v_add3_u32 v3, v19, v17, v3
	v_sub_co_u32_e32 v10, vcc, v10, v18
	s_addc_u32 s39, s39, -1
	v_subb_co_u32_e32 v3, vcc, v11, v3, vcc
	s_add_u32 s36, s36, -1
	s_waitcnt lgkmcnt(0)
	v_mul_lo_u32 v11, s0, v3
	v_mul_lo_u32 v17, s1, v10
	v_mad_u64_u32 v[8:9], s[0:1], s0, v10, v[8:9]
	v_mad_u64_u32 v[6:7], s[0:1], s42, v10, v[6:7]
	s_addc_u32 s37, s37, -1
	v_add3_u32 v9, v17, v9, v11
	v_mul_lo_u32 v3, s42, v3
	v_mul_lo_u32 v11, s43, v10
	v_cmp_lt_i64_e64 s[0:1], s[36:37], 1
	v_add3_u32 v7, v11, v7, v3
	s_and_b64 vcc, exec, s[0:1]
	v_pk_mov_b32 v[10:11], v[12:13], v[12:13] op_sel:[0,1]
	s_cbranch_vccnz .LBB3_12
.LBB3_28:                               ;   Parent Loop BB3_3 Depth=1
                                        ; =>  This Inner Loop Header: Depth=2
	s_load_dwordx2 s[42:43], s[38:39], 0x0
                                        ; implicit-def: $vgpr12_vgpr13
	s_waitcnt lgkmcnt(0)
	v_or_b32_e32 v3, s43, v11
	v_cmp_ne_u64_e32 vcc, 0, v[2:3]
	s_and_saveexec_b64 s[0:1], vcc
	s_xor_b64 s[44:45], exec, s[0:1]
	s_cbranch_execz .LBB3_30
; %bb.29:                               ;   in Loop: Header=BB3_28 Depth=2
	s_ashr_i32 s46, s43, 31
	s_add_u32 s0, s42, s46
	s_mov_b32 s47, s46
	s_addc_u32 s1, s43, s46
	s_xor_b64 s[48:49], s[0:1], s[46:47]
	v_cvt_f32_u32_e32 v3, s48
	v_cvt_f32_u32_e32 v12, s49
	s_sub_u32 s0, 0, s48
	s_subb_u32 s1, 0, s49
	v_mac_f32_e32 v3, 0x4f800000, v12
	v_rcp_f32_e32 v3, v3
	v_mul_f32_e32 v3, 0x5f7ffffc, v3
	v_mul_f32_e32 v12, 0x2f800000, v3
	v_trunc_f32_e32 v12, v12
	v_mac_f32_e32 v3, 0xcf800000, v12
	v_cvt_u32_f32_e32 v12, v12
	v_cvt_u32_f32_e32 v3, v3
	v_mul_lo_u32 v13, s0, v12
	v_mul_hi_u32 v18, s0, v3
	v_mul_lo_u32 v17, s1, v3
	v_add_u32_e32 v13, v18, v13
	v_mul_lo_u32 v19, s0, v3
	v_add_u32_e32 v13, v13, v17
	v_mul_lo_u32 v18, v3, v13
	v_mul_hi_u32 v20, v3, v19
	v_mul_hi_u32 v17, v3, v13
	v_add_co_u32_e32 v18, vcc, v20, v18
	v_addc_co_u32_e32 v17, vcc, 0, v17, vcc
	v_mul_hi_u32 v21, v12, v19
	v_mul_lo_u32 v19, v12, v19
	v_add_co_u32_e32 v18, vcc, v18, v19
	v_mul_hi_u32 v20, v12, v13
	v_addc_co_u32_e32 v17, vcc, v17, v21, vcc
	v_addc_co_u32_e32 v18, vcc, 0, v20, vcc
	v_mul_lo_u32 v13, v12, v13
	v_add_co_u32_e32 v13, vcc, v17, v13
	v_addc_co_u32_e32 v17, vcc, 0, v18, vcc
	v_add_co_u32_e32 v3, vcc, v3, v13
	v_addc_co_u32_e32 v12, vcc, v12, v17, vcc
	v_mul_lo_u32 v13, s0, v12
	v_mul_hi_u32 v17, s0, v3
	v_add_u32_e32 v13, v17, v13
	v_mul_lo_u32 v17, s1, v3
	v_add_u32_e32 v13, v13, v17
	v_mul_lo_u32 v18, s0, v3
	v_mul_hi_u32 v19, v12, v18
	v_mul_lo_u32 v20, v12, v18
	v_mul_lo_u32 v22, v3, v13
	v_mul_hi_u32 v18, v3, v18
	v_mul_hi_u32 v21, v3, v13
	v_add_co_u32_e32 v18, vcc, v18, v22
	v_addc_co_u32_e32 v21, vcc, 0, v21, vcc
	v_add_co_u32_e32 v18, vcc, v18, v20
	v_mul_hi_u32 v17, v12, v13
	v_addc_co_u32_e32 v18, vcc, v21, v19, vcc
	v_addc_co_u32_e32 v17, vcc, 0, v17, vcc
	v_mul_lo_u32 v13, v12, v13
	v_add_co_u32_e32 v13, vcc, v18, v13
	v_addc_co_u32_e32 v17, vcc, 0, v17, vcc
	v_add_co_u32_e32 v3, vcc, v3, v13
	v_addc_co_u32_e32 v17, vcc, v12, v17, vcc
	v_ashrrev_i32_e32 v20, 31, v11
	v_add_co_u32_e32 v12, vcc, v10, v20
	v_addc_co_u32_e32 v13, vcc, v11, v20, vcc
	v_xor_b32_e32 v22, v12, v20
	v_xor_b32_e32 v21, v13, v20
	v_mad_u64_u32 v[12:13], s[0:1], v22, v17, 0
	v_mul_hi_u32 v18, v22, v3
	v_add_co_u32_e32 v23, vcc, v18, v12
	v_addc_co_u32_e32 v24, vcc, 0, v13, vcc
	v_mad_u64_u32 v[18:19], s[0:1], v21, v3, 0
	v_add_co_u32_e32 v3, vcc, v23, v18
	v_mad_u64_u32 v[12:13], s[0:1], v21, v17, 0
	v_addc_co_u32_e32 v3, vcc, v24, v19, vcc
	v_addc_co_u32_e32 v13, vcc, 0, v13, vcc
	v_add_co_u32_e32 v3, vcc, v3, v12
	v_addc_co_u32_e32 v17, vcc, 0, v13, vcc
	v_mul_lo_u32 v18, s49, v3
	v_mul_lo_u32 v19, s48, v17
	v_mad_u64_u32 v[12:13], s[0:1], s48, v3, 0
	v_add3_u32 v13, v13, v19, v18
	v_sub_u32_e32 v18, v21, v13
	v_mov_b32_e32 v19, s49
	v_sub_co_u32_e32 v12, vcc, v22, v12
	v_subb_co_u32_e64 v18, s[0:1], v18, v19, vcc
	v_subrev_co_u32_e64 v19, s[0:1], s48, v12
	v_subbrev_co_u32_e64 v18, s[0:1], 0, v18, s[0:1]
	v_cmp_le_u32_e64 s[0:1], s49, v18
	v_cndmask_b32_e64 v22, 0, -1, s[0:1]
	v_cmp_le_u32_e64 s[0:1], s48, v19
	v_cndmask_b32_e64 v19, 0, -1, s[0:1]
	v_cmp_eq_u32_e64 s[0:1], s49, v18
	v_cndmask_b32_e64 v18, v22, v19, s[0:1]
	v_add_co_u32_e64 v19, s[0:1], 2, v3
	v_subb_co_u32_e32 v13, vcc, v21, v13, vcc
	v_addc_co_u32_e64 v22, s[0:1], 0, v17, s[0:1]
	v_cmp_le_u32_e32 vcc, s49, v13
	v_add_co_u32_e64 v23, s[0:1], 1, v3
	v_cndmask_b32_e64 v21, 0, -1, vcc
	v_cmp_le_u32_e32 vcc, s48, v12
	v_addc_co_u32_e64 v24, s[0:1], 0, v17, s[0:1]
	v_cndmask_b32_e64 v12, 0, -1, vcc
	v_cmp_eq_u32_e32 vcc, s49, v13
	v_cmp_ne_u32_e64 s[0:1], 0, v18
	v_cndmask_b32_e32 v12, v21, v12, vcc
	v_cmp_ne_u32_e32 vcc, 0, v12
	v_cndmask_b32_e64 v13, v23, v19, s[0:1]
	v_cndmask_b32_e64 v18, v24, v22, s[0:1]
	v_cndmask_b32_e32 v3, v3, v13, vcc
	v_xor_b32_e32 v13, s46, v20
	v_cndmask_b32_e32 v12, v17, v18, vcc
	v_xor_b32_e32 v3, v3, v13
	v_xor_b32_e32 v17, v12, v13
	v_sub_co_u32_e32 v12, vcc, v3, v13
	v_subb_co_u32_e32 v13, vcc, v17, v13, vcc
.LBB3_30:                               ;   in Loop: Header=BB3_28 Depth=2
	s_andn2_saveexec_b64 s[0:1], s[44:45]
	s_cbranch_execz .LBB3_27
; %bb.31:                               ;   in Loop: Header=BB3_28 Depth=2
	v_cvt_f32_u32_e32 v3, s42
	s_sub_i32 s44, 0, s42
	v_rcp_iflag_f32_e32 v3, v3
	v_mul_f32_e32 v3, 0x4f7ffffe, v3
	v_cvt_u32_f32_e32 v3, v3
	v_mul_lo_u32 v12, s44, v3
	v_mul_hi_u32 v12, v3, v12
	v_add_u32_e32 v3, v3, v12
	v_mul_hi_u32 v3, v10, v3
	v_mul_lo_u32 v12, v3, s42
	v_sub_u32_e32 v12, v10, v12
	v_add_u32_e32 v13, 1, v3
	v_subrev_u32_e32 v17, s42, v12
	v_cmp_le_u32_e32 vcc, s42, v12
	v_cndmask_b32_e32 v12, v12, v17, vcc
	v_cndmask_b32_e32 v3, v3, v13, vcc
	v_add_u32_e32 v13, 1, v3
	v_cmp_le_u32_e32 vcc, s42, v12
	v_cndmask_b32_e32 v12, v3, v13, vcc
	v_mov_b32_e32 v13, v2
	s_branch .LBB3_27
.LBB3_32:
	s_endpgm
	.section	.rodata,"a",@progbits
	.p2align	6, 0x0
	.amdhsa_kernel _ZN2at6native16triu_tril_kernelIhlLb0ELi4ELb0EEEvNS_4cuda6detail10TensorInfoIT_T0_EENS4_IKS5_S6_EEllS6_
		.amdhsa_group_segment_fixed_size 0
		.amdhsa_private_segment_fixed_size 0
		.amdhsa_kernarg_size 1112
		.amdhsa_user_sgpr_count 6
		.amdhsa_user_sgpr_private_segment_buffer 1
		.amdhsa_user_sgpr_dispatch_ptr 0
		.amdhsa_user_sgpr_queue_ptr 0
		.amdhsa_user_sgpr_kernarg_segment_ptr 1
		.amdhsa_user_sgpr_dispatch_id 0
		.amdhsa_user_sgpr_flat_scratch_init 0
		.amdhsa_user_sgpr_kernarg_preload_length 0
		.amdhsa_user_sgpr_kernarg_preload_offset 0
		.amdhsa_user_sgpr_private_segment_size 0
		.amdhsa_uses_dynamic_stack 0
		.amdhsa_system_sgpr_private_segment_wavefront_offset 0
		.amdhsa_system_sgpr_workgroup_id_x 1
		.amdhsa_system_sgpr_workgroup_id_y 0
		.amdhsa_system_sgpr_workgroup_id_z 0
		.amdhsa_system_sgpr_workgroup_info 0
		.amdhsa_system_vgpr_workitem_id 0
		.amdhsa_next_free_vgpr 25
		.amdhsa_next_free_sgpr 52
		.amdhsa_accum_offset 28
		.amdhsa_reserve_vcc 1
		.amdhsa_reserve_flat_scratch 0
		.amdhsa_float_round_mode_32 0
		.amdhsa_float_round_mode_16_64 0
		.amdhsa_float_denorm_mode_32 3
		.amdhsa_float_denorm_mode_16_64 3
		.amdhsa_dx10_clamp 1
		.amdhsa_ieee_mode 1
		.amdhsa_fp16_overflow 0
		.amdhsa_tg_split 0
		.amdhsa_exception_fp_ieee_invalid_op 0
		.amdhsa_exception_fp_denorm_src 0
		.amdhsa_exception_fp_ieee_div_zero 0
		.amdhsa_exception_fp_ieee_overflow 0
		.amdhsa_exception_fp_ieee_underflow 0
		.amdhsa_exception_fp_ieee_inexact 0
		.amdhsa_exception_int_div_zero 0
	.end_amdhsa_kernel
	.section	.text._ZN2at6native16triu_tril_kernelIhlLb0ELi4ELb0EEEvNS_4cuda6detail10TensorInfoIT_T0_EENS4_IKS5_S6_EEllS6_,"axG",@progbits,_ZN2at6native16triu_tril_kernelIhlLb0ELi4ELb0EEEvNS_4cuda6detail10TensorInfoIT_T0_EENS4_IKS5_S6_EEllS6_,comdat
.Lfunc_end3:
	.size	_ZN2at6native16triu_tril_kernelIhlLb0ELi4ELb0EEEvNS_4cuda6detail10TensorInfoIT_T0_EENS4_IKS5_S6_EEllS6_, .Lfunc_end3-_ZN2at6native16triu_tril_kernelIhlLb0ELi4ELb0EEEvNS_4cuda6detail10TensorInfoIT_T0_EENS4_IKS5_S6_EEllS6_
                                        ; -- End function
	.section	.AMDGPU.csdata,"",@progbits
; Kernel info:
; codeLenInByte = 3692
; NumSgprs: 56
; NumVgprs: 25
; NumAgprs: 0
; TotalNumVgprs: 25
; ScratchSize: 0
; MemoryBound: 0
; FloatMode: 240
; IeeeMode: 1
; LDSByteSize: 0 bytes/workgroup (compile time only)
; SGPRBlocks: 6
; VGPRBlocks: 3
; NumSGPRsForWavesPerEU: 56
; NumVGPRsForWavesPerEU: 25
; AccumOffset: 28
; Occupancy: 8
; WaveLimiterHint : 0
; COMPUTE_PGM_RSRC2:SCRATCH_EN: 0
; COMPUTE_PGM_RSRC2:USER_SGPR: 6
; COMPUTE_PGM_RSRC2:TRAP_HANDLER: 0
; COMPUTE_PGM_RSRC2:TGID_X_EN: 1
; COMPUTE_PGM_RSRC2:TGID_Y_EN: 0
; COMPUTE_PGM_RSRC2:TGID_Z_EN: 0
; COMPUTE_PGM_RSRC2:TIDIG_COMP_CNT: 0
; COMPUTE_PGM_RSRC3_GFX90A:ACCUM_OFFSET: 6
; COMPUTE_PGM_RSRC3_GFX90A:TG_SPLIT: 0
	.section	.text._ZN2at6native16triu_tril_kernelIaiLb0ELi4ELb1EEEvNS_4cuda6detail10TensorInfoIT_T0_EENS4_IKS5_S6_EEllS6_,"axG",@progbits,_ZN2at6native16triu_tril_kernelIaiLb0ELi4ELb1EEEvNS_4cuda6detail10TensorInfoIT_T0_EENS4_IKS5_S6_EEllS6_,comdat
	.protected	_ZN2at6native16triu_tril_kernelIaiLb0ELi4ELb1EEEvNS_4cuda6detail10TensorInfoIT_T0_EENS4_IKS5_S6_EEllS6_ ; -- Begin function _ZN2at6native16triu_tril_kernelIaiLb0ELi4ELb1EEEvNS_4cuda6detail10TensorInfoIT_T0_EENS4_IKS5_S6_EEllS6_
	.globl	_ZN2at6native16triu_tril_kernelIaiLb0ELi4ELb1EEEvNS_4cuda6detail10TensorInfoIT_T0_EENS4_IKS5_S6_EEllS6_
	.p2align	8
	.type	_ZN2at6native16triu_tril_kernelIaiLb0ELi4ELb1EEEvNS_4cuda6detail10TensorInfoIT_T0_EENS4_IKS5_S6_EEllS6_,@function
_ZN2at6native16triu_tril_kernelIaiLb0ELi4ELb1EEEvNS_4cuda6detail10TensorInfoIT_T0_EENS4_IKS5_S6_EEllS6_: ; @_ZN2at6native16triu_tril_kernelIaiLb0ELi4ELb1EEEvNS_4cuda6detail10TensorInfoIT_T0_EENS4_IKS5_S6_EEllS6_
; %bb.0:
	s_load_dword s2, s[4:5], 0x1d4
	s_load_dwordx4 s[8:11], s[4:5], 0x1b0
	s_add_u32 s0, s4, 0x1c8
	v_mov_b32_e32 v2, 0
	s_addc_u32 s1, s5, 0
	s_waitcnt lgkmcnt(0)
	s_and_b32 s7, s2, 0xffff
	v_mov_b32_e32 v1, v2
	v_mov_b32_e32 v3, s6
	v_mad_u64_u32 v[0:1], s[2:3], s7, v3, v[0:1]
	v_lshlrev_b64 v[0:1], 2, v[0:1]
	v_cmp_gt_i64_e32 vcc, s[10:11], v[0:1]
	s_and_saveexec_b64 s[2:3], vcc
	s_cbranch_execz .LBB4_69
; %bb.1:
	s_load_dword s33, s[4:5], 0x1c0
	s_load_dword s14, s[4:5], 0x1a8
	;; [unrolled: 1-line block ×3, first 2 shown]
	s_load_dwordx2 s[2:3], s[4:5], 0x0
	s_mov_b64 s[22:23], 0
	s_waitcnt lgkmcnt(0)
	s_ashr_i32 s38, s33, 31
	s_ashr_i32 s15, s14, 31
	s_add_u32 s39, s4, 0xe0
	s_addc_u32 s40, s5, 0
	s_add_i32 s0, s14, -2
	s_ashr_i32 s1, s0, 31
	s_lshl_b64 s[12:13], s[0:1], 2
	s_add_u32 s16, s39, s12
	s_addc_u32 s17, s40, s13
	s_load_dword s41, s[16:17], 0x0
	s_lshl_b64 s[16:17], s[14:15], 2
	s_mul_i32 s1, s6, s7
	v_cmp_gt_i64_e64 s[6:7], s[14:15], 2
	v_cvt_f32_u32_e32 v3, s33
	s_waitcnt lgkmcnt(0)
	s_ashr_i32 s42, s41, 31
	s_add_u32 s15, s16, -4
	s_addc_u32 s16, s17, -1
	s_add_u32 s43, s4, 0x6c
	s_addc_u32 s44, s5, 0
	s_add_u32 s4, s43, s15
	v_rcp_iflag_f32_e32 v3, v3
	s_addc_u32 s5, s44, s16
	s_add_u32 s12, s43, s12
	s_addc_u32 s13, s44, s13
	s_add_i32 s45, s14, -3
	s_add_u32 s14, s39, s15
	v_mul_f32_e32 v3, 0x4f7ffffe, v3
	s_addc_u32 s15, s40, s16
	s_lshl_b32 s46, s1, 2
	s_and_b32 s48, s0, 7
	v_cvt_u32_f32_e32 v26, v3
	s_cmp_lg_u32 s48, 0
	s_mov_b32 s17, 0
	s_cselect_b64 s[18:19], -1, 0
	s_cmp_gt_u32 s45, 6
	s_mov_b32 s47, s17
	s_cselect_b64 s[20:21], -1, 0
	s_branch .LBB4_3
.LBB4_2:                                ;   in Loop: Header=BB4_3 Depth=1
	s_or_b64 exec, exec, s[24:25]
	v_mov_b32_e32 v3, s47
	v_add_co_u32_e32 v0, vcc, s46, v0
	v_addc_co_u32_e32 v1, vcc, v1, v3, vcc
	v_cmp_le_i64_e32 vcc, s[10:11], v[0:1]
	s_or_b64 s[22:23], vcc, s[22:23]
	s_andn2_b64 exec, exec, s[22:23]
	s_cbranch_execz .LBB4_69
.LBB4_3:                                ; =>This Loop Header: Depth=1
                                        ;     Child Loop BB4_16 Depth 2
                                        ;     Child Loop BB4_23 Depth 2
	v_or_b32_e32 v3, s38, v1
	v_cmp_ne_u64_e32 vcc, 0, v[2:3]
                                        ; implicit-def: $vgpr4_vgpr5
	s_and_saveexec_b64 s[0:1], vcc
	s_xor_b64 s[24:25], exec, s[0:1]
	s_cbranch_execz .LBB4_5
; %bb.4:                                ;   in Loop: Header=BB4_3 Depth=1
	s_add_u32 s0, s33, s38
	s_mov_b32 s26, s38
	s_mov_b32 s27, s38
	s_addc_u32 s1, s38, s38
	s_xor_b64 s[28:29], s[0:1], s[26:27]
	v_cvt_f32_u32_e32 v3, s28
	v_cvt_f32_u32_e32 v4, s29
	s_sub_u32 s0, 0, s28
	s_subb_u32 s1, 0, s29
	v_mac_f32_e32 v3, 0x4f800000, v4
	v_rcp_f32_e32 v3, v3
	v_mul_f32_e32 v3, 0x5f7ffffc, v3
	v_mul_f32_e32 v4, 0x2f800000, v3
	v_trunc_f32_e32 v4, v4
	v_mac_f32_e32 v3, 0xcf800000, v4
	v_cvt_u32_f32_e32 v4, v4
	v_cvt_u32_f32_e32 v3, v3
	v_mul_lo_u32 v5, s0, v4
	v_mul_hi_u32 v7, s0, v3
	v_mul_lo_u32 v6, s1, v3
	v_add_u32_e32 v5, v7, v5
	v_mul_lo_u32 v8, s0, v3
	v_add_u32_e32 v5, v5, v6
	v_mul_lo_u32 v7, v3, v5
	v_mul_hi_u32 v9, v3, v8
	v_mul_hi_u32 v6, v3, v5
	v_add_co_u32_e32 v7, vcc, v9, v7
	v_addc_co_u32_e32 v6, vcc, 0, v6, vcc
	v_mul_hi_u32 v10, v4, v8
	v_mul_lo_u32 v8, v4, v8
	v_add_co_u32_e32 v7, vcc, v7, v8
	v_mul_hi_u32 v9, v4, v5
	v_addc_co_u32_e32 v6, vcc, v6, v10, vcc
	v_addc_co_u32_e32 v7, vcc, 0, v9, vcc
	v_mul_lo_u32 v5, v4, v5
	v_add_co_u32_e32 v5, vcc, v6, v5
	v_addc_co_u32_e32 v6, vcc, 0, v7, vcc
	v_add_co_u32_e32 v3, vcc, v3, v5
	v_addc_co_u32_e32 v4, vcc, v4, v6, vcc
	v_mul_lo_u32 v5, s0, v4
	v_mul_hi_u32 v6, s0, v3
	v_add_u32_e32 v5, v6, v5
	v_mul_lo_u32 v6, s1, v3
	v_add_u32_e32 v5, v5, v6
	v_mul_lo_u32 v7, s0, v3
	v_mul_hi_u32 v8, v4, v7
	v_mul_lo_u32 v9, v4, v7
	v_mul_lo_u32 v11, v3, v5
	v_mul_hi_u32 v7, v3, v7
	v_mul_hi_u32 v10, v3, v5
	v_add_co_u32_e32 v7, vcc, v7, v11
	v_addc_co_u32_e32 v10, vcc, 0, v10, vcc
	v_add_co_u32_e32 v7, vcc, v7, v9
	v_mul_hi_u32 v6, v4, v5
	v_addc_co_u32_e32 v7, vcc, v10, v8, vcc
	v_addc_co_u32_e32 v6, vcc, 0, v6, vcc
	v_mul_lo_u32 v5, v4, v5
	v_add_co_u32_e32 v5, vcc, v7, v5
	v_addc_co_u32_e32 v6, vcc, 0, v6, vcc
	v_add_co_u32_e32 v3, vcc, v3, v5
	v_addc_co_u32_e32 v6, vcc, v4, v6, vcc
	v_ashrrev_i32_e32 v8, 31, v1
	v_add_co_u32_e32 v4, vcc, v0, v8
	v_addc_co_u32_e32 v5, vcc, v1, v8, vcc
	v_xor_b32_e32 v10, v4, v8
	v_xor_b32_e32 v9, v5, v8
	v_mad_u64_u32 v[4:5], s[0:1], v10, v6, 0
	v_mul_hi_u32 v7, v10, v3
	v_add_co_u32_e32 v11, vcc, v7, v4
	v_addc_co_u32_e32 v12, vcc, 0, v5, vcc
	v_mad_u64_u32 v[4:5], s[0:1], v9, v6, 0
	v_mad_u64_u32 v[6:7], s[0:1], v9, v3, 0
	v_add_co_u32_e32 v3, vcc, v11, v6
	v_addc_co_u32_e32 v3, vcc, v12, v7, vcc
	v_addc_co_u32_e32 v5, vcc, 0, v5, vcc
	v_add_co_u32_e32 v3, vcc, v3, v4
	v_addc_co_u32_e32 v6, vcc, 0, v5, vcc
	v_mul_lo_u32 v7, s29, v3
	v_mul_lo_u32 v11, s28, v6
	v_mad_u64_u32 v[4:5], s[0:1], s28, v3, 0
	v_add3_u32 v5, v5, v11, v7
	v_sub_u32_e32 v7, v9, v5
	v_mov_b32_e32 v11, s29
	v_sub_co_u32_e32 v4, vcc, v10, v4
	v_subb_co_u32_e64 v7, s[0:1], v7, v11, vcc
	v_subrev_co_u32_e64 v10, s[0:1], s28, v4
	v_subbrev_co_u32_e64 v7, s[0:1], 0, v7, s[0:1]
	v_cmp_le_u32_e64 s[0:1], s29, v7
	v_cndmask_b32_e64 v11, 0, -1, s[0:1]
	v_cmp_le_u32_e64 s[0:1], s28, v10
	v_cndmask_b32_e64 v10, 0, -1, s[0:1]
	v_cmp_eq_u32_e64 s[0:1], s29, v7
	v_cndmask_b32_e64 v7, v11, v10, s[0:1]
	v_add_co_u32_e64 v10, s[0:1], 2, v3
	v_subb_co_u32_e32 v5, vcc, v9, v5, vcc
	v_addc_co_u32_e64 v11, s[0:1], 0, v6, s[0:1]
	v_cmp_le_u32_e32 vcc, s29, v5
	v_add_co_u32_e64 v12, s[0:1], 1, v3
	v_cndmask_b32_e64 v9, 0, -1, vcc
	v_cmp_le_u32_e32 vcc, s28, v4
	v_addc_co_u32_e64 v13, s[0:1], 0, v6, s[0:1]
	v_cndmask_b32_e64 v4, 0, -1, vcc
	v_cmp_eq_u32_e32 vcc, s29, v5
	v_cmp_ne_u32_e64 s[0:1], 0, v7
	v_cndmask_b32_e32 v4, v9, v4, vcc
	v_cndmask_b32_e64 v7, v13, v11, s[0:1]
	v_cmp_ne_u32_e32 vcc, 0, v4
	v_cndmask_b32_e64 v5, v12, v10, s[0:1]
	v_cndmask_b32_e32 v4, v6, v7, vcc
	v_cndmask_b32_e32 v3, v3, v5, vcc
	v_xor_b32_e32 v6, s26, v8
	v_xor_b32_e32 v5, s27, v8
	;; [unrolled: 1-line block ×4, first 2 shown]
	v_sub_co_u32_e32 v4, vcc, v3, v6
	v_subb_co_u32_e32 v5, vcc, v7, v5, vcc
.LBB4_5:                                ;   in Loop: Header=BB4_3 Depth=1
	s_andn2_saveexec_b64 s[0:1], s[24:25]
	s_cbranch_execz .LBB4_7
; %bb.6:                                ;   in Loop: Header=BB4_3 Depth=1
	s_sub_i32 s16, 0, s33
	v_mul_lo_u32 v3, s16, v26
	v_mul_hi_u32 v3, v26, v3
	v_add_u32_e32 v3, v26, v3
	v_mul_hi_u32 v3, v0, v3
	v_mul_lo_u32 v4, v3, s33
	v_sub_u32_e32 v4, v0, v4
	v_subrev_u32_e32 v5, s33, v4
	v_cmp_le_u32_e32 vcc, s33, v4
	v_cndmask_b32_e32 v4, v4, v5, vcc
	v_add_u32_e32 v5, 1, v3
	v_cndmask_b32_e32 v3, v3, v5, vcc
	v_add_u32_e32 v5, 1, v3
	v_cmp_le_u32_e32 vcc, s33, v4
	v_cndmask_b32_e32 v4, v3, v5, vcc
	v_mov_b32_e32 v5, v2
.LBB4_7:                                ;   in Loop: Header=BB4_3 Depth=1
	s_or_b64 exec, exec, s[0:1]
	v_or_b32_e32 v3, s42, v5
	v_cmp_ne_u64_e32 vcc, 0, v[2:3]
                                        ; implicit-def: $vgpr8_vgpr9
	s_and_saveexec_b64 s[0:1], vcc
	s_xor_b64 s[24:25], exec, s[0:1]
	s_cbranch_execz .LBB4_9
; %bb.8:                                ;   in Loop: Header=BB4_3 Depth=1
	s_add_u32 s0, s41, s42
	s_mov_b32 s26, s42
	s_mov_b32 s27, s42
	s_addc_u32 s1, s42, s42
	s_xor_b64 s[28:29], s[0:1], s[26:27]
	v_cvt_f32_u32_e32 v3, s28
	v_cvt_f32_u32_e32 v6, s29
	s_sub_u32 s0, 0, s28
	s_subb_u32 s1, 0, s29
	v_mac_f32_e32 v3, 0x4f800000, v6
	v_rcp_f32_e32 v3, v3
	v_mul_f32_e32 v3, 0x5f7ffffc, v3
	v_mul_f32_e32 v6, 0x2f800000, v3
	v_trunc_f32_e32 v6, v6
	v_mac_f32_e32 v3, 0xcf800000, v6
	v_cvt_u32_f32_e32 v6, v6
	v_cvt_u32_f32_e32 v3, v3
	v_mul_lo_u32 v7, s0, v6
	v_mul_hi_u32 v9, s0, v3
	v_mul_lo_u32 v8, s1, v3
	v_add_u32_e32 v7, v9, v7
	v_mul_lo_u32 v10, s0, v3
	v_add_u32_e32 v7, v7, v8
	v_mul_lo_u32 v9, v3, v7
	v_mul_hi_u32 v11, v3, v10
	v_mul_hi_u32 v8, v3, v7
	v_add_co_u32_e32 v9, vcc, v11, v9
	v_addc_co_u32_e32 v8, vcc, 0, v8, vcc
	v_mul_hi_u32 v12, v6, v10
	v_mul_lo_u32 v10, v6, v10
	v_add_co_u32_e32 v9, vcc, v9, v10
	v_mul_hi_u32 v11, v6, v7
	v_addc_co_u32_e32 v8, vcc, v8, v12, vcc
	v_addc_co_u32_e32 v9, vcc, 0, v11, vcc
	v_mul_lo_u32 v7, v6, v7
	v_add_co_u32_e32 v7, vcc, v8, v7
	v_addc_co_u32_e32 v8, vcc, 0, v9, vcc
	v_add_co_u32_e32 v3, vcc, v3, v7
	v_addc_co_u32_e32 v6, vcc, v6, v8, vcc
	v_mul_lo_u32 v7, s0, v6
	v_mul_hi_u32 v8, s0, v3
	v_add_u32_e32 v7, v8, v7
	v_mul_lo_u32 v8, s1, v3
	v_add_u32_e32 v7, v7, v8
	v_mul_lo_u32 v9, s0, v3
	v_mul_hi_u32 v10, v6, v9
	v_mul_lo_u32 v11, v6, v9
	v_mul_lo_u32 v13, v3, v7
	v_mul_hi_u32 v9, v3, v9
	v_mul_hi_u32 v12, v3, v7
	v_add_co_u32_e32 v9, vcc, v9, v13
	v_addc_co_u32_e32 v12, vcc, 0, v12, vcc
	v_add_co_u32_e32 v9, vcc, v9, v11
	v_mul_hi_u32 v8, v6, v7
	v_addc_co_u32_e32 v9, vcc, v12, v10, vcc
	v_addc_co_u32_e32 v8, vcc, 0, v8, vcc
	v_mul_lo_u32 v7, v6, v7
	v_add_co_u32_e32 v7, vcc, v9, v7
	v_addc_co_u32_e32 v8, vcc, 0, v8, vcc
	v_add_co_u32_e32 v3, vcc, v3, v7
	v_addc_co_u32_e32 v8, vcc, v6, v8, vcc
	v_ashrrev_i32_e32 v10, 31, v5
	v_add_co_u32_e32 v6, vcc, v4, v10
	v_xor_b32_e32 v11, v6, v10
	v_addc_co_u32_e32 v5, vcc, v5, v10, vcc
	v_mad_u64_u32 v[6:7], s[0:1], v11, v8, 0
	v_mul_hi_u32 v9, v11, v3
	v_xor_b32_e32 v5, v5, v10
	v_add_co_u32_e32 v12, vcc, v9, v6
	v_addc_co_u32_e32 v13, vcc, 0, v7, vcc
	v_mad_u64_u32 v[6:7], s[0:1], v5, v8, 0
	v_mad_u64_u32 v[8:9], s[0:1], v5, v3, 0
	v_add_co_u32_e32 v3, vcc, v12, v8
	v_addc_co_u32_e32 v3, vcc, v13, v9, vcc
	v_addc_co_u32_e32 v7, vcc, 0, v7, vcc
	v_add_co_u32_e32 v3, vcc, v3, v6
	v_addc_co_u32_e32 v8, vcc, 0, v7, vcc
	v_mul_lo_u32 v9, s29, v3
	v_mul_lo_u32 v12, s28, v8
	v_mad_u64_u32 v[6:7], s[0:1], s28, v3, 0
	v_add3_u32 v7, v7, v12, v9
	v_sub_u32_e32 v9, v5, v7
	v_mov_b32_e32 v12, s29
	v_sub_co_u32_e32 v6, vcc, v11, v6
	v_subb_co_u32_e64 v9, s[0:1], v9, v12, vcc
	v_subrev_co_u32_e64 v11, s[0:1], s28, v6
	v_subbrev_co_u32_e64 v9, s[0:1], 0, v9, s[0:1]
	v_cmp_le_u32_e64 s[0:1], s29, v9
	v_cndmask_b32_e64 v12, 0, -1, s[0:1]
	v_cmp_le_u32_e64 s[0:1], s28, v11
	v_cndmask_b32_e64 v11, 0, -1, s[0:1]
	v_cmp_eq_u32_e64 s[0:1], s29, v9
	v_cndmask_b32_e64 v9, v12, v11, s[0:1]
	v_add_co_u32_e64 v11, s[0:1], 2, v3
	v_subb_co_u32_e32 v5, vcc, v5, v7, vcc
	v_addc_co_u32_e64 v12, s[0:1], 0, v8, s[0:1]
	v_cmp_le_u32_e32 vcc, s29, v5
	v_add_co_u32_e64 v13, s[0:1], 1, v3
	v_cndmask_b32_e64 v7, 0, -1, vcc
	v_cmp_le_u32_e32 vcc, s28, v6
	v_addc_co_u32_e64 v14, s[0:1], 0, v8, s[0:1]
	v_cndmask_b32_e64 v6, 0, -1, vcc
	v_cmp_eq_u32_e32 vcc, s29, v5
	v_cmp_ne_u32_e64 s[0:1], 0, v9
	v_cndmask_b32_e32 v5, v7, v6, vcc
	v_cmp_ne_u32_e32 vcc, 0, v5
	v_cndmask_b32_e64 v6, v13, v11, s[0:1]
	v_cndmask_b32_e64 v9, v14, v12, s[0:1]
	v_cndmask_b32_e32 v3, v3, v6, vcc
	v_xor_b32_e32 v7, s26, v10
	v_cndmask_b32_e32 v5, v8, v9, vcc
	v_xor_b32_e32 v6, s27, v10
	v_xor_b32_e32 v3, v3, v7
	;; [unrolled: 1-line block ×3, first 2 shown]
	v_sub_co_u32_e32 v8, vcc, v3, v7
	v_subb_co_u32_e32 v9, vcc, v5, v6, vcc
.LBB4_9:                                ;   in Loop: Header=BB4_3 Depth=1
	s_andn2_saveexec_b64 s[0:1], s[24:25]
	s_cbranch_execz .LBB4_11
; %bb.10:                               ;   in Loop: Header=BB4_3 Depth=1
	v_cvt_f32_u32_e32 v3, s41
	s_sub_i32 s16, 0, s41
	v_mov_b32_e32 v9, v2
	v_rcp_iflag_f32_e32 v3, v3
	v_mul_f32_e32 v3, 0x4f7ffffe, v3
	v_cvt_u32_f32_e32 v3, v3
	v_mul_lo_u32 v5, s16, v3
	v_mul_hi_u32 v5, v3, v5
	v_add_u32_e32 v3, v3, v5
	v_mul_hi_u32 v3, v4, v3
	v_mul_lo_u32 v5, v3, s41
	v_sub_u32_e32 v5, v4, v5
	v_add_u32_e32 v6, 1, v3
	v_subrev_u32_e32 v7, s41, v5
	v_cmp_le_u32_e32 vcc, s41, v5
	v_cndmask_b32_e32 v5, v5, v7, vcc
	v_cndmask_b32_e32 v3, v3, v6, vcc
	v_add_u32_e32 v6, 1, v3
	v_cmp_le_u32_e32 vcc, s41, v5
	v_cndmask_b32_e32 v8, v3, v6, vcc
.LBB4_11:                               ;   in Loop: Header=BB4_3 Depth=1
	s_or_b64 exec, exec, s[0:1]
	v_mad_u64_u32 v[6:7], s[0:1], v4, s33, 0
	v_sub_co_u32_e32 v28, vcc, v0, v6
	v_mad_u64_u32 v[6:7], s[0:1], v8, s41, 0
	v_sub_co_u32_e32 v27, vcc, v4, v6
	v_sub_u32_e32 v6, v28, v27
	v_add_u32_e32 v4, 4, v6
	v_ashrrev_i32_e32 v5, 31, v4
	v_cmp_lt_i64_e32 vcc, s[8:9], v[4:5]
	s_and_saveexec_b64 s[24:25], vcc
	s_cbranch_execz .LBB4_2
; %bb.12:                               ;   in Loop: Header=BB4_3 Depth=1
	s_load_dword s49, s[4:5], 0x0
	s_load_dword s0, s[12:13], 0x0
	s_andn2_b64 vcc, exec, s[6:7]
	s_waitcnt lgkmcnt(0)
	v_mul_lo_u32 v4, s49, v28
	v_mad_u64_u32 v[4:5], s[0:1], s0, v27, v[4:5]
	s_cbranch_vccnz .LBB4_57
; %bb.13:                               ;   in Loop: Header=BB4_3 Depth=1
	s_andn2_b64 vcc, exec, s[18:19]
	s_cbranch_vccnz .LBB4_20
; %bb.14:                               ;   in Loop: Header=BB4_3 Depth=1
	s_mov_b32 s36, s48
	s_mov_b32 s16, s45
	s_branch .LBB4_16
.LBB4_15:                               ;   in Loop: Header=BB4_16 Depth=2
	s_or_b64 exec, exec, s[0:1]
	s_add_u32 s0, s43, s26
	s_addc_u32 s1, s44, s27
	s_load_dword s0, s[0:1], 0x0
	v_mul_lo_u32 v3, v8, s37
	v_sub_u32_e32 v3, v10, v3
	s_add_i32 s16, s16, -1
	s_add_i32 s36, s36, -1
	s_cmp_lg_u32 s36, 0
	s_waitcnt lgkmcnt(0)
	v_mad_u64_u32 v[4:5], s[0:1], s0, v3, v[4:5]
	s_cbranch_scc0 .LBB4_21
.LBB4_16:                               ;   Parent Loop BB4_3 Depth=1
                                        ; =>  This Inner Loop Header: Depth=2
	s_lshl_b64 s[26:27], s[16:17], 2
	s_add_u32 s0, s39, s26
	s_addc_u32 s1, s40, s27
	s_load_dword s37, s[0:1], 0x0
	v_pk_mov_b32 v[10:11], v[8:9], v[8:9] op_sel:[0,1]
                                        ; implicit-def: $vgpr8_vgpr9
	s_waitcnt lgkmcnt(0)
	s_ashr_i32 s0, s37, 31
	v_or_b32_e32 v3, s0, v11
	v_cmp_ne_u64_e32 vcc, 0, v[2:3]
	s_and_saveexec_b64 s[28:29], vcc
	s_xor_b64 s[28:29], exec, s[28:29]
	s_cbranch_execz .LBB4_18
; %bb.17:                               ;   in Loop: Header=BB4_16 Depth=2
	s_add_u32 s34, s37, s0
	s_mov_b32 s30, s0
	s_mov_b32 s31, s0
	s_addc_u32 s35, s0, s0
	s_xor_b64 s[34:35], s[34:35], s[30:31]
	v_cvt_f32_u32_e32 v3, s34
	v_cvt_f32_u32_e32 v5, s35
	s_sub_u32 s0, 0, s34
	s_subb_u32 s1, 0, s35
	v_mac_f32_e32 v3, 0x4f800000, v5
	v_rcp_f32_e32 v3, v3
	v_mul_f32_e32 v3, 0x5f7ffffc, v3
	v_mul_f32_e32 v5, 0x2f800000, v3
	v_trunc_f32_e32 v5, v5
	v_mac_f32_e32 v3, 0xcf800000, v5
	v_cvt_u32_f32_e32 v5, v5
	v_cvt_u32_f32_e32 v3, v3
	v_mul_lo_u32 v7, s0, v5
	v_mul_hi_u32 v9, s0, v3
	v_mul_lo_u32 v8, s1, v3
	v_add_u32_e32 v7, v9, v7
	v_mul_lo_u32 v12, s0, v3
	v_add_u32_e32 v7, v7, v8
	v_mul_lo_u32 v9, v3, v7
	v_mul_hi_u32 v13, v3, v12
	v_mul_hi_u32 v8, v3, v7
	v_add_co_u32_e32 v9, vcc, v13, v9
	v_addc_co_u32_e32 v8, vcc, 0, v8, vcc
	v_mul_hi_u32 v14, v5, v12
	v_mul_lo_u32 v12, v5, v12
	v_add_co_u32_e32 v9, vcc, v9, v12
	v_mul_hi_u32 v13, v5, v7
	v_addc_co_u32_e32 v8, vcc, v8, v14, vcc
	v_addc_co_u32_e32 v9, vcc, 0, v13, vcc
	v_mul_lo_u32 v7, v5, v7
	v_add_co_u32_e32 v7, vcc, v8, v7
	v_addc_co_u32_e32 v8, vcc, 0, v9, vcc
	v_add_co_u32_e32 v3, vcc, v3, v7
	v_addc_co_u32_e32 v5, vcc, v5, v8, vcc
	v_mul_lo_u32 v7, s0, v5
	v_mul_hi_u32 v8, s0, v3
	v_add_u32_e32 v7, v8, v7
	v_mul_lo_u32 v8, s1, v3
	v_add_u32_e32 v7, v7, v8
	v_mul_lo_u32 v9, s0, v3
	v_mul_hi_u32 v12, v5, v9
	v_mul_lo_u32 v13, v5, v9
	v_mul_lo_u32 v15, v3, v7
	v_mul_hi_u32 v9, v3, v9
	v_mul_hi_u32 v14, v3, v7
	v_add_co_u32_e32 v9, vcc, v9, v15
	v_addc_co_u32_e32 v14, vcc, 0, v14, vcc
	v_add_co_u32_e32 v9, vcc, v9, v13
	v_mul_hi_u32 v8, v5, v7
	v_addc_co_u32_e32 v9, vcc, v14, v12, vcc
	v_addc_co_u32_e32 v8, vcc, 0, v8, vcc
	v_mul_lo_u32 v7, v5, v7
	v_add_co_u32_e32 v7, vcc, v9, v7
	v_addc_co_u32_e32 v8, vcc, 0, v8, vcc
	v_add_co_u32_e32 v3, vcc, v3, v7
	v_addc_co_u32_e32 v5, vcc, v5, v8, vcc
	v_ashrrev_i32_e32 v7, 31, v11
	v_add_co_u32_e32 v8, vcc, v10, v7
	v_addc_co_u32_e32 v9, vcc, v11, v7, vcc
	v_xor_b32_e32 v14, v8, v7
	v_xor_b32_e32 v11, v9, v7
	v_mad_u64_u32 v[8:9], s[0:1], v14, v5, 0
	v_mul_hi_u32 v12, v14, v3
	v_add_co_u32_e32 v15, vcc, v12, v8
	v_addc_co_u32_e32 v16, vcc, 0, v9, vcc
	v_mad_u64_u32 v[12:13], s[0:1], v11, v3, 0
	v_add_co_u32_e32 v3, vcc, v15, v12
	v_mad_u64_u32 v[8:9], s[0:1], v11, v5, 0
	v_addc_co_u32_e32 v3, vcc, v16, v13, vcc
	v_addc_co_u32_e32 v5, vcc, 0, v9, vcc
	v_add_co_u32_e32 v3, vcc, v3, v8
	v_addc_co_u32_e32 v5, vcc, 0, v5, vcc
	v_mul_lo_u32 v12, s35, v3
	v_mul_lo_u32 v13, s34, v5
	v_mad_u64_u32 v[8:9], s[0:1], s34, v3, 0
	v_add3_u32 v9, v9, v13, v12
	v_sub_u32_e32 v12, v11, v9
	v_mov_b32_e32 v13, s35
	v_sub_co_u32_e32 v8, vcc, v14, v8
	v_subb_co_u32_e64 v12, s[0:1], v12, v13, vcc
	v_subrev_co_u32_e64 v13, s[0:1], s34, v8
	v_subbrev_co_u32_e64 v12, s[0:1], 0, v12, s[0:1]
	v_cmp_le_u32_e64 s[0:1], s35, v12
	v_cndmask_b32_e64 v14, 0, -1, s[0:1]
	v_cmp_le_u32_e64 s[0:1], s34, v13
	v_cndmask_b32_e64 v13, 0, -1, s[0:1]
	v_cmp_eq_u32_e64 s[0:1], s35, v12
	v_cndmask_b32_e64 v12, v14, v13, s[0:1]
	v_add_co_u32_e64 v13, s[0:1], 2, v3
	v_subb_co_u32_e32 v9, vcc, v11, v9, vcc
	v_addc_co_u32_e64 v14, s[0:1], 0, v5, s[0:1]
	v_cmp_le_u32_e32 vcc, s35, v9
	v_add_co_u32_e64 v15, s[0:1], 1, v3
	v_cndmask_b32_e64 v11, 0, -1, vcc
	v_cmp_le_u32_e32 vcc, s34, v8
	v_addc_co_u32_e64 v16, s[0:1], 0, v5, s[0:1]
	v_cndmask_b32_e64 v8, 0, -1, vcc
	v_cmp_eq_u32_e32 vcc, s35, v9
	v_cmp_ne_u32_e64 s[0:1], 0, v12
	v_cndmask_b32_e32 v8, v11, v8, vcc
	v_cmp_ne_u32_e32 vcc, 0, v8
	v_cndmask_b32_e64 v8, v15, v13, s[0:1]
	v_cndmask_b32_e64 v12, v16, v14, s[0:1]
	v_cndmask_b32_e32 v3, v3, v8, vcc
	v_xor_b32_e32 v9, s31, v7
	v_xor_b32_e32 v7, s30, v7
	v_cndmask_b32_e32 v5, v5, v12, vcc
	v_xor_b32_e32 v3, v3, v7
	v_xor_b32_e32 v5, v5, v9
	v_sub_co_u32_e32 v8, vcc, v3, v7
	v_subb_co_u32_e32 v9, vcc, v5, v9, vcc
.LBB4_18:                               ;   in Loop: Header=BB4_16 Depth=2
	s_andn2_saveexec_b64 s[0:1], s[28:29]
	s_cbranch_execz .LBB4_15
; %bb.19:                               ;   in Loop: Header=BB4_16 Depth=2
	v_cvt_f32_u32_e32 v3, s37
	s_sub_i32 s28, 0, s37
	v_mov_b32_e32 v9, v2
	v_rcp_iflag_f32_e32 v3, v3
	v_mul_f32_e32 v3, 0x4f7ffffe, v3
	v_cvt_u32_f32_e32 v3, v3
	v_mul_lo_u32 v5, s28, v3
	v_mul_hi_u32 v5, v3, v5
	v_add_u32_e32 v3, v3, v5
	v_mul_hi_u32 v3, v10, v3
	v_mul_lo_u32 v5, v3, s37
	v_sub_u32_e32 v5, v10, v5
	v_add_u32_e32 v7, 1, v3
	v_subrev_u32_e32 v8, s37, v5
	v_cmp_le_u32_e32 vcc, s37, v5
	v_cndmask_b32_e32 v5, v5, v8, vcc
	v_cndmask_b32_e32 v3, v3, v7, vcc
	v_add_u32_e32 v7, 1, v3
	v_cmp_le_u32_e32 vcc, s37, v5
	v_cndmask_b32_e32 v8, v3, v7, vcc
	s_branch .LBB4_15
.LBB4_20:                               ;   in Loop: Header=BB4_3 Depth=1
	s_mov_b32 s16, s45
.LBB4_21:                               ;   in Loop: Header=BB4_3 Depth=1
	s_andn2_b64 vcc, exec, s[20:21]
	s_cbranch_vccnz .LBB4_57
; %bb.22:                               ;   in Loop: Header=BB4_3 Depth=1
	s_add_i32 s26, s16, -7
.LBB4_23:                               ;   Parent Loop BB4_3 Depth=1
                                        ; =>  This Inner Loop Header: Depth=2
	s_add_i32 s16, s26, 7
	s_lshl_b64 s[28:29], s[16:17], 2
	s_add_u32 s0, s39, s28
	s_addc_u32 s1, s40, s29
	s_load_dword s50, s[0:1], 0x0
                                        ; implicit-def: $vgpr10_vgpr11
	s_waitcnt lgkmcnt(0)
	s_ashr_i32 s0, s50, 31
	v_or_b32_e32 v3, s0, v9
	v_cmp_ne_u64_e32 vcc, 0, v[2:3]
	s_and_saveexec_b64 s[30:31], vcc
	s_xor_b64 s[30:31], exec, s[30:31]
	s_cbranch_execz .LBB4_25
; %bb.24:                               ;   in Loop: Header=BB4_23 Depth=2
	s_add_u32 s36, s50, s0
	s_mov_b32 s34, s0
	s_mov_b32 s35, s0
	s_addc_u32 s37, s0, s0
	s_xor_b64 s[36:37], s[36:37], s[34:35]
	v_cvt_f32_u32_e32 v3, s36
	v_cvt_f32_u32_e32 v5, s37
	s_sub_u32 s0, 0, s36
	s_subb_u32 s1, 0, s37
	v_mac_f32_e32 v3, 0x4f800000, v5
	v_rcp_f32_e32 v3, v3
	v_mul_f32_e32 v3, 0x5f7ffffc, v3
	v_mul_f32_e32 v5, 0x2f800000, v3
	v_trunc_f32_e32 v5, v5
	v_mac_f32_e32 v3, 0xcf800000, v5
	v_cvt_u32_f32_e32 v5, v5
	v_cvt_u32_f32_e32 v3, v3
	v_mul_lo_u32 v7, s0, v5
	v_mul_hi_u32 v11, s0, v3
	v_mul_lo_u32 v10, s1, v3
	v_add_u32_e32 v7, v11, v7
	v_mul_lo_u32 v12, s0, v3
	v_add_u32_e32 v7, v7, v10
	v_mul_lo_u32 v11, v3, v7
	v_mul_hi_u32 v13, v3, v12
	v_mul_hi_u32 v10, v3, v7
	v_add_co_u32_e32 v11, vcc, v13, v11
	v_addc_co_u32_e32 v10, vcc, 0, v10, vcc
	v_mul_hi_u32 v14, v5, v12
	v_mul_lo_u32 v12, v5, v12
	v_add_co_u32_e32 v11, vcc, v11, v12
	v_mul_hi_u32 v13, v5, v7
	v_addc_co_u32_e32 v10, vcc, v10, v14, vcc
	v_addc_co_u32_e32 v11, vcc, 0, v13, vcc
	v_mul_lo_u32 v7, v5, v7
	v_add_co_u32_e32 v7, vcc, v10, v7
	v_addc_co_u32_e32 v10, vcc, 0, v11, vcc
	v_add_co_u32_e32 v3, vcc, v3, v7
	v_addc_co_u32_e32 v5, vcc, v5, v10, vcc
	v_mul_lo_u32 v7, s0, v5
	v_mul_hi_u32 v10, s0, v3
	v_add_u32_e32 v7, v10, v7
	v_mul_lo_u32 v10, s1, v3
	v_add_u32_e32 v7, v7, v10
	v_mul_lo_u32 v11, s0, v3
	v_mul_hi_u32 v12, v5, v11
	v_mul_lo_u32 v13, v5, v11
	v_mul_lo_u32 v15, v3, v7
	v_mul_hi_u32 v11, v3, v11
	v_mul_hi_u32 v14, v3, v7
	v_add_co_u32_e32 v11, vcc, v11, v15
	v_addc_co_u32_e32 v14, vcc, 0, v14, vcc
	v_add_co_u32_e32 v11, vcc, v11, v13
	v_mul_hi_u32 v10, v5, v7
	v_addc_co_u32_e32 v11, vcc, v14, v12, vcc
	v_addc_co_u32_e32 v10, vcc, 0, v10, vcc
	v_mul_lo_u32 v7, v5, v7
	v_add_co_u32_e32 v7, vcc, v11, v7
	v_addc_co_u32_e32 v10, vcc, 0, v10, vcc
	v_add_co_u32_e32 v3, vcc, v3, v7
	v_addc_co_u32_e32 v5, vcc, v5, v10, vcc
	v_ashrrev_i32_e32 v7, 31, v9
	v_add_co_u32_e32 v10, vcc, v8, v7
	v_xor_b32_e32 v14, v10, v7
	v_addc_co_u32_e32 v9, vcc, v9, v7, vcc
	v_mad_u64_u32 v[10:11], s[0:1], v14, v5, 0
	v_mul_hi_u32 v12, v14, v3
	v_xor_b32_e32 v9, v9, v7
	v_add_co_u32_e32 v15, vcc, v12, v10
	v_addc_co_u32_e32 v16, vcc, 0, v11, vcc
	v_mad_u64_u32 v[12:13], s[0:1], v9, v3, 0
	v_add_co_u32_e32 v3, vcc, v15, v12
	v_mad_u64_u32 v[10:11], s[0:1], v9, v5, 0
	v_addc_co_u32_e32 v3, vcc, v16, v13, vcc
	v_addc_co_u32_e32 v5, vcc, 0, v11, vcc
	v_add_co_u32_e32 v3, vcc, v3, v10
	v_addc_co_u32_e32 v5, vcc, 0, v5, vcc
	v_mul_lo_u32 v12, s37, v3
	v_mul_lo_u32 v13, s36, v5
	v_mad_u64_u32 v[10:11], s[0:1], s36, v3, 0
	v_add3_u32 v11, v11, v13, v12
	v_sub_u32_e32 v12, v9, v11
	v_mov_b32_e32 v13, s37
	v_sub_co_u32_e32 v10, vcc, v14, v10
	v_subb_co_u32_e64 v12, s[0:1], v12, v13, vcc
	v_subrev_co_u32_e64 v13, s[0:1], s36, v10
	v_subbrev_co_u32_e64 v12, s[0:1], 0, v12, s[0:1]
	v_cmp_le_u32_e64 s[0:1], s37, v12
	v_cndmask_b32_e64 v14, 0, -1, s[0:1]
	v_cmp_le_u32_e64 s[0:1], s36, v13
	v_cndmask_b32_e64 v13, 0, -1, s[0:1]
	v_cmp_eq_u32_e64 s[0:1], s37, v12
	v_cndmask_b32_e64 v12, v14, v13, s[0:1]
	v_add_co_u32_e64 v13, s[0:1], 2, v3
	v_subb_co_u32_e32 v9, vcc, v9, v11, vcc
	v_addc_co_u32_e64 v14, s[0:1], 0, v5, s[0:1]
	v_cmp_le_u32_e32 vcc, s37, v9
	v_add_co_u32_e64 v15, s[0:1], 1, v3
	v_cndmask_b32_e64 v11, 0, -1, vcc
	v_cmp_le_u32_e32 vcc, s36, v10
	v_addc_co_u32_e64 v16, s[0:1], 0, v5, s[0:1]
	v_cndmask_b32_e64 v10, 0, -1, vcc
	v_cmp_eq_u32_e32 vcc, s37, v9
	v_cmp_ne_u32_e64 s[0:1], 0, v12
	v_cndmask_b32_e32 v9, v11, v10, vcc
	v_cmp_ne_u32_e32 vcc, 0, v9
	v_cndmask_b32_e64 v9, v15, v13, s[0:1]
	v_cndmask_b32_e64 v12, v16, v14, s[0:1]
	v_cndmask_b32_e32 v3, v3, v9, vcc
	v_xor_b32_e32 v9, s35, v7
	v_xor_b32_e32 v7, s34, v7
	v_cndmask_b32_e32 v5, v5, v12, vcc
	v_xor_b32_e32 v3, v3, v7
	v_xor_b32_e32 v5, v5, v9
	v_sub_co_u32_e32 v10, vcc, v3, v7
	v_subb_co_u32_e32 v11, vcc, v5, v9, vcc
.LBB4_25:                               ;   in Loop: Header=BB4_23 Depth=2
	s_andn2_saveexec_b64 s[0:1], s[30:31]
	s_cbranch_execz .LBB4_27
; %bb.26:                               ;   in Loop: Header=BB4_23 Depth=2
	v_cvt_f32_u32_e32 v3, s50
	s_sub_i32 s16, 0, s50
	v_mov_b32_e32 v11, v2
	v_rcp_iflag_f32_e32 v3, v3
	v_mul_f32_e32 v3, 0x4f7ffffe, v3
	v_cvt_u32_f32_e32 v3, v3
	v_mul_lo_u32 v5, s16, v3
	v_mul_hi_u32 v5, v3, v5
	v_add_u32_e32 v3, v3, v5
	v_mul_hi_u32 v3, v8, v3
	v_mul_lo_u32 v5, v3, s50
	v_sub_u32_e32 v5, v8, v5
	v_add_u32_e32 v7, 1, v3
	v_subrev_u32_e32 v9, s50, v5
	v_cmp_le_u32_e32 vcc, s50, v5
	v_cndmask_b32_e32 v5, v5, v9, vcc
	v_cndmask_b32_e32 v3, v3, v7, vcc
	v_add_u32_e32 v7, 1, v3
	v_cmp_le_u32_e32 vcc, s50, v5
	v_cndmask_b32_e32 v10, v3, v7, vcc
.LBB4_27:                               ;   in Loop: Header=BB4_23 Depth=2
	s_or_b64 exec, exec, s[0:1]
	s_add_u32 s0, s43, s28
	s_addc_u32 s1, s44, s29
	s_add_i32 s16, s26, 6
	s_lshl_b64 s[28:29], s[16:17], 2
	s_add_u32 s30, s39, s28
	s_addc_u32 s31, s40, s29
	s_load_dword s51, s[30:31], 0x0
	s_load_dword s52, s[0:1], 0x0
                                        ; implicit-def: $vgpr12_vgpr13
	s_waitcnt lgkmcnt(0)
	s_ashr_i32 s0, s51, 31
	v_or_b32_e32 v3, s0, v11
	v_cmp_ne_u64_e32 vcc, 0, v[2:3]
	s_and_saveexec_b64 s[30:31], vcc
	s_xor_b64 s[30:31], exec, s[30:31]
	s_cbranch_execz .LBB4_29
; %bb.28:                               ;   in Loop: Header=BB4_23 Depth=2
	s_add_u32 s36, s51, s0
	s_mov_b32 s34, s0
	s_mov_b32 s35, s0
	s_addc_u32 s37, s0, s0
	s_xor_b64 s[36:37], s[36:37], s[34:35]
	v_cvt_f32_u32_e32 v3, s36
	v_cvt_f32_u32_e32 v5, s37
	s_sub_u32 s0, 0, s36
	s_subb_u32 s1, 0, s37
	v_mac_f32_e32 v3, 0x4f800000, v5
	v_rcp_f32_e32 v3, v3
	v_mul_f32_e32 v3, 0x5f7ffffc, v3
	v_mul_f32_e32 v5, 0x2f800000, v3
	v_trunc_f32_e32 v5, v5
	v_mac_f32_e32 v3, 0xcf800000, v5
	v_cvt_u32_f32_e32 v5, v5
	v_cvt_u32_f32_e32 v3, v3
	v_mul_lo_u32 v7, s0, v5
	v_mul_hi_u32 v12, s0, v3
	v_mul_lo_u32 v9, s1, v3
	v_add_u32_e32 v7, v12, v7
	v_mul_lo_u32 v13, s0, v3
	v_add_u32_e32 v7, v7, v9
	v_mul_lo_u32 v12, v3, v7
	v_mul_hi_u32 v14, v3, v13
	v_mul_hi_u32 v9, v3, v7
	v_add_co_u32_e32 v12, vcc, v14, v12
	v_addc_co_u32_e32 v9, vcc, 0, v9, vcc
	v_mul_hi_u32 v15, v5, v13
	v_mul_lo_u32 v13, v5, v13
	v_add_co_u32_e32 v12, vcc, v12, v13
	v_mul_hi_u32 v14, v5, v7
	v_addc_co_u32_e32 v9, vcc, v9, v15, vcc
	v_addc_co_u32_e32 v12, vcc, 0, v14, vcc
	v_mul_lo_u32 v7, v5, v7
	v_add_co_u32_e32 v7, vcc, v9, v7
	v_addc_co_u32_e32 v9, vcc, 0, v12, vcc
	v_add_co_u32_e32 v3, vcc, v3, v7
	v_addc_co_u32_e32 v5, vcc, v5, v9, vcc
	v_mul_lo_u32 v7, s0, v5
	v_mul_hi_u32 v9, s0, v3
	v_add_u32_e32 v7, v9, v7
	v_mul_lo_u32 v9, s1, v3
	v_add_u32_e32 v7, v7, v9
	v_mul_lo_u32 v12, s0, v3
	v_mul_hi_u32 v13, v5, v12
	v_mul_lo_u32 v14, v5, v12
	v_mul_lo_u32 v16, v3, v7
	v_mul_hi_u32 v12, v3, v12
	v_mul_hi_u32 v15, v3, v7
	v_add_co_u32_e32 v12, vcc, v12, v16
	v_addc_co_u32_e32 v15, vcc, 0, v15, vcc
	v_add_co_u32_e32 v12, vcc, v12, v14
	v_mul_hi_u32 v9, v5, v7
	v_addc_co_u32_e32 v12, vcc, v15, v13, vcc
	v_addc_co_u32_e32 v9, vcc, 0, v9, vcc
	v_mul_lo_u32 v7, v5, v7
	v_add_co_u32_e32 v7, vcc, v12, v7
	v_addc_co_u32_e32 v9, vcc, 0, v9, vcc
	v_add_co_u32_e32 v3, vcc, v3, v7
	v_addc_co_u32_e32 v5, vcc, v5, v9, vcc
	v_ashrrev_i32_e32 v7, 31, v11
	v_add_co_u32_e32 v9, vcc, v10, v7
	v_xor_b32_e32 v9, v9, v7
	v_addc_co_u32_e32 v11, vcc, v11, v7, vcc
	v_mad_u64_u32 v[12:13], s[0:1], v9, v5, 0
	v_mul_hi_u32 v14, v9, v3
	v_xor_b32_e32 v11, v11, v7
	v_add_co_u32_e32 v16, vcc, v14, v12
	v_addc_co_u32_e32 v17, vcc, 0, v13, vcc
	v_mad_u64_u32 v[14:15], s[0:1], v11, v3, 0
	v_add_co_u32_e32 v3, vcc, v16, v14
	v_mad_u64_u32 v[12:13], s[0:1], v11, v5, 0
	v_addc_co_u32_e32 v3, vcc, v17, v15, vcc
	v_addc_co_u32_e32 v5, vcc, 0, v13, vcc
	v_add_co_u32_e32 v3, vcc, v3, v12
	v_addc_co_u32_e32 v5, vcc, 0, v5, vcc
	v_mul_lo_u32 v14, s37, v3
	v_mul_lo_u32 v15, s36, v5
	v_mad_u64_u32 v[12:13], s[0:1], s36, v3, 0
	v_add3_u32 v13, v13, v15, v14
	v_sub_u32_e32 v14, v11, v13
	v_mov_b32_e32 v15, s37
	v_sub_co_u32_e32 v9, vcc, v9, v12
	v_subb_co_u32_e64 v12, s[0:1], v14, v15, vcc
	v_subrev_co_u32_e64 v14, s[0:1], s36, v9
	v_subbrev_co_u32_e64 v12, s[0:1], 0, v12, s[0:1]
	v_cmp_le_u32_e64 s[0:1], s37, v12
	v_cndmask_b32_e64 v15, 0, -1, s[0:1]
	v_cmp_le_u32_e64 s[0:1], s36, v14
	v_cndmask_b32_e64 v14, 0, -1, s[0:1]
	v_cmp_eq_u32_e64 s[0:1], s37, v12
	v_cndmask_b32_e64 v12, v15, v14, s[0:1]
	v_add_co_u32_e64 v14, s[0:1], 2, v3
	v_subb_co_u32_e32 v11, vcc, v11, v13, vcc
	v_addc_co_u32_e64 v15, s[0:1], 0, v5, s[0:1]
	v_cmp_le_u32_e32 vcc, s37, v11
	v_add_co_u32_e64 v16, s[0:1], 1, v3
	v_cndmask_b32_e64 v13, 0, -1, vcc
	v_cmp_le_u32_e32 vcc, s36, v9
	v_addc_co_u32_e64 v17, s[0:1], 0, v5, s[0:1]
	v_cndmask_b32_e64 v9, 0, -1, vcc
	v_cmp_eq_u32_e32 vcc, s37, v11
	v_cmp_ne_u32_e64 s[0:1], 0, v12
	v_cndmask_b32_e32 v9, v13, v9, vcc
	v_cmp_ne_u32_e32 vcc, 0, v9
	v_cndmask_b32_e64 v9, v16, v14, s[0:1]
	v_cndmask_b32_e64 v12, v17, v15, s[0:1]
	v_cndmask_b32_e32 v3, v3, v9, vcc
	v_xor_b32_e32 v9, s35, v7
	v_xor_b32_e32 v7, s34, v7
	v_cndmask_b32_e32 v5, v5, v12, vcc
	v_xor_b32_e32 v3, v3, v7
	v_xor_b32_e32 v5, v5, v9
	v_sub_co_u32_e32 v12, vcc, v3, v7
	v_subb_co_u32_e32 v13, vcc, v5, v9, vcc
.LBB4_29:                               ;   in Loop: Header=BB4_23 Depth=2
	s_andn2_saveexec_b64 s[0:1], s[30:31]
	s_cbranch_execz .LBB4_31
; %bb.30:                               ;   in Loop: Header=BB4_23 Depth=2
	v_cvt_f32_u32_e32 v3, s51
	s_sub_i32 s16, 0, s51
	v_mov_b32_e32 v13, v2
	v_rcp_iflag_f32_e32 v3, v3
	v_mul_f32_e32 v3, 0x4f7ffffe, v3
	v_cvt_u32_f32_e32 v3, v3
	v_mul_lo_u32 v5, s16, v3
	v_mul_hi_u32 v5, v3, v5
	v_add_u32_e32 v3, v3, v5
	v_mul_hi_u32 v3, v10, v3
	v_mul_lo_u32 v5, v3, s51
	v_sub_u32_e32 v5, v10, v5
	v_add_u32_e32 v7, 1, v3
	v_subrev_u32_e32 v9, s51, v5
	v_cmp_le_u32_e32 vcc, s51, v5
	v_cndmask_b32_e32 v5, v5, v9, vcc
	v_cndmask_b32_e32 v3, v3, v7, vcc
	v_add_u32_e32 v7, 1, v3
	v_cmp_le_u32_e32 vcc, s51, v5
	v_cndmask_b32_e32 v12, v3, v7, vcc
.LBB4_31:                               ;   in Loop: Header=BB4_23 Depth=2
	s_or_b64 exec, exec, s[0:1]
	s_add_u32 s0, s43, s28
	s_addc_u32 s1, s44, s29
	s_add_i32 s16, s26, 5
	s_lshl_b64 s[28:29], s[16:17], 2
	s_add_u32 s30, s39, s28
	s_addc_u32 s31, s40, s29
	s_load_dword s53, s[30:31], 0x0
	s_load_dword s54, s[0:1], 0x0
                                        ; implicit-def: $vgpr14_vgpr15
	s_waitcnt lgkmcnt(0)
	s_ashr_i32 s0, s53, 31
	v_or_b32_e32 v3, s0, v13
	v_cmp_ne_u64_e32 vcc, 0, v[2:3]
	s_and_saveexec_b64 s[30:31], vcc
	s_xor_b64 s[30:31], exec, s[30:31]
	s_cbranch_execz .LBB4_33
; %bb.32:                               ;   in Loop: Header=BB4_23 Depth=2
	s_add_u32 s36, s53, s0
	s_mov_b32 s34, s0
	s_mov_b32 s35, s0
	s_addc_u32 s37, s0, s0
	s_xor_b64 s[36:37], s[36:37], s[34:35]
	v_cvt_f32_u32_e32 v3, s36
	v_cvt_f32_u32_e32 v5, s37
	s_sub_u32 s0, 0, s36
	s_subb_u32 s1, 0, s37
	v_mac_f32_e32 v3, 0x4f800000, v5
	v_rcp_f32_e32 v3, v3
	v_mul_f32_e32 v3, 0x5f7ffffc, v3
	v_mul_f32_e32 v5, 0x2f800000, v3
	v_trunc_f32_e32 v5, v5
	v_mac_f32_e32 v3, 0xcf800000, v5
	v_cvt_u32_f32_e32 v5, v5
	v_cvt_u32_f32_e32 v3, v3
	v_mul_lo_u32 v7, s0, v5
	v_mul_hi_u32 v11, s0, v3
	v_mul_lo_u32 v9, s1, v3
	v_add_u32_e32 v7, v11, v7
	v_mul_lo_u32 v14, s0, v3
	v_add_u32_e32 v7, v7, v9
	v_mul_lo_u32 v11, v3, v7
	v_mul_hi_u32 v15, v3, v14
	v_mul_hi_u32 v9, v3, v7
	v_add_co_u32_e32 v11, vcc, v15, v11
	v_addc_co_u32_e32 v9, vcc, 0, v9, vcc
	v_mul_hi_u32 v16, v5, v14
	v_mul_lo_u32 v14, v5, v14
	v_add_co_u32_e32 v11, vcc, v11, v14
	v_mul_hi_u32 v15, v5, v7
	v_addc_co_u32_e32 v9, vcc, v9, v16, vcc
	v_addc_co_u32_e32 v11, vcc, 0, v15, vcc
	v_mul_lo_u32 v7, v5, v7
	v_add_co_u32_e32 v7, vcc, v9, v7
	v_addc_co_u32_e32 v9, vcc, 0, v11, vcc
	v_add_co_u32_e32 v3, vcc, v3, v7
	v_addc_co_u32_e32 v5, vcc, v5, v9, vcc
	v_mul_lo_u32 v7, s0, v5
	v_mul_hi_u32 v9, s0, v3
	v_add_u32_e32 v7, v9, v7
	v_mul_lo_u32 v9, s1, v3
	v_add_u32_e32 v7, v7, v9
	v_mul_lo_u32 v11, s0, v3
	v_mul_hi_u32 v14, v5, v11
	v_mul_lo_u32 v15, v5, v11
	v_mul_lo_u32 v17, v3, v7
	v_mul_hi_u32 v11, v3, v11
	v_mul_hi_u32 v16, v3, v7
	v_add_co_u32_e32 v11, vcc, v11, v17
	v_addc_co_u32_e32 v16, vcc, 0, v16, vcc
	v_add_co_u32_e32 v11, vcc, v11, v15
	v_mul_hi_u32 v9, v5, v7
	v_addc_co_u32_e32 v11, vcc, v16, v14, vcc
	v_addc_co_u32_e32 v9, vcc, 0, v9, vcc
	v_mul_lo_u32 v7, v5, v7
	v_add_co_u32_e32 v7, vcc, v11, v7
	v_addc_co_u32_e32 v9, vcc, 0, v9, vcc
	v_add_co_u32_e32 v3, vcc, v3, v7
	v_addc_co_u32_e32 v5, vcc, v5, v9, vcc
	v_ashrrev_i32_e32 v7, 31, v13
	v_add_co_u32_e32 v9, vcc, v12, v7
	v_xor_b32_e32 v9, v9, v7
	v_addc_co_u32_e32 v11, vcc, v13, v7, vcc
	v_mad_u64_u32 v[14:15], s[0:1], v9, v5, 0
	v_mul_hi_u32 v13, v9, v3
	v_xor_b32_e32 v11, v11, v7
	v_add_co_u32_e32 v13, vcc, v13, v14
	v_addc_co_u32_e32 v18, vcc, 0, v15, vcc
	v_mad_u64_u32 v[16:17], s[0:1], v11, v3, 0
	v_add_co_u32_e32 v3, vcc, v13, v16
	v_mad_u64_u32 v[14:15], s[0:1], v11, v5, 0
	v_addc_co_u32_e32 v3, vcc, v18, v17, vcc
	v_addc_co_u32_e32 v5, vcc, 0, v15, vcc
	v_add_co_u32_e32 v3, vcc, v3, v14
	v_addc_co_u32_e32 v5, vcc, 0, v5, vcc
	v_mul_lo_u32 v13, s37, v3
	v_mul_lo_u32 v16, s36, v5
	v_mad_u64_u32 v[14:15], s[0:1], s36, v3, 0
	v_add3_u32 v13, v15, v16, v13
	v_sub_u32_e32 v15, v11, v13
	v_mov_b32_e32 v16, s37
	v_sub_co_u32_e32 v9, vcc, v9, v14
	v_subb_co_u32_e64 v14, s[0:1], v15, v16, vcc
	v_subrev_co_u32_e64 v15, s[0:1], s36, v9
	v_subbrev_co_u32_e64 v14, s[0:1], 0, v14, s[0:1]
	v_cmp_le_u32_e64 s[0:1], s37, v14
	v_cndmask_b32_e64 v16, 0, -1, s[0:1]
	v_cmp_le_u32_e64 s[0:1], s36, v15
	v_cndmask_b32_e64 v15, 0, -1, s[0:1]
	v_cmp_eq_u32_e64 s[0:1], s37, v14
	v_cndmask_b32_e64 v14, v16, v15, s[0:1]
	v_add_co_u32_e64 v15, s[0:1], 2, v3
	v_subb_co_u32_e32 v11, vcc, v11, v13, vcc
	v_addc_co_u32_e64 v16, s[0:1], 0, v5, s[0:1]
	v_cmp_le_u32_e32 vcc, s37, v11
	v_add_co_u32_e64 v17, s[0:1], 1, v3
	v_cndmask_b32_e64 v13, 0, -1, vcc
	v_cmp_le_u32_e32 vcc, s36, v9
	v_addc_co_u32_e64 v18, s[0:1], 0, v5, s[0:1]
	v_cndmask_b32_e64 v9, 0, -1, vcc
	v_cmp_eq_u32_e32 vcc, s37, v11
	v_cmp_ne_u32_e64 s[0:1], 0, v14
	v_cndmask_b32_e32 v9, v13, v9, vcc
	v_cmp_ne_u32_e32 vcc, 0, v9
	v_cndmask_b32_e64 v9, v17, v15, s[0:1]
	v_cndmask_b32_e64 v14, v18, v16, s[0:1]
	v_cndmask_b32_e32 v3, v3, v9, vcc
	v_xor_b32_e32 v9, s35, v7
	v_xor_b32_e32 v7, s34, v7
	v_cndmask_b32_e32 v5, v5, v14, vcc
	v_xor_b32_e32 v3, v3, v7
	v_xor_b32_e32 v5, v5, v9
	v_sub_co_u32_e32 v14, vcc, v3, v7
	v_subb_co_u32_e32 v15, vcc, v5, v9, vcc
.LBB4_33:                               ;   in Loop: Header=BB4_23 Depth=2
	s_andn2_saveexec_b64 s[0:1], s[30:31]
	s_cbranch_execz .LBB4_35
; %bb.34:                               ;   in Loop: Header=BB4_23 Depth=2
	v_cvt_f32_u32_e32 v3, s53
	s_sub_i32 s16, 0, s53
	v_mov_b32_e32 v15, v2
	v_rcp_iflag_f32_e32 v3, v3
	v_mul_f32_e32 v3, 0x4f7ffffe, v3
	v_cvt_u32_f32_e32 v3, v3
	v_mul_lo_u32 v5, s16, v3
	v_mul_hi_u32 v5, v3, v5
	v_add_u32_e32 v3, v3, v5
	v_mul_hi_u32 v3, v12, v3
	v_mul_lo_u32 v5, v3, s53
	v_sub_u32_e32 v5, v12, v5
	v_add_u32_e32 v7, 1, v3
	v_subrev_u32_e32 v9, s53, v5
	v_cmp_le_u32_e32 vcc, s53, v5
	v_cndmask_b32_e32 v5, v5, v9, vcc
	v_cndmask_b32_e32 v3, v3, v7, vcc
	v_add_u32_e32 v7, 1, v3
	v_cmp_le_u32_e32 vcc, s53, v5
	v_cndmask_b32_e32 v14, v3, v7, vcc
.LBB4_35:                               ;   in Loop: Header=BB4_23 Depth=2
	s_or_b64 exec, exec, s[0:1]
	s_add_u32 s0, s43, s28
	s_addc_u32 s1, s44, s29
	s_add_i32 s16, s26, 4
	s_lshl_b64 s[28:29], s[16:17], 2
	s_add_u32 s30, s39, s28
	s_addc_u32 s31, s40, s29
	s_load_dword s55, s[30:31], 0x0
	s_load_dword s56, s[0:1], 0x0
                                        ; implicit-def: $vgpr16_vgpr17
	s_waitcnt lgkmcnt(0)
	s_ashr_i32 s0, s55, 31
	v_or_b32_e32 v3, s0, v15
	v_cmp_ne_u64_e32 vcc, 0, v[2:3]
	s_and_saveexec_b64 s[30:31], vcc
	s_xor_b64 s[30:31], exec, s[30:31]
	s_cbranch_execz .LBB4_37
; %bb.36:                               ;   in Loop: Header=BB4_23 Depth=2
	s_add_u32 s36, s55, s0
	s_mov_b32 s34, s0
	s_mov_b32 s35, s0
	s_addc_u32 s37, s0, s0
	s_xor_b64 s[36:37], s[36:37], s[34:35]
	v_cvt_f32_u32_e32 v3, s36
	v_cvt_f32_u32_e32 v5, s37
	s_sub_u32 s0, 0, s36
	s_subb_u32 s1, 0, s37
	v_mac_f32_e32 v3, 0x4f800000, v5
	v_rcp_f32_e32 v3, v3
	v_mul_f32_e32 v3, 0x5f7ffffc, v3
	v_mul_f32_e32 v5, 0x2f800000, v3
	v_trunc_f32_e32 v5, v5
	v_mac_f32_e32 v3, 0xcf800000, v5
	v_cvt_u32_f32_e32 v5, v5
	v_cvt_u32_f32_e32 v3, v3
	v_mul_lo_u32 v7, s0, v5
	v_mul_hi_u32 v11, s0, v3
	v_mul_lo_u32 v9, s1, v3
	v_add_u32_e32 v7, v11, v7
	v_mul_lo_u32 v13, s0, v3
	v_add_u32_e32 v7, v7, v9
	v_mul_lo_u32 v11, v3, v7
	v_mul_hi_u32 v16, v3, v13
	v_mul_hi_u32 v9, v3, v7
	v_add_co_u32_e32 v11, vcc, v16, v11
	v_addc_co_u32_e32 v9, vcc, 0, v9, vcc
	v_mul_hi_u32 v17, v5, v13
	v_mul_lo_u32 v13, v5, v13
	v_add_co_u32_e32 v11, vcc, v11, v13
	v_mul_hi_u32 v16, v5, v7
	v_addc_co_u32_e32 v9, vcc, v9, v17, vcc
	v_addc_co_u32_e32 v11, vcc, 0, v16, vcc
	v_mul_lo_u32 v7, v5, v7
	v_add_co_u32_e32 v7, vcc, v9, v7
	v_addc_co_u32_e32 v9, vcc, 0, v11, vcc
	v_add_co_u32_e32 v3, vcc, v3, v7
	v_addc_co_u32_e32 v5, vcc, v5, v9, vcc
	v_mul_lo_u32 v7, s0, v5
	v_mul_hi_u32 v9, s0, v3
	v_add_u32_e32 v7, v9, v7
	v_mul_lo_u32 v9, s1, v3
	v_add_u32_e32 v7, v7, v9
	v_mul_lo_u32 v11, s0, v3
	v_mul_hi_u32 v13, v5, v11
	v_mul_lo_u32 v16, v5, v11
	v_mul_lo_u32 v18, v3, v7
	v_mul_hi_u32 v11, v3, v11
	v_mul_hi_u32 v17, v3, v7
	v_add_co_u32_e32 v11, vcc, v11, v18
	v_addc_co_u32_e32 v17, vcc, 0, v17, vcc
	v_add_co_u32_e32 v11, vcc, v11, v16
	v_mul_hi_u32 v9, v5, v7
	v_addc_co_u32_e32 v11, vcc, v17, v13, vcc
	v_addc_co_u32_e32 v9, vcc, 0, v9, vcc
	v_mul_lo_u32 v7, v5, v7
	v_add_co_u32_e32 v7, vcc, v11, v7
	v_addc_co_u32_e32 v9, vcc, 0, v9, vcc
	v_add_co_u32_e32 v3, vcc, v3, v7
	v_addc_co_u32_e32 v5, vcc, v5, v9, vcc
	v_ashrrev_i32_e32 v7, 31, v15
	v_add_co_u32_e32 v9, vcc, v14, v7
	v_xor_b32_e32 v9, v9, v7
	v_addc_co_u32_e32 v11, vcc, v15, v7, vcc
	v_mad_u64_u32 v[16:17], s[0:1], v9, v5, 0
	v_mul_hi_u32 v13, v9, v3
	v_xor_b32_e32 v11, v11, v7
	v_add_co_u32_e32 v13, vcc, v13, v16
	v_addc_co_u32_e32 v15, vcc, 0, v17, vcc
	v_mad_u64_u32 v[18:19], s[0:1], v11, v3, 0
	v_add_co_u32_e32 v3, vcc, v13, v18
	v_mad_u64_u32 v[16:17], s[0:1], v11, v5, 0
	v_addc_co_u32_e32 v3, vcc, v15, v19, vcc
	v_addc_co_u32_e32 v5, vcc, 0, v17, vcc
	v_add_co_u32_e32 v3, vcc, v3, v16
	v_addc_co_u32_e32 v5, vcc, 0, v5, vcc
	v_mul_lo_u32 v13, s37, v3
	v_mul_lo_u32 v15, s36, v5
	v_mad_u64_u32 v[16:17], s[0:1], s36, v3, 0
	v_add3_u32 v13, v17, v15, v13
	v_sub_u32_e32 v15, v11, v13
	v_mov_b32_e32 v17, s37
	v_sub_co_u32_e32 v9, vcc, v9, v16
	v_subb_co_u32_e64 v15, s[0:1], v15, v17, vcc
	v_subrev_co_u32_e64 v16, s[0:1], s36, v9
	v_subbrev_co_u32_e64 v15, s[0:1], 0, v15, s[0:1]
	v_cmp_le_u32_e64 s[0:1], s37, v15
	v_cndmask_b32_e64 v17, 0, -1, s[0:1]
	v_cmp_le_u32_e64 s[0:1], s36, v16
	v_cndmask_b32_e64 v16, 0, -1, s[0:1]
	v_cmp_eq_u32_e64 s[0:1], s37, v15
	v_cndmask_b32_e64 v15, v17, v16, s[0:1]
	v_add_co_u32_e64 v16, s[0:1], 2, v3
	v_subb_co_u32_e32 v11, vcc, v11, v13, vcc
	v_addc_co_u32_e64 v17, s[0:1], 0, v5, s[0:1]
	v_cmp_le_u32_e32 vcc, s37, v11
	v_add_co_u32_e64 v18, s[0:1], 1, v3
	v_cndmask_b32_e64 v13, 0, -1, vcc
	v_cmp_le_u32_e32 vcc, s36, v9
	v_addc_co_u32_e64 v19, s[0:1], 0, v5, s[0:1]
	v_cndmask_b32_e64 v9, 0, -1, vcc
	v_cmp_eq_u32_e32 vcc, s37, v11
	v_cmp_ne_u32_e64 s[0:1], 0, v15
	v_cndmask_b32_e32 v9, v13, v9, vcc
	v_cmp_ne_u32_e32 vcc, 0, v9
	v_cndmask_b32_e64 v9, v18, v16, s[0:1]
	v_cndmask_b32_e64 v15, v19, v17, s[0:1]
	v_cndmask_b32_e32 v3, v3, v9, vcc
	v_xor_b32_e32 v9, s35, v7
	v_xor_b32_e32 v7, s34, v7
	v_cndmask_b32_e32 v5, v5, v15, vcc
	v_xor_b32_e32 v3, v3, v7
	v_xor_b32_e32 v5, v5, v9
	v_sub_co_u32_e32 v16, vcc, v3, v7
	v_subb_co_u32_e32 v17, vcc, v5, v9, vcc
.LBB4_37:                               ;   in Loop: Header=BB4_23 Depth=2
	s_andn2_saveexec_b64 s[0:1], s[30:31]
	s_cbranch_execz .LBB4_39
; %bb.38:                               ;   in Loop: Header=BB4_23 Depth=2
	v_cvt_f32_u32_e32 v3, s55
	s_sub_i32 s16, 0, s55
	v_mov_b32_e32 v17, v2
	v_rcp_iflag_f32_e32 v3, v3
	v_mul_f32_e32 v3, 0x4f7ffffe, v3
	v_cvt_u32_f32_e32 v3, v3
	v_mul_lo_u32 v5, s16, v3
	v_mul_hi_u32 v5, v3, v5
	v_add_u32_e32 v3, v3, v5
	v_mul_hi_u32 v3, v14, v3
	v_mul_lo_u32 v5, v3, s55
	v_sub_u32_e32 v5, v14, v5
	v_add_u32_e32 v7, 1, v3
	v_subrev_u32_e32 v9, s55, v5
	v_cmp_le_u32_e32 vcc, s55, v5
	v_cndmask_b32_e32 v5, v5, v9, vcc
	v_cndmask_b32_e32 v3, v3, v7, vcc
	v_add_u32_e32 v7, 1, v3
	v_cmp_le_u32_e32 vcc, s55, v5
	v_cndmask_b32_e32 v16, v3, v7, vcc
.LBB4_39:                               ;   in Loop: Header=BB4_23 Depth=2
	s_or_b64 exec, exec, s[0:1]
	s_add_u32 s0, s43, s28
	s_addc_u32 s1, s44, s29
	s_add_i32 s16, s26, 3
	s_lshl_b64 s[28:29], s[16:17], 2
	s_add_u32 s30, s39, s28
	s_addc_u32 s31, s40, s29
	s_load_dword s57, s[30:31], 0x0
	s_load_dword s58, s[0:1], 0x0
                                        ; implicit-def: $vgpr18_vgpr19
	s_waitcnt lgkmcnt(0)
	s_ashr_i32 s0, s57, 31
	v_or_b32_e32 v3, s0, v17
	v_cmp_ne_u64_e32 vcc, 0, v[2:3]
	s_and_saveexec_b64 s[30:31], vcc
	s_xor_b64 s[30:31], exec, s[30:31]
	s_cbranch_execz .LBB4_41
; %bb.40:                               ;   in Loop: Header=BB4_23 Depth=2
	s_add_u32 s36, s57, s0
	s_mov_b32 s34, s0
	s_mov_b32 s35, s0
	s_addc_u32 s37, s0, s0
	s_xor_b64 s[36:37], s[36:37], s[34:35]
	v_cvt_f32_u32_e32 v3, s36
	v_cvt_f32_u32_e32 v5, s37
	s_sub_u32 s0, 0, s36
	s_subb_u32 s1, 0, s37
	v_mac_f32_e32 v3, 0x4f800000, v5
	v_rcp_f32_e32 v3, v3
	v_mul_f32_e32 v3, 0x5f7ffffc, v3
	v_mul_f32_e32 v5, 0x2f800000, v3
	v_trunc_f32_e32 v5, v5
	v_mac_f32_e32 v3, 0xcf800000, v5
	v_cvt_u32_f32_e32 v5, v5
	v_cvt_u32_f32_e32 v3, v3
	v_mul_lo_u32 v7, s0, v5
	v_mul_hi_u32 v11, s0, v3
	v_mul_lo_u32 v9, s1, v3
	v_add_u32_e32 v7, v11, v7
	v_mul_lo_u32 v13, s0, v3
	v_add_u32_e32 v7, v7, v9
	v_mul_lo_u32 v11, v3, v7
	v_mul_hi_u32 v15, v3, v13
	v_mul_hi_u32 v9, v3, v7
	v_add_co_u32_e32 v11, vcc, v15, v11
	v_addc_co_u32_e32 v9, vcc, 0, v9, vcc
	v_mul_hi_u32 v18, v5, v13
	v_mul_lo_u32 v13, v5, v13
	v_add_co_u32_e32 v11, vcc, v11, v13
	v_mul_hi_u32 v15, v5, v7
	v_addc_co_u32_e32 v9, vcc, v9, v18, vcc
	v_addc_co_u32_e32 v11, vcc, 0, v15, vcc
	v_mul_lo_u32 v7, v5, v7
	v_add_co_u32_e32 v7, vcc, v9, v7
	v_addc_co_u32_e32 v9, vcc, 0, v11, vcc
	v_add_co_u32_e32 v3, vcc, v3, v7
	v_addc_co_u32_e32 v5, vcc, v5, v9, vcc
	v_mul_lo_u32 v7, s0, v5
	v_mul_hi_u32 v9, s0, v3
	v_add_u32_e32 v7, v9, v7
	v_mul_lo_u32 v9, s1, v3
	v_add_u32_e32 v7, v7, v9
	v_mul_lo_u32 v11, s0, v3
	v_mul_hi_u32 v13, v5, v11
	v_mul_lo_u32 v15, v5, v11
	v_mul_lo_u32 v19, v3, v7
	v_mul_hi_u32 v11, v3, v11
	v_mul_hi_u32 v18, v3, v7
	v_add_co_u32_e32 v11, vcc, v11, v19
	v_addc_co_u32_e32 v18, vcc, 0, v18, vcc
	v_add_co_u32_e32 v11, vcc, v11, v15
	v_mul_hi_u32 v9, v5, v7
	v_addc_co_u32_e32 v11, vcc, v18, v13, vcc
	v_addc_co_u32_e32 v9, vcc, 0, v9, vcc
	v_mul_lo_u32 v7, v5, v7
	v_add_co_u32_e32 v7, vcc, v11, v7
	v_addc_co_u32_e32 v9, vcc, 0, v9, vcc
	v_add_co_u32_e32 v3, vcc, v3, v7
	v_addc_co_u32_e32 v5, vcc, v5, v9, vcc
	v_ashrrev_i32_e32 v7, 31, v17
	v_add_co_u32_e32 v9, vcc, v16, v7
	v_xor_b32_e32 v9, v9, v7
	v_addc_co_u32_e32 v11, vcc, v17, v7, vcc
	v_mad_u64_u32 v[18:19], s[0:1], v9, v5, 0
	v_mul_hi_u32 v13, v9, v3
	v_xor_b32_e32 v11, v11, v7
	v_add_co_u32_e32 v13, vcc, v13, v18
	v_addc_co_u32_e32 v15, vcc, 0, v19, vcc
	v_mad_u64_u32 v[20:21], s[0:1], v11, v3, 0
	v_add_co_u32_e32 v3, vcc, v13, v20
	v_mad_u64_u32 v[18:19], s[0:1], v11, v5, 0
	v_addc_co_u32_e32 v3, vcc, v15, v21, vcc
	v_addc_co_u32_e32 v5, vcc, 0, v19, vcc
	v_add_co_u32_e32 v3, vcc, v3, v18
	v_addc_co_u32_e32 v5, vcc, 0, v5, vcc
	v_mul_lo_u32 v13, s37, v3
	v_mul_lo_u32 v15, s36, v5
	v_mad_u64_u32 v[18:19], s[0:1], s36, v3, 0
	v_add3_u32 v13, v19, v15, v13
	v_sub_u32_e32 v15, v11, v13
	v_mov_b32_e32 v17, s37
	v_sub_co_u32_e32 v9, vcc, v9, v18
	v_subb_co_u32_e64 v15, s[0:1], v15, v17, vcc
	v_subrev_co_u32_e64 v17, s[0:1], s36, v9
	v_subbrev_co_u32_e64 v15, s[0:1], 0, v15, s[0:1]
	v_cmp_le_u32_e64 s[0:1], s37, v15
	v_cndmask_b32_e64 v18, 0, -1, s[0:1]
	v_cmp_le_u32_e64 s[0:1], s36, v17
	v_cndmask_b32_e64 v17, 0, -1, s[0:1]
	v_cmp_eq_u32_e64 s[0:1], s37, v15
	v_cndmask_b32_e64 v15, v18, v17, s[0:1]
	v_add_co_u32_e64 v17, s[0:1], 2, v3
	v_subb_co_u32_e32 v11, vcc, v11, v13, vcc
	v_addc_co_u32_e64 v18, s[0:1], 0, v5, s[0:1]
	v_cmp_le_u32_e32 vcc, s37, v11
	v_add_co_u32_e64 v19, s[0:1], 1, v3
	v_cndmask_b32_e64 v13, 0, -1, vcc
	v_cmp_le_u32_e32 vcc, s36, v9
	v_addc_co_u32_e64 v20, s[0:1], 0, v5, s[0:1]
	v_cndmask_b32_e64 v9, 0, -1, vcc
	v_cmp_eq_u32_e32 vcc, s37, v11
	v_cmp_ne_u32_e64 s[0:1], 0, v15
	v_cndmask_b32_e32 v9, v13, v9, vcc
	v_cmp_ne_u32_e32 vcc, 0, v9
	v_cndmask_b32_e64 v9, v19, v17, s[0:1]
	v_cndmask_b32_e64 v15, v20, v18, s[0:1]
	v_cndmask_b32_e32 v3, v3, v9, vcc
	v_xor_b32_e32 v9, s35, v7
	v_xor_b32_e32 v7, s34, v7
	v_cndmask_b32_e32 v5, v5, v15, vcc
	v_xor_b32_e32 v3, v3, v7
	v_xor_b32_e32 v5, v5, v9
	v_sub_co_u32_e32 v18, vcc, v3, v7
	v_subb_co_u32_e32 v19, vcc, v5, v9, vcc
.LBB4_41:                               ;   in Loop: Header=BB4_23 Depth=2
	s_andn2_saveexec_b64 s[0:1], s[30:31]
	s_cbranch_execz .LBB4_43
; %bb.42:                               ;   in Loop: Header=BB4_23 Depth=2
	v_cvt_f32_u32_e32 v3, s57
	s_sub_i32 s16, 0, s57
	v_mov_b32_e32 v19, v2
	v_rcp_iflag_f32_e32 v3, v3
	v_mul_f32_e32 v3, 0x4f7ffffe, v3
	v_cvt_u32_f32_e32 v3, v3
	v_mul_lo_u32 v5, s16, v3
	v_mul_hi_u32 v5, v3, v5
	v_add_u32_e32 v3, v3, v5
	v_mul_hi_u32 v3, v16, v3
	v_mul_lo_u32 v5, v3, s57
	v_sub_u32_e32 v5, v16, v5
	v_add_u32_e32 v7, 1, v3
	v_subrev_u32_e32 v9, s57, v5
	v_cmp_le_u32_e32 vcc, s57, v5
	v_cndmask_b32_e32 v5, v5, v9, vcc
	v_cndmask_b32_e32 v3, v3, v7, vcc
	v_add_u32_e32 v7, 1, v3
	v_cmp_le_u32_e32 vcc, s57, v5
	v_cndmask_b32_e32 v18, v3, v7, vcc
.LBB4_43:                               ;   in Loop: Header=BB4_23 Depth=2
	s_or_b64 exec, exec, s[0:1]
	s_add_u32 s0, s43, s28
	s_addc_u32 s1, s44, s29
	s_add_i32 s16, s26, 2
	s_lshl_b64 s[28:29], s[16:17], 2
	s_add_u32 s30, s39, s28
	s_addc_u32 s31, s40, s29
	s_load_dword s59, s[30:31], 0x0
	s_load_dword s60, s[0:1], 0x0
                                        ; implicit-def: $vgpr20_vgpr21
	s_waitcnt lgkmcnt(0)
	s_ashr_i32 s0, s59, 31
	v_or_b32_e32 v3, s0, v19
	v_cmp_ne_u64_e32 vcc, 0, v[2:3]
	s_and_saveexec_b64 s[30:31], vcc
	s_xor_b64 s[30:31], exec, s[30:31]
	s_cbranch_execz .LBB4_45
; %bb.44:                               ;   in Loop: Header=BB4_23 Depth=2
	s_add_u32 s36, s59, s0
	s_mov_b32 s34, s0
	s_mov_b32 s35, s0
	s_addc_u32 s37, s0, s0
	s_xor_b64 s[36:37], s[36:37], s[34:35]
	v_cvt_f32_u32_e32 v3, s36
	v_cvt_f32_u32_e32 v5, s37
	s_sub_u32 s0, 0, s36
	s_subb_u32 s1, 0, s37
	v_mac_f32_e32 v3, 0x4f800000, v5
	v_rcp_f32_e32 v3, v3
	v_mul_f32_e32 v3, 0x5f7ffffc, v3
	v_mul_f32_e32 v5, 0x2f800000, v3
	v_trunc_f32_e32 v5, v5
	v_mac_f32_e32 v3, 0xcf800000, v5
	v_cvt_u32_f32_e32 v5, v5
	v_cvt_u32_f32_e32 v3, v3
	v_mul_lo_u32 v7, s0, v5
	v_mul_hi_u32 v11, s0, v3
	v_mul_lo_u32 v9, s1, v3
	v_add_u32_e32 v7, v11, v7
	v_mul_lo_u32 v13, s0, v3
	v_add_u32_e32 v7, v7, v9
	v_mul_lo_u32 v11, v3, v7
	v_mul_hi_u32 v15, v3, v13
	v_mul_hi_u32 v9, v3, v7
	v_add_co_u32_e32 v11, vcc, v15, v11
	v_addc_co_u32_e32 v9, vcc, 0, v9, vcc
	v_mul_hi_u32 v17, v5, v13
	v_mul_lo_u32 v13, v5, v13
	v_add_co_u32_e32 v11, vcc, v11, v13
	v_mul_hi_u32 v15, v5, v7
	v_addc_co_u32_e32 v9, vcc, v9, v17, vcc
	v_addc_co_u32_e32 v11, vcc, 0, v15, vcc
	v_mul_lo_u32 v7, v5, v7
	v_add_co_u32_e32 v7, vcc, v9, v7
	v_addc_co_u32_e32 v9, vcc, 0, v11, vcc
	v_add_co_u32_e32 v3, vcc, v3, v7
	v_addc_co_u32_e32 v5, vcc, v5, v9, vcc
	v_mul_lo_u32 v7, s0, v5
	v_mul_hi_u32 v9, s0, v3
	v_add_u32_e32 v7, v9, v7
	v_mul_lo_u32 v9, s1, v3
	v_add_u32_e32 v7, v7, v9
	v_mul_lo_u32 v11, s0, v3
	v_mul_hi_u32 v13, v5, v11
	v_mul_lo_u32 v15, v5, v11
	v_mul_lo_u32 v20, v3, v7
	v_mul_hi_u32 v11, v3, v11
	v_mul_hi_u32 v17, v3, v7
	v_add_co_u32_e32 v11, vcc, v11, v20
	v_addc_co_u32_e32 v17, vcc, 0, v17, vcc
	v_add_co_u32_e32 v11, vcc, v11, v15
	v_mul_hi_u32 v9, v5, v7
	v_addc_co_u32_e32 v11, vcc, v17, v13, vcc
	v_addc_co_u32_e32 v9, vcc, 0, v9, vcc
	v_mul_lo_u32 v7, v5, v7
	v_add_co_u32_e32 v7, vcc, v11, v7
	v_addc_co_u32_e32 v9, vcc, 0, v9, vcc
	v_add_co_u32_e32 v3, vcc, v3, v7
	v_addc_co_u32_e32 v5, vcc, v5, v9, vcc
	v_ashrrev_i32_e32 v7, 31, v19
	v_add_co_u32_e32 v9, vcc, v18, v7
	v_xor_b32_e32 v9, v9, v7
	v_addc_co_u32_e32 v11, vcc, v19, v7, vcc
	v_mad_u64_u32 v[20:21], s[0:1], v9, v5, 0
	v_mul_hi_u32 v13, v9, v3
	v_xor_b32_e32 v11, v11, v7
	v_add_co_u32_e32 v13, vcc, v13, v20
	v_addc_co_u32_e32 v15, vcc, 0, v21, vcc
	v_mad_u64_u32 v[22:23], s[0:1], v11, v3, 0
	v_add_co_u32_e32 v3, vcc, v13, v22
	v_mad_u64_u32 v[20:21], s[0:1], v11, v5, 0
	v_addc_co_u32_e32 v3, vcc, v15, v23, vcc
	v_addc_co_u32_e32 v5, vcc, 0, v21, vcc
	v_add_co_u32_e32 v3, vcc, v3, v20
	v_addc_co_u32_e32 v5, vcc, 0, v5, vcc
	v_mul_lo_u32 v13, s37, v3
	v_mul_lo_u32 v15, s36, v5
	v_mad_u64_u32 v[20:21], s[0:1], s36, v3, 0
	v_add3_u32 v13, v21, v15, v13
	v_sub_u32_e32 v15, v11, v13
	v_mov_b32_e32 v17, s37
	v_sub_co_u32_e32 v9, vcc, v9, v20
	v_subb_co_u32_e64 v15, s[0:1], v15, v17, vcc
	v_subrev_co_u32_e64 v17, s[0:1], s36, v9
	v_subbrev_co_u32_e64 v15, s[0:1], 0, v15, s[0:1]
	v_cmp_le_u32_e64 s[0:1], s37, v15
	v_cndmask_b32_e64 v19, 0, -1, s[0:1]
	v_cmp_le_u32_e64 s[0:1], s36, v17
	v_cndmask_b32_e64 v17, 0, -1, s[0:1]
	v_cmp_eq_u32_e64 s[0:1], s37, v15
	v_cndmask_b32_e64 v15, v19, v17, s[0:1]
	v_add_co_u32_e64 v17, s[0:1], 2, v3
	v_subb_co_u32_e32 v11, vcc, v11, v13, vcc
	v_addc_co_u32_e64 v19, s[0:1], 0, v5, s[0:1]
	v_cmp_le_u32_e32 vcc, s37, v11
	v_add_co_u32_e64 v20, s[0:1], 1, v3
	v_cndmask_b32_e64 v13, 0, -1, vcc
	v_cmp_le_u32_e32 vcc, s36, v9
	v_addc_co_u32_e64 v21, s[0:1], 0, v5, s[0:1]
	v_cndmask_b32_e64 v9, 0, -1, vcc
	v_cmp_eq_u32_e32 vcc, s37, v11
	v_cmp_ne_u32_e64 s[0:1], 0, v15
	v_cndmask_b32_e32 v9, v13, v9, vcc
	v_cmp_ne_u32_e32 vcc, 0, v9
	v_cndmask_b32_e64 v9, v20, v17, s[0:1]
	v_cndmask_b32_e64 v15, v21, v19, s[0:1]
	v_cndmask_b32_e32 v3, v3, v9, vcc
	v_xor_b32_e32 v9, s35, v7
	v_xor_b32_e32 v7, s34, v7
	v_cndmask_b32_e32 v5, v5, v15, vcc
	v_xor_b32_e32 v3, v3, v7
	v_xor_b32_e32 v5, v5, v9
	v_sub_co_u32_e32 v20, vcc, v3, v7
	v_subb_co_u32_e32 v21, vcc, v5, v9, vcc
.LBB4_45:                               ;   in Loop: Header=BB4_23 Depth=2
	s_andn2_saveexec_b64 s[0:1], s[30:31]
	s_cbranch_execz .LBB4_47
; %bb.46:                               ;   in Loop: Header=BB4_23 Depth=2
	v_cvt_f32_u32_e32 v3, s59
	s_sub_i32 s16, 0, s59
	v_mov_b32_e32 v21, v2
	v_rcp_iflag_f32_e32 v3, v3
	v_mul_f32_e32 v3, 0x4f7ffffe, v3
	v_cvt_u32_f32_e32 v3, v3
	v_mul_lo_u32 v5, s16, v3
	v_mul_hi_u32 v5, v3, v5
	v_add_u32_e32 v3, v3, v5
	v_mul_hi_u32 v3, v18, v3
	v_mul_lo_u32 v5, v3, s59
	v_sub_u32_e32 v5, v18, v5
	v_add_u32_e32 v7, 1, v3
	v_subrev_u32_e32 v9, s59, v5
	v_cmp_le_u32_e32 vcc, s59, v5
	v_cndmask_b32_e32 v5, v5, v9, vcc
	v_cndmask_b32_e32 v3, v3, v7, vcc
	v_add_u32_e32 v7, 1, v3
	v_cmp_le_u32_e32 vcc, s59, v5
	v_cndmask_b32_e32 v20, v3, v7, vcc
.LBB4_47:                               ;   in Loop: Header=BB4_23 Depth=2
	s_or_b64 exec, exec, s[0:1]
	s_add_u32 s0, s43, s28
	s_addc_u32 s1, s44, s29
	s_add_i32 s16, s26, 1
	s_lshl_b64 s[28:29], s[16:17], 2
	s_add_u32 s30, s39, s28
	s_addc_u32 s31, s40, s29
	s_load_dword s16, s[30:31], 0x0
	s_load_dword s61, s[0:1], 0x0
                                        ; implicit-def: $vgpr22_vgpr23
	s_waitcnt lgkmcnt(0)
	s_ashr_i32 s0, s16, 31
	v_or_b32_e32 v3, s0, v21
	v_cmp_ne_u64_e32 vcc, 0, v[2:3]
	s_and_saveexec_b64 s[30:31], vcc
	s_xor_b64 s[30:31], exec, s[30:31]
	s_cbranch_execz .LBB4_49
; %bb.48:                               ;   in Loop: Header=BB4_23 Depth=2
	s_add_u32 s36, s16, s0
	s_mov_b32 s34, s0
	s_mov_b32 s35, s0
	s_addc_u32 s37, s0, s0
	s_xor_b64 s[36:37], s[36:37], s[34:35]
	v_cvt_f32_u32_e32 v3, s36
	v_cvt_f32_u32_e32 v5, s37
	s_sub_u32 s0, 0, s36
	s_subb_u32 s1, 0, s37
	v_mac_f32_e32 v3, 0x4f800000, v5
	v_rcp_f32_e32 v3, v3
	v_mul_f32_e32 v3, 0x5f7ffffc, v3
	v_mul_f32_e32 v5, 0x2f800000, v3
	v_trunc_f32_e32 v5, v5
	v_mac_f32_e32 v3, 0xcf800000, v5
	v_cvt_u32_f32_e32 v5, v5
	v_cvt_u32_f32_e32 v3, v3
	v_mul_lo_u32 v7, s0, v5
	v_mul_hi_u32 v11, s0, v3
	v_mul_lo_u32 v9, s1, v3
	v_add_u32_e32 v7, v11, v7
	v_mul_lo_u32 v13, s0, v3
	v_add_u32_e32 v7, v7, v9
	v_mul_lo_u32 v11, v3, v7
	v_mul_hi_u32 v15, v3, v13
	v_mul_hi_u32 v9, v3, v7
	v_add_co_u32_e32 v11, vcc, v15, v11
	v_addc_co_u32_e32 v9, vcc, 0, v9, vcc
	v_mul_hi_u32 v17, v5, v13
	v_mul_lo_u32 v13, v5, v13
	v_add_co_u32_e32 v11, vcc, v11, v13
	v_mul_hi_u32 v15, v5, v7
	v_addc_co_u32_e32 v9, vcc, v9, v17, vcc
	v_addc_co_u32_e32 v11, vcc, 0, v15, vcc
	v_mul_lo_u32 v7, v5, v7
	v_add_co_u32_e32 v7, vcc, v9, v7
	v_addc_co_u32_e32 v9, vcc, 0, v11, vcc
	v_add_co_u32_e32 v3, vcc, v3, v7
	v_addc_co_u32_e32 v5, vcc, v5, v9, vcc
	v_mul_lo_u32 v7, s0, v5
	v_mul_hi_u32 v9, s0, v3
	v_add_u32_e32 v7, v9, v7
	v_mul_lo_u32 v9, s1, v3
	v_add_u32_e32 v7, v7, v9
	v_mul_lo_u32 v11, s0, v3
	v_mul_hi_u32 v13, v5, v11
	v_mul_lo_u32 v15, v5, v11
	v_mul_lo_u32 v19, v3, v7
	v_mul_hi_u32 v11, v3, v11
	v_mul_hi_u32 v17, v3, v7
	v_add_co_u32_e32 v11, vcc, v11, v19
	v_addc_co_u32_e32 v17, vcc, 0, v17, vcc
	v_add_co_u32_e32 v11, vcc, v11, v15
	v_mul_hi_u32 v9, v5, v7
	v_addc_co_u32_e32 v11, vcc, v17, v13, vcc
	v_addc_co_u32_e32 v9, vcc, 0, v9, vcc
	v_mul_lo_u32 v7, v5, v7
	v_add_co_u32_e32 v7, vcc, v11, v7
	v_addc_co_u32_e32 v9, vcc, 0, v9, vcc
	v_add_co_u32_e32 v3, vcc, v3, v7
	v_addc_co_u32_e32 v5, vcc, v5, v9, vcc
	v_ashrrev_i32_e32 v7, 31, v21
	v_add_co_u32_e32 v9, vcc, v20, v7
	v_xor_b32_e32 v9, v9, v7
	v_addc_co_u32_e32 v11, vcc, v21, v7, vcc
	v_mad_u64_u32 v[22:23], s[0:1], v9, v5, 0
	v_mul_hi_u32 v13, v9, v3
	v_xor_b32_e32 v11, v11, v7
	v_add_co_u32_e32 v13, vcc, v13, v22
	v_addc_co_u32_e32 v15, vcc, 0, v23, vcc
	v_mad_u64_u32 v[24:25], s[0:1], v11, v3, 0
	v_add_co_u32_e32 v3, vcc, v13, v24
	v_mad_u64_u32 v[22:23], s[0:1], v11, v5, 0
	v_addc_co_u32_e32 v3, vcc, v15, v25, vcc
	v_addc_co_u32_e32 v5, vcc, 0, v23, vcc
	v_add_co_u32_e32 v3, vcc, v3, v22
	v_addc_co_u32_e32 v5, vcc, 0, v5, vcc
	v_mul_lo_u32 v13, s37, v3
	v_mul_lo_u32 v15, s36, v5
	v_mad_u64_u32 v[22:23], s[0:1], s36, v3, 0
	v_add3_u32 v13, v23, v15, v13
	v_sub_u32_e32 v15, v11, v13
	v_mov_b32_e32 v17, s37
	v_sub_co_u32_e32 v9, vcc, v9, v22
	v_subb_co_u32_e64 v15, s[0:1], v15, v17, vcc
	v_subrev_co_u32_e64 v17, s[0:1], s36, v9
	v_subbrev_co_u32_e64 v15, s[0:1], 0, v15, s[0:1]
	v_cmp_le_u32_e64 s[0:1], s37, v15
	v_cndmask_b32_e64 v19, 0, -1, s[0:1]
	v_cmp_le_u32_e64 s[0:1], s36, v17
	v_cndmask_b32_e64 v17, 0, -1, s[0:1]
	v_cmp_eq_u32_e64 s[0:1], s37, v15
	v_cndmask_b32_e64 v15, v19, v17, s[0:1]
	v_add_co_u32_e64 v17, s[0:1], 2, v3
	v_subb_co_u32_e32 v11, vcc, v11, v13, vcc
	v_addc_co_u32_e64 v19, s[0:1], 0, v5, s[0:1]
	v_cmp_le_u32_e32 vcc, s37, v11
	v_add_co_u32_e64 v21, s[0:1], 1, v3
	v_cndmask_b32_e64 v13, 0, -1, vcc
	v_cmp_le_u32_e32 vcc, s36, v9
	v_addc_co_u32_e64 v22, s[0:1], 0, v5, s[0:1]
	v_cndmask_b32_e64 v9, 0, -1, vcc
	v_cmp_eq_u32_e32 vcc, s37, v11
	v_cmp_ne_u32_e64 s[0:1], 0, v15
	v_cndmask_b32_e32 v9, v13, v9, vcc
	v_cmp_ne_u32_e32 vcc, 0, v9
	v_cndmask_b32_e64 v9, v21, v17, s[0:1]
	v_cndmask_b32_e64 v15, v22, v19, s[0:1]
	v_cndmask_b32_e32 v3, v3, v9, vcc
	v_xor_b32_e32 v9, s35, v7
	v_xor_b32_e32 v7, s34, v7
	v_cndmask_b32_e32 v5, v5, v15, vcc
	v_xor_b32_e32 v3, v3, v7
	v_xor_b32_e32 v5, v5, v9
	v_sub_co_u32_e32 v22, vcc, v3, v7
	v_subb_co_u32_e32 v23, vcc, v5, v9, vcc
.LBB4_49:                               ;   in Loop: Header=BB4_23 Depth=2
	s_andn2_saveexec_b64 s[0:1], s[30:31]
	s_cbranch_execz .LBB4_51
; %bb.50:                               ;   in Loop: Header=BB4_23 Depth=2
	v_cvt_f32_u32_e32 v3, s16
	s_sub_i32 s27, 0, s16
	v_mov_b32_e32 v23, v2
	v_rcp_iflag_f32_e32 v3, v3
	v_mul_f32_e32 v3, 0x4f7ffffe, v3
	v_cvt_u32_f32_e32 v3, v3
	v_mul_lo_u32 v5, s27, v3
	v_mul_hi_u32 v5, v3, v5
	v_add_u32_e32 v3, v3, v5
	v_mul_hi_u32 v3, v20, v3
	v_mul_lo_u32 v5, v3, s16
	v_sub_u32_e32 v5, v20, v5
	v_add_u32_e32 v7, 1, v3
	v_subrev_u32_e32 v9, s16, v5
	v_cmp_le_u32_e32 vcc, s16, v5
	v_cndmask_b32_e32 v5, v5, v9, vcc
	v_cndmask_b32_e32 v3, v3, v7, vcc
	v_add_u32_e32 v7, 1, v3
	v_cmp_le_u32_e32 vcc, s16, v5
	v_cndmask_b32_e32 v22, v3, v7, vcc
.LBB4_51:                               ;   in Loop: Header=BB4_23 Depth=2
	s_or_b64 exec, exec, s[0:1]
	s_add_u32 s0, s43, s28
	s_mov_b32 s27, s17
	s_addc_u32 s1, s44, s29
	s_lshl_b64 s[28:29], s[26:27], 2
	s_add_u32 s30, s39, s28
	s_addc_u32 s31, s40, s29
	s_load_dword s27, s[30:31], 0x0
	s_load_dword s62, s[0:1], 0x0
                                        ; implicit-def: $vgpr24_vgpr25
	s_waitcnt lgkmcnt(0)
	s_ashr_i32 s0, s27, 31
	v_or_b32_e32 v3, s0, v23
	v_cmp_ne_u64_e32 vcc, 0, v[2:3]
	s_and_saveexec_b64 s[30:31], vcc
	s_xor_b64 s[30:31], exec, s[30:31]
	s_cbranch_execz .LBB4_53
; %bb.52:                               ;   in Loop: Header=BB4_23 Depth=2
	s_add_u32 s36, s27, s0
	s_mov_b32 s34, s0
	s_mov_b32 s35, s0
	s_addc_u32 s37, s0, s0
	s_xor_b64 s[36:37], s[36:37], s[34:35]
	v_cvt_f32_u32_e32 v3, s36
	v_cvt_f32_u32_e32 v5, s37
	s_sub_u32 s0, 0, s36
	s_subb_u32 s1, 0, s37
	v_mac_f32_e32 v3, 0x4f800000, v5
	v_rcp_f32_e32 v3, v3
	v_mul_f32_e32 v3, 0x5f7ffffc, v3
	v_mul_f32_e32 v5, 0x2f800000, v3
	v_trunc_f32_e32 v5, v5
	v_mac_f32_e32 v3, 0xcf800000, v5
	v_cvt_u32_f32_e32 v5, v5
	v_cvt_u32_f32_e32 v3, v3
	v_mul_lo_u32 v7, s0, v5
	v_mul_hi_u32 v11, s0, v3
	v_mul_lo_u32 v9, s1, v3
	v_add_u32_e32 v7, v11, v7
	v_mul_lo_u32 v13, s0, v3
	v_add_u32_e32 v7, v7, v9
	v_mul_lo_u32 v11, v3, v7
	v_mul_hi_u32 v15, v3, v13
	v_mul_hi_u32 v9, v3, v7
	v_add_co_u32_e32 v11, vcc, v15, v11
	v_addc_co_u32_e32 v9, vcc, 0, v9, vcc
	v_mul_hi_u32 v17, v5, v13
	v_mul_lo_u32 v13, v5, v13
	v_add_co_u32_e32 v11, vcc, v11, v13
	v_mul_hi_u32 v15, v5, v7
	v_addc_co_u32_e32 v9, vcc, v9, v17, vcc
	v_addc_co_u32_e32 v11, vcc, 0, v15, vcc
	v_mul_lo_u32 v7, v5, v7
	v_add_co_u32_e32 v7, vcc, v9, v7
	v_addc_co_u32_e32 v9, vcc, 0, v11, vcc
	v_add_co_u32_e32 v3, vcc, v3, v7
	v_addc_co_u32_e32 v5, vcc, v5, v9, vcc
	v_mul_lo_u32 v7, s0, v5
	v_mul_hi_u32 v9, s0, v3
	v_add_u32_e32 v7, v9, v7
	v_mul_lo_u32 v9, s1, v3
	v_add_u32_e32 v7, v7, v9
	v_mul_lo_u32 v11, s0, v3
	v_mul_hi_u32 v13, v5, v11
	v_mul_lo_u32 v15, v5, v11
	v_mul_lo_u32 v19, v3, v7
	v_mul_hi_u32 v11, v3, v11
	v_mul_hi_u32 v17, v3, v7
	v_add_co_u32_e32 v11, vcc, v11, v19
	v_addc_co_u32_e32 v17, vcc, 0, v17, vcc
	v_add_co_u32_e32 v11, vcc, v11, v15
	v_mul_hi_u32 v9, v5, v7
	v_addc_co_u32_e32 v11, vcc, v17, v13, vcc
	v_addc_co_u32_e32 v9, vcc, 0, v9, vcc
	v_mul_lo_u32 v7, v5, v7
	v_add_co_u32_e32 v7, vcc, v11, v7
	v_addc_co_u32_e32 v9, vcc, 0, v9, vcc
	v_add_co_u32_e32 v3, vcc, v3, v7
	v_addc_co_u32_e32 v5, vcc, v5, v9, vcc
	v_ashrrev_i32_e32 v7, 31, v23
	v_add_co_u32_e32 v9, vcc, v22, v7
	v_xor_b32_e32 v9, v9, v7
	v_addc_co_u32_e32 v11, vcc, v23, v7, vcc
	v_mad_u64_u32 v[24:25], s[0:1], v9, v5, 0
	v_mul_hi_u32 v13, v9, v3
	v_xor_b32_e32 v11, v11, v7
	v_add_co_u32_e32 v13, vcc, v13, v24
	v_addc_co_u32_e32 v15, vcc, 0, v25, vcc
	v_mad_u64_u32 v[30:31], s[0:1], v11, v3, 0
	v_add_co_u32_e32 v3, vcc, v13, v30
	v_mad_u64_u32 v[24:25], s[0:1], v11, v5, 0
	v_addc_co_u32_e32 v3, vcc, v15, v31, vcc
	v_addc_co_u32_e32 v5, vcc, 0, v25, vcc
	v_add_co_u32_e32 v3, vcc, v3, v24
	v_addc_co_u32_e32 v5, vcc, 0, v5, vcc
	v_mul_lo_u32 v13, s37, v3
	v_mul_lo_u32 v15, s36, v5
	v_mad_u64_u32 v[24:25], s[0:1], s36, v3, 0
	v_add3_u32 v13, v25, v15, v13
	v_sub_u32_e32 v15, v11, v13
	v_mov_b32_e32 v17, s37
	v_sub_co_u32_e32 v9, vcc, v9, v24
	v_subb_co_u32_e64 v15, s[0:1], v15, v17, vcc
	v_subrev_co_u32_e64 v17, s[0:1], s36, v9
	v_subbrev_co_u32_e64 v15, s[0:1], 0, v15, s[0:1]
	v_cmp_le_u32_e64 s[0:1], s37, v15
	v_cndmask_b32_e64 v19, 0, -1, s[0:1]
	v_cmp_le_u32_e64 s[0:1], s36, v17
	v_cndmask_b32_e64 v17, 0, -1, s[0:1]
	v_cmp_eq_u32_e64 s[0:1], s37, v15
	v_cndmask_b32_e64 v15, v19, v17, s[0:1]
	v_add_co_u32_e64 v17, s[0:1], 2, v3
	v_subb_co_u32_e32 v11, vcc, v11, v13, vcc
	v_addc_co_u32_e64 v19, s[0:1], 0, v5, s[0:1]
	v_cmp_le_u32_e32 vcc, s37, v11
	v_add_co_u32_e64 v21, s[0:1], 1, v3
	v_cndmask_b32_e64 v13, 0, -1, vcc
	v_cmp_le_u32_e32 vcc, s36, v9
	v_addc_co_u32_e64 v23, s[0:1], 0, v5, s[0:1]
	v_cndmask_b32_e64 v9, 0, -1, vcc
	v_cmp_eq_u32_e32 vcc, s37, v11
	v_cmp_ne_u32_e64 s[0:1], 0, v15
	v_cndmask_b32_e32 v9, v13, v9, vcc
	v_cmp_ne_u32_e32 vcc, 0, v9
	v_cndmask_b32_e64 v9, v21, v17, s[0:1]
	v_cndmask_b32_e64 v15, v23, v19, s[0:1]
	v_cndmask_b32_e32 v3, v3, v9, vcc
	v_xor_b32_e32 v9, s35, v7
	v_xor_b32_e32 v7, s34, v7
	v_cndmask_b32_e32 v5, v5, v15, vcc
	v_xor_b32_e32 v3, v3, v7
	v_xor_b32_e32 v5, v5, v9
	v_sub_co_u32_e32 v24, vcc, v3, v7
	v_subb_co_u32_e32 v25, vcc, v5, v9, vcc
.LBB4_53:                               ;   in Loop: Header=BB4_23 Depth=2
	s_andn2_saveexec_b64 s[0:1], s[30:31]
	s_cbranch_execz .LBB4_55
; %bb.54:                               ;   in Loop: Header=BB4_23 Depth=2
	v_cvt_f32_u32_e32 v3, s27
	s_sub_i32 s30, 0, s27
	v_mov_b32_e32 v25, v2
	v_rcp_iflag_f32_e32 v3, v3
	v_mul_f32_e32 v3, 0x4f7ffffe, v3
	v_cvt_u32_f32_e32 v3, v3
	v_mul_lo_u32 v5, s30, v3
	v_mul_hi_u32 v5, v3, v5
	v_add_u32_e32 v3, v3, v5
	v_mul_hi_u32 v3, v22, v3
	v_mul_lo_u32 v5, v3, s27
	v_sub_u32_e32 v5, v22, v5
	v_add_u32_e32 v7, 1, v3
	v_subrev_u32_e32 v9, s27, v5
	v_cmp_le_u32_e32 vcc, s27, v5
	v_cndmask_b32_e32 v5, v5, v9, vcc
	v_cndmask_b32_e32 v3, v3, v7, vcc
	v_add_u32_e32 v7, 1, v3
	v_cmp_le_u32_e32 vcc, s27, v5
	v_cndmask_b32_e32 v24, v3, v7, vcc
.LBB4_55:                               ;   in Loop: Header=BB4_23 Depth=2
	s_or_b64 exec, exec, s[0:1]
	v_mul_lo_u32 v3, v10, s50
	v_mul_lo_u32 v5, v12, s51
	v_sub_u32_e32 v3, v8, v3
	v_sub_u32_e32 v5, v10, v5
	v_mul_lo_u32 v3, s52, v3
	v_mul_lo_u32 v5, s54, v5
	v_add3_u32 v3, v3, v4, v5
	v_mul_lo_u32 v4, v14, s53
	v_mul_lo_u32 v5, v16, s55
	v_sub_u32_e32 v4, v12, v4
	v_sub_u32_e32 v5, v14, v5
	s_add_u32 s0, s43, s28
	v_mul_lo_u32 v4, s56, v4
	v_mul_lo_u32 v5, s58, v5
	s_addc_u32 s1, s44, s29
	v_add3_u32 v3, v4, v3, v5
	v_mul_lo_u32 v4, v18, s57
	v_mul_lo_u32 v5, v20, s59
	s_load_dword s0, s[0:1], 0x0
	v_sub_u32_e32 v4, v16, v4
	v_sub_u32_e32 v5, v18, v5
	v_mul_lo_u32 v4, s60, v4
	v_mul_lo_u32 v5, s61, v5
	v_add3_u32 v3, v4, v3, v5
	v_mul_lo_u32 v4, v22, s16
	v_mul_lo_u32 v5, v24, s27
	v_sub_u32_e32 v4, v20, v4
	v_sub_u32_e32 v5, v22, v5
	v_mul_lo_u32 v4, s62, v4
	s_waitcnt lgkmcnt(0)
	v_mul_lo_u32 v5, s0, v5
	s_add_i32 s26, s26, -8
	s_cmp_eq_u32 s26, -8
	v_add3_u32 v4, v4, v3, v5
	s_cbranch_scc1 .LBB4_57
; %bb.56:                               ;   in Loop: Header=BB4_23 Depth=2
	v_pk_mov_b32 v[8:9], v[24:25], v[24:25] op_sel:[0,1]
	s_branch .LBB4_23
.LBB4_57:                               ;   in Loop: Header=BB4_3 Depth=1
	s_load_dword s16, s[14:15], 0x0
	s_waitcnt lgkmcnt(0)
	v_cmp_gt_i32_e32 vcc, s16, v28
	s_and_b64 exec, exec, vcc
	s_cbranch_execz .LBB4_2
; %bb.58:                               ;   in Loop: Header=BB4_3 Depth=1
	v_ashrrev_i32_e32 v7, 31, v6
	v_cmp_lt_i64_e32 vcc, s[8:9], v[6:7]
	s_and_saveexec_b64 s[0:1], vcc
	s_cbranch_execz .LBB4_60
; %bb.59:                               ;   in Loop: Header=BB4_3 Depth=1
	v_ashrrev_i32_e32 v3, 31, v4
	v_mov_b32_e32 v5, s3
	v_add_co_u32_e32 v6, vcc, s2, v4
	v_addc_co_u32_e32 v7, vcc, v5, v3, vcc
	global_store_byte v[6:7], v2, off
.LBB4_60:                               ;   in Loop: Header=BB4_3 Depth=1
	s_or_b64 exec, exec, s[0:1]
	v_add_u32_e32 v3, 1, v28
	v_cmp_gt_i32_e32 vcc, s16, v3
	s_and_b64 exec, exec, vcc
	s_cbranch_execz .LBB4_2
; %bb.61:                               ;   in Loop: Header=BB4_3 Depth=1
	v_sub_u32_e32 v6, v3, v27
	v_ashrrev_i32_e32 v7, 31, v6
	v_cmp_lt_i64_e32 vcc, s[8:9], v[6:7]
	s_and_saveexec_b64 s[0:1], vcc
	s_cbranch_execz .LBB4_63
; %bb.62:                               ;   in Loop: Header=BB4_3 Depth=1
	v_add_u32_e32 v3, s49, v4
	v_ashrrev_i32_e32 v5, 31, v3
	v_mov_b32_e32 v7, s3
	v_add_co_u32_e32 v6, vcc, s2, v3
	v_addc_co_u32_e32 v7, vcc, v7, v5, vcc
	global_store_byte v[6:7], v2, off
.LBB4_63:                               ;   in Loop: Header=BB4_3 Depth=1
	s_or_b64 exec, exec, s[0:1]
	v_add_u32_e32 v3, 2, v28
	v_cmp_gt_i32_e32 vcc, s16, v3
	s_and_b64 exec, exec, vcc
	s_cbranch_execz .LBB4_2
; %bb.64:                               ;   in Loop: Header=BB4_3 Depth=1
	v_sub_u32_e32 v6, v3, v27
	v_ashrrev_i32_e32 v7, 31, v6
	v_cmp_lt_i64_e32 vcc, s[8:9], v[6:7]
	s_and_saveexec_b64 s[0:1], vcc
	s_cbranch_execz .LBB4_66
; %bb.65:                               ;   in Loop: Header=BB4_3 Depth=1
	v_lshl_add_u32 v3, s49, 1, v4
	v_ashrrev_i32_e32 v5, 31, v3
	v_mov_b32_e32 v7, s3
	v_add_co_u32_e32 v6, vcc, s2, v3
	v_addc_co_u32_e32 v7, vcc, v7, v5, vcc
	global_store_byte v[6:7], v2, off
.LBB4_66:                               ;   in Loop: Header=BB4_3 Depth=1
	s_or_b64 exec, exec, s[0:1]
	v_add_u32_e32 v3, 3, v28
	v_cmp_gt_i32_e32 vcc, s16, v3
	s_and_b64 exec, exec, vcc
	s_cbranch_execz .LBB4_2
; %bb.67:                               ;   in Loop: Header=BB4_3 Depth=1
	v_sub_u32_e32 v6, v3, v27
	v_ashrrev_i32_e32 v7, 31, v6
	v_cmp_lt_i64_e32 vcc, s[8:9], v[6:7]
	s_and_b64 exec, exec, vcc
	s_cbranch_execz .LBB4_2
; %bb.68:                               ;   in Loop: Header=BB4_3 Depth=1
	v_mad_u64_u32 v[4:5], s[0:1], s49, 3, v[4:5]
	v_ashrrev_i32_e32 v3, 31, v4
	v_mov_b32_e32 v5, s3
	v_add_co_u32_e32 v4, vcc, s2, v4
	v_addc_co_u32_e32 v5, vcc, v5, v3, vcc
	global_store_byte v[4:5], v2, off
	s_branch .LBB4_2
.LBB4_69:
	s_endpgm
	.section	.rodata,"a",@progbits
	.p2align	6, 0x0
	.amdhsa_kernel _ZN2at6native16triu_tril_kernelIaiLb0ELi4ELb1EEEvNS_4cuda6detail10TensorInfoIT_T0_EENS4_IKS5_S6_EEllS6_
		.amdhsa_group_segment_fixed_size 0
		.amdhsa_private_segment_fixed_size 0
		.amdhsa_kernarg_size 712
		.amdhsa_user_sgpr_count 6
		.amdhsa_user_sgpr_private_segment_buffer 1
		.amdhsa_user_sgpr_dispatch_ptr 0
		.amdhsa_user_sgpr_queue_ptr 0
		.amdhsa_user_sgpr_kernarg_segment_ptr 1
		.amdhsa_user_sgpr_dispatch_id 0
		.amdhsa_user_sgpr_flat_scratch_init 0
		.amdhsa_user_sgpr_kernarg_preload_length 0
		.amdhsa_user_sgpr_kernarg_preload_offset 0
		.amdhsa_user_sgpr_private_segment_size 0
		.amdhsa_uses_dynamic_stack 0
		.amdhsa_system_sgpr_private_segment_wavefront_offset 0
		.amdhsa_system_sgpr_workgroup_id_x 1
		.amdhsa_system_sgpr_workgroup_id_y 0
		.amdhsa_system_sgpr_workgroup_id_z 0
		.amdhsa_system_sgpr_workgroup_info 0
		.amdhsa_system_vgpr_workitem_id 0
		.amdhsa_next_free_vgpr 32
		.amdhsa_next_free_sgpr 63
		.amdhsa_accum_offset 32
		.amdhsa_reserve_vcc 1
		.amdhsa_reserve_flat_scratch 0
		.amdhsa_float_round_mode_32 0
		.amdhsa_float_round_mode_16_64 0
		.amdhsa_float_denorm_mode_32 3
		.amdhsa_float_denorm_mode_16_64 3
		.amdhsa_dx10_clamp 1
		.amdhsa_ieee_mode 1
		.amdhsa_fp16_overflow 0
		.amdhsa_tg_split 0
		.amdhsa_exception_fp_ieee_invalid_op 0
		.amdhsa_exception_fp_denorm_src 0
		.amdhsa_exception_fp_ieee_div_zero 0
		.amdhsa_exception_fp_ieee_overflow 0
		.amdhsa_exception_fp_ieee_underflow 0
		.amdhsa_exception_fp_ieee_inexact 0
		.amdhsa_exception_int_div_zero 0
	.end_amdhsa_kernel
	.section	.text._ZN2at6native16triu_tril_kernelIaiLb0ELi4ELb1EEEvNS_4cuda6detail10TensorInfoIT_T0_EENS4_IKS5_S6_EEllS6_,"axG",@progbits,_ZN2at6native16triu_tril_kernelIaiLb0ELi4ELb1EEEvNS_4cuda6detail10TensorInfoIT_T0_EENS4_IKS5_S6_EEllS6_,comdat
.Lfunc_end4:
	.size	_ZN2at6native16triu_tril_kernelIaiLb0ELi4ELb1EEEvNS_4cuda6detail10TensorInfoIT_T0_EENS4_IKS5_S6_EEllS6_, .Lfunc_end4-_ZN2at6native16triu_tril_kernelIaiLb0ELi4ELb1EEEvNS_4cuda6detail10TensorInfoIT_T0_EENS4_IKS5_S6_EEllS6_
                                        ; -- End function
	.section	.AMDGPU.csdata,"",@progbits
; Kernel info:
; codeLenInByte = 10264
; NumSgprs: 67
; NumVgprs: 32
; NumAgprs: 0
; TotalNumVgprs: 32
; ScratchSize: 0
; MemoryBound: 0
; FloatMode: 240
; IeeeMode: 1
; LDSByteSize: 0 bytes/workgroup (compile time only)
; SGPRBlocks: 8
; VGPRBlocks: 3
; NumSGPRsForWavesPerEU: 67
; NumVGPRsForWavesPerEU: 32
; AccumOffset: 32
; Occupancy: 8
; WaveLimiterHint : 0
; COMPUTE_PGM_RSRC2:SCRATCH_EN: 0
; COMPUTE_PGM_RSRC2:USER_SGPR: 6
; COMPUTE_PGM_RSRC2:TRAP_HANDLER: 0
; COMPUTE_PGM_RSRC2:TGID_X_EN: 1
; COMPUTE_PGM_RSRC2:TGID_Y_EN: 0
; COMPUTE_PGM_RSRC2:TGID_Z_EN: 0
; COMPUTE_PGM_RSRC2:TIDIG_COMP_CNT: 0
; COMPUTE_PGM_RSRC3_GFX90A:ACCUM_OFFSET: 7
; COMPUTE_PGM_RSRC3_GFX90A:TG_SPLIT: 0
	.section	.text._ZN2at6native16triu_tril_kernelIaiLb0ELi4ELb0EEEvNS_4cuda6detail10TensorInfoIT_T0_EENS4_IKS5_S6_EEllS6_,"axG",@progbits,_ZN2at6native16triu_tril_kernelIaiLb0ELi4ELb0EEEvNS_4cuda6detail10TensorInfoIT_T0_EENS4_IKS5_S6_EEllS6_,comdat
	.protected	_ZN2at6native16triu_tril_kernelIaiLb0ELi4ELb0EEEvNS_4cuda6detail10TensorInfoIT_T0_EENS4_IKS5_S6_EEllS6_ ; -- Begin function _ZN2at6native16triu_tril_kernelIaiLb0ELi4ELb0EEEvNS_4cuda6detail10TensorInfoIT_T0_EENS4_IKS5_S6_EEllS6_
	.globl	_ZN2at6native16triu_tril_kernelIaiLb0ELi4ELb0EEEvNS_4cuda6detail10TensorInfoIT_T0_EENS4_IKS5_S6_EEllS6_
	.p2align	8
	.type	_ZN2at6native16triu_tril_kernelIaiLb0ELi4ELb0EEEvNS_4cuda6detail10TensorInfoIT_T0_EENS4_IKS5_S6_EEllS6_,@function
_ZN2at6native16triu_tril_kernelIaiLb0ELi4ELb0EEEvNS_4cuda6detail10TensorInfoIT_T0_EENS4_IKS5_S6_EEllS6_: ; @_ZN2at6native16triu_tril_kernelIaiLb0ELi4ELb0EEEvNS_4cuda6detail10TensorInfoIT_T0_EENS4_IKS5_S6_EEllS6_
; %bb.0:
	s_load_dword s2, s[4:5], 0x1d4
	s_load_dwordx4 s[8:11], s[4:5], 0x1b0
	s_add_u32 s0, s4, 0x1c8
	v_mov_b32_e32 v2, 0
	s_addc_u32 s1, s5, 0
	s_waitcnt lgkmcnt(0)
	s_and_b32 s2, s2, 0xffff
	v_mov_b32_e32 v1, v2
	v_mov_b32_e32 v3, s6
	v_mad_u64_u32 v[0:1], s[6:7], s2, v3, v[0:1]
	v_lshlrev_b64 v[0:1], 2, v[0:1]
	s_mov_b32 s33, 0xffff
	v_cmp_gt_i64_e32 vcc, s[10:11], v[0:1]
	s_and_saveexec_b64 s[6:7], vcc
	s_cbranch_execz .LBB5_58
; %bb.1:
	s_load_dword s20, s[4:5], 0x1a8
	s_add_u32 s38, s4, 0xd8
	s_addc_u32 s39, s5, 0
	s_load_dword s3, s[0:1], 0x0
	s_load_dwordx2 s[6:7], s[4:5], 0xd8
	s_mov_b64 s[26:27], 0
	s_waitcnt lgkmcnt(0)
	s_ashr_i32 s21, s20, 31
	s_lshl_b64 s[0:1], s[20:21], 2
	s_add_u32 s18, s0, -8
	s_addc_u32 s19, s1, -1
	s_add_u32 s0, s38, s18
	s_addc_u32 s1, s39, s19
	s_load_dwordx2 s[12:13], s[0:1], 0x8
	s_load_dword s40, s[4:5], 0x1c0
	s_load_dwordx2 s[16:17], s[0:1], 0x6c
	s_mul_i32 s3, s3, s2
	v_cmp_gt_i64_e64 s[14:15], s[20:21], 2
	s_waitcnt lgkmcnt(0)
	s_ashr_i32 s41, s12, 31
	v_cvt_f32_u32_e32 v3, s40
	s_ashr_i32 s42, s40, 31
	s_add_u32 s43, s4, 0x6c
	s_addc_u32 s44, s5, 0
	v_rcp_iflag_f32_e32 v3, v3
	s_add_u32 s0, s43, s18
	s_addc_u32 s1, s44, s19
	s_load_dwordx2 s[18:19], s[0:1], 0x0
	v_mul_f32_e32 v3, 0x4f7ffffe, v3
	s_load_dwordx2 s[4:5], s[4:5], 0x0
	s_add_i32 s45, s20, -3
	s_lshl_b32 s46, s3, 2
	s_and_b32 s48, s20, 3
	v_cvt_u32_f32_e32 v22, v3
	s_cmp_lg_u32 s48, 2
	s_mov_b32 s21, 0
	s_cselect_b64 s[22:23], -1, 0
	s_cmp_gt_u32 s45, 2
	s_mov_b32 s47, s21
	s_cselect_b64 s[24:25], -1, 0
	s_ashr_i32 s49, s17, 31
	s_mov_b32 s50, s17
	s_waitcnt lgkmcnt(0)
	s_ashr_i32 s51, s19, 31
	s_mov_b32 s52, s19
	s_branch .LBB5_3
.LBB5_2:                                ;   in Loop: Header=BB5_3 Depth=1
	s_or_b64 exec, exec, s[0:1]
	v_mov_b32_e32 v3, s47
	v_add_co_u32_e32 v0, vcc, s46, v0
	v_addc_co_u32_e32 v1, vcc, v1, v3, vcc
	v_cmp_le_i64_e32 vcc, s[10:11], v[0:1]
	s_or_b64 s[26:27], vcc, s[26:27]
	s_andn2_b64 exec, exec, s[26:27]
	s_cbranch_execz .LBB5_58
.LBB5_3:                                ; =>This Loop Header: Depth=1
                                        ;     Child Loop BB5_37 Depth 2
                                        ;     Child Loop BB5_18 Depth 2
	v_or_b32_e32 v3, s42, v1
	v_cmp_ne_u64_e32 vcc, 0, v[2:3]
                                        ; implicit-def: $vgpr4_vgpr5
                                        ; implicit-def: $vgpr14_vgpr15
	s_and_saveexec_b64 s[0:1], vcc
	s_xor_b64 s[28:29], exec, s[0:1]
	s_cbranch_execz .LBB5_5
; %bb.4:                                ;   in Loop: Header=BB5_3 Depth=1
	s_add_u32 s0, s40, s42
	s_mov_b32 s2, s42
	s_mov_b32 s3, s42
	s_addc_u32 s1, s42, s42
	s_xor_b64 s[30:31], s[0:1], s[2:3]
	v_cvt_f32_u32_e32 v3, s30
	v_cvt_f32_u32_e32 v4, s31
	s_sub_u32 s0, 0, s30
	s_subb_u32 s1, 0, s31
	v_mac_f32_e32 v3, 0x4f800000, v4
	v_rcp_f32_e32 v3, v3
	v_mul_f32_e32 v3, 0x5f7ffffc, v3
	v_mul_f32_e32 v4, 0x2f800000, v3
	v_trunc_f32_e32 v4, v4
	v_mac_f32_e32 v3, 0xcf800000, v4
	v_cvt_u32_f32_e32 v4, v4
	v_cvt_u32_f32_e32 v3, v3
	v_mul_lo_u32 v5, s0, v4
	v_mul_hi_u32 v7, s0, v3
	v_mul_lo_u32 v6, s1, v3
	v_add_u32_e32 v5, v7, v5
	v_mul_lo_u32 v8, s0, v3
	v_add_u32_e32 v5, v5, v6
	v_mul_lo_u32 v7, v3, v5
	v_mul_hi_u32 v9, v3, v8
	v_mul_hi_u32 v6, v3, v5
	v_add_co_u32_e32 v7, vcc, v9, v7
	v_addc_co_u32_e32 v6, vcc, 0, v6, vcc
	v_mul_hi_u32 v10, v4, v8
	v_mul_lo_u32 v8, v4, v8
	v_add_co_u32_e32 v7, vcc, v7, v8
	v_mul_hi_u32 v9, v4, v5
	v_addc_co_u32_e32 v6, vcc, v6, v10, vcc
	v_addc_co_u32_e32 v7, vcc, 0, v9, vcc
	v_mul_lo_u32 v5, v4, v5
	v_add_co_u32_e32 v5, vcc, v6, v5
	v_addc_co_u32_e32 v6, vcc, 0, v7, vcc
	v_add_co_u32_e32 v3, vcc, v3, v5
	v_addc_co_u32_e32 v4, vcc, v4, v6, vcc
	v_mul_lo_u32 v5, s0, v4
	v_mul_hi_u32 v6, s0, v3
	v_add_u32_e32 v5, v6, v5
	v_mul_lo_u32 v6, s1, v3
	v_add_u32_e32 v5, v5, v6
	v_mul_lo_u32 v7, s0, v3
	v_mul_hi_u32 v8, v4, v7
	v_mul_lo_u32 v9, v4, v7
	v_mul_lo_u32 v11, v3, v5
	v_mul_hi_u32 v7, v3, v7
	v_mul_hi_u32 v10, v3, v5
	v_add_co_u32_e32 v7, vcc, v7, v11
	v_addc_co_u32_e32 v10, vcc, 0, v10, vcc
	v_add_co_u32_e32 v7, vcc, v7, v9
	v_mul_hi_u32 v6, v4, v5
	v_addc_co_u32_e32 v7, vcc, v10, v8, vcc
	v_addc_co_u32_e32 v6, vcc, 0, v6, vcc
	v_mul_lo_u32 v5, v4, v5
	v_add_co_u32_e32 v5, vcc, v7, v5
	v_addc_co_u32_e32 v6, vcc, 0, v6, vcc
	v_add_co_u32_e32 v3, vcc, v3, v5
	v_addc_co_u32_e32 v6, vcc, v4, v6, vcc
	v_ashrrev_i32_e32 v8, 31, v1
	v_add_co_u32_e32 v4, vcc, v0, v8
	v_addc_co_u32_e32 v5, vcc, v1, v8, vcc
	v_xor_b32_e32 v10, v4, v8
	v_xor_b32_e32 v9, v5, v8
	v_mad_u64_u32 v[4:5], s[0:1], v10, v6, 0
	v_mul_hi_u32 v7, v10, v3
	v_add_co_u32_e32 v11, vcc, v7, v4
	v_addc_co_u32_e32 v12, vcc, 0, v5, vcc
	v_mad_u64_u32 v[4:5], s[0:1], v9, v6, 0
	v_mad_u64_u32 v[6:7], s[0:1], v9, v3, 0
	v_add_co_u32_e32 v3, vcc, v11, v6
	v_addc_co_u32_e32 v3, vcc, v12, v7, vcc
	v_addc_co_u32_e32 v5, vcc, 0, v5, vcc
	v_add_co_u32_e32 v3, vcc, v3, v4
	v_addc_co_u32_e32 v6, vcc, 0, v5, vcc
	v_mul_lo_u32 v7, s31, v3
	v_mul_lo_u32 v11, s30, v6
	v_mad_u64_u32 v[4:5], s[0:1], s30, v3, 0
	v_add3_u32 v5, v5, v11, v7
	v_sub_u32_e32 v7, v9, v5
	v_mov_b32_e32 v11, s31
	v_sub_co_u32_e32 v4, vcc, v10, v4
	v_subb_co_u32_e64 v7, s[0:1], v7, v11, vcc
	v_subrev_co_u32_e64 v10, s[0:1], s30, v4
	v_subbrev_co_u32_e64 v7, s[0:1], 0, v7, s[0:1]
	v_cmp_le_u32_e64 s[0:1], s31, v7
	v_cndmask_b32_e64 v11, 0, -1, s[0:1]
	v_cmp_le_u32_e64 s[0:1], s30, v10
	v_cndmask_b32_e64 v12, 0, -1, s[0:1]
	v_cmp_eq_u32_e64 s[0:1], s31, v7
	v_cndmask_b32_e64 v7, v11, v12, s[0:1]
	v_add_co_u32_e64 v11, s[0:1], 2, v3
	v_addc_co_u32_e64 v12, s[0:1], 0, v6, s[0:1]
	v_add_co_u32_e64 v13, s[0:1], 1, v3
	v_subb_co_u32_e32 v5, vcc, v9, v5, vcc
	v_addc_co_u32_e64 v14, s[0:1], 0, v6, s[0:1]
	v_cmp_le_u32_e32 vcc, s31, v5
	v_cmp_ne_u32_e64 s[0:1], 0, v7
	v_cndmask_b32_e64 v9, 0, -1, vcc
	v_cmp_le_u32_e32 vcc, s30, v4
	v_cndmask_b32_e64 v7, v14, v12, s[0:1]
	v_cndmask_b32_e64 v12, 0, -1, vcc
	v_cmp_eq_u32_e32 vcc, s31, v5
	v_cndmask_b32_e32 v5, v9, v12, vcc
	v_cmp_ne_u32_e32 vcc, 0, v5
	v_cndmask_b32_e32 v5, v6, v7, vcc
	v_cndmask_b32_e64 v6, v13, v11, s[0:1]
	v_cndmask_b32_e32 v3, v3, v6, vcc
	v_xor_b32_e32 v7, s2, v8
	v_xor_b32_e32 v6, s3, v8
	;; [unrolled: 1-line block ×4, first 2 shown]
	v_sub_co_u32_e64 v14, s[2:3], v3, v7
	v_subb_co_u32_e64 v15, s[2:3], v5, v6, s[2:3]
	v_subrev_co_u32_e64 v3, s[2:3], s30, v10
	v_cndmask_b32_e64 v3, v10, v3, s[0:1]
	v_cndmask_b32_e32 v3, v4, v3, vcc
	v_xor_b32_e32 v3, v3, v8
	v_sub_co_u32_e32 v4, vcc, v3, v8
.LBB5_5:                                ;   in Loop: Header=BB5_3 Depth=1
	s_andn2_saveexec_b64 s[2:3], s[28:29]
	s_cbranch_execz .LBB5_7
; %bb.6:                                ;   in Loop: Header=BB5_3 Depth=1
	s_sub_i32 s0, 0, s40
	v_mul_lo_u32 v3, s0, v22
	v_mul_hi_u32 v3, v22, v3
	v_add_u32_e32 v3, v22, v3
	v_mul_hi_u32 v3, v0, v3
	v_mul_lo_u32 v4, v3, s40
	v_sub_u32_e32 v4, v0, v4
	v_subrev_u32_e32 v5, s40, v4
	v_cmp_le_u32_e32 vcc, s40, v4
	v_cndmask_b32_e32 v4, v4, v5, vcc
	v_subrev_u32_e32 v5, s40, v4
	v_cmp_le_u32_e64 s[0:1], s40, v4
	v_cndmask_b32_e64 v4, v4, v5, s[0:1]
	v_add_u32_e32 v5, 1, v3
	v_cndmask_b32_e32 v3, v3, v5, vcc
	v_add_u32_e32 v5, 1, v3
	v_cndmask_b32_e64 v14, v3, v5, s[0:1]
	v_mov_b32_e32 v15, v2
.LBB5_7:                                ;   in Loop: Header=BB5_3 Depth=1
	s_or_b64 exec, exec, s[2:3]
	v_or_b32_e32 v3, s41, v15
	v_cmp_ne_u64_e32 vcc, 0, v[2:3]
                                        ; implicit-def: $vgpr8_vgpr9
	s_and_saveexec_b64 s[0:1], vcc
	s_xor_b64 s[2:3], exec, s[0:1]
	s_cbranch_execz .LBB5_9
; %bb.8:                                ;   in Loop: Header=BB5_3 Depth=1
	s_add_u32 s28, s12, s41
	s_mov_b32 s0, s41
	s_mov_b32 s1, s41
	s_addc_u32 s29, s41, s41
	s_xor_b64 s[28:29], s[28:29], s[0:1]
	v_cvt_f32_u32_e32 v5, s28
	v_cvt_f32_u32_e32 v6, s29
	s_sub_u32 s0, 0, s28
	s_subb_u32 s1, 0, s29
	v_mac_f32_e32 v5, 0x4f800000, v6
	v_rcp_f32_e32 v5, v5
	v_mul_f32_e32 v5, 0x5f7ffffc, v5
	v_mul_f32_e32 v6, 0x2f800000, v5
	v_trunc_f32_e32 v6, v6
	v_mac_f32_e32 v5, 0xcf800000, v6
	v_cvt_u32_f32_e32 v6, v6
	v_cvt_u32_f32_e32 v5, v5
	v_mul_lo_u32 v7, s0, v6
	v_mul_hi_u32 v9, s0, v5
	v_mul_lo_u32 v8, s1, v5
	v_add_u32_e32 v7, v9, v7
	v_mul_lo_u32 v10, s0, v5
	v_add_u32_e32 v7, v7, v8
	v_mul_lo_u32 v9, v5, v7
	v_mul_hi_u32 v11, v5, v10
	v_mul_hi_u32 v8, v5, v7
	v_add_co_u32_e32 v9, vcc, v11, v9
	v_addc_co_u32_e32 v8, vcc, 0, v8, vcc
	v_mul_hi_u32 v12, v6, v10
	v_mul_lo_u32 v10, v6, v10
	v_add_co_u32_e32 v9, vcc, v9, v10
	v_mul_hi_u32 v11, v6, v7
	v_addc_co_u32_e32 v8, vcc, v8, v12, vcc
	v_addc_co_u32_e32 v9, vcc, 0, v11, vcc
	v_mul_lo_u32 v7, v6, v7
	v_add_co_u32_e32 v7, vcc, v8, v7
	v_addc_co_u32_e32 v8, vcc, 0, v9, vcc
	v_add_co_u32_e32 v5, vcc, v5, v7
	v_addc_co_u32_e32 v6, vcc, v6, v8, vcc
	v_mul_lo_u32 v7, s0, v6
	v_mul_hi_u32 v8, s0, v5
	v_add_u32_e32 v7, v8, v7
	v_mul_lo_u32 v8, s1, v5
	v_add_u32_e32 v7, v7, v8
	v_mul_lo_u32 v9, s0, v5
	v_mul_hi_u32 v10, v6, v9
	v_mul_lo_u32 v11, v6, v9
	v_mul_lo_u32 v13, v5, v7
	v_mul_hi_u32 v9, v5, v9
	v_mul_hi_u32 v12, v5, v7
	v_add_co_u32_e32 v9, vcc, v9, v13
	v_addc_co_u32_e32 v12, vcc, 0, v12, vcc
	v_add_co_u32_e32 v9, vcc, v9, v11
	v_mul_hi_u32 v8, v6, v7
	v_addc_co_u32_e32 v9, vcc, v12, v10, vcc
	v_addc_co_u32_e32 v8, vcc, 0, v8, vcc
	v_mul_lo_u32 v7, v6, v7
	v_add_co_u32_e32 v7, vcc, v9, v7
	v_addc_co_u32_e32 v8, vcc, 0, v8, vcc
	v_add_co_u32_e32 v5, vcc, v5, v7
	v_addc_co_u32_e32 v8, vcc, v6, v8, vcc
	v_ashrrev_i32_e32 v10, 31, v15
	v_add_co_u32_e32 v6, vcc, v14, v10
	v_addc_co_u32_e32 v7, vcc, v15, v10, vcc
	v_xor_b32_e32 v12, v6, v10
	v_xor_b32_e32 v11, v7, v10
	v_mad_u64_u32 v[6:7], s[0:1], v12, v8, 0
	v_mul_hi_u32 v9, v12, v5
	v_add_co_u32_e32 v13, vcc, v9, v6
	v_addc_co_u32_e32 v16, vcc, 0, v7, vcc
	v_mad_u64_u32 v[6:7], s[0:1], v11, v8, 0
	v_mad_u64_u32 v[8:9], s[0:1], v11, v5, 0
	v_add_co_u32_e32 v5, vcc, v13, v8
	v_addc_co_u32_e32 v5, vcc, v16, v9, vcc
	v_addc_co_u32_e32 v7, vcc, 0, v7, vcc
	v_add_co_u32_e32 v5, vcc, v5, v6
	v_addc_co_u32_e32 v6, vcc, 0, v7, vcc
	v_mul_lo_u32 v8, s29, v5
	v_mul_lo_u32 v9, s28, v6
	v_mad_u64_u32 v[6:7], s[0:1], s28, v5, 0
	v_add3_u32 v5, v7, v9, v8
	v_sub_u32_e32 v7, v11, v5
	v_mov_b32_e32 v8, s29
	v_sub_co_u32_e32 v6, vcc, v12, v6
	v_subb_co_u32_e64 v7, s[0:1], v7, v8, vcc
	v_subrev_co_u32_e64 v8, s[0:1], s28, v6
	v_subbrev_co_u32_e64 v7, s[0:1], 0, v7, s[0:1]
	v_cmp_le_u32_e64 s[0:1], s29, v7
	v_subb_co_u32_e32 v5, vcc, v11, v5, vcc
	v_cndmask_b32_e64 v9, 0, -1, s[0:1]
	v_cmp_le_u32_e64 s[0:1], s28, v8
	v_cmp_le_u32_e32 vcc, s29, v5
	v_cndmask_b32_e64 v12, 0, -1, s[0:1]
	v_cmp_eq_u32_e64 s[0:1], s29, v7
	v_cndmask_b32_e64 v11, 0, -1, vcc
	v_cmp_le_u32_e32 vcc, s28, v6
	v_cndmask_b32_e64 v7, v9, v12, s[0:1]
	v_cndmask_b32_e64 v12, 0, -1, vcc
	v_cmp_eq_u32_e32 vcc, s29, v5
	v_subrev_co_u32_e64 v9, s[0:1], s28, v8
	v_cndmask_b32_e32 v5, v11, v12, vcc
	v_cmp_ne_u32_e32 vcc, 0, v7
	v_cndmask_b32_e32 v7, v8, v9, vcc
	v_cmp_ne_u32_e32 vcc, 0, v5
	v_cndmask_b32_e32 v5, v6, v7, vcc
	v_xor_b32_e32 v5, v5, v10
	v_sub_co_u32_e32 v8, vcc, v5, v10
.LBB5_9:                                ;   in Loop: Header=BB5_3 Depth=1
	s_andn2_saveexec_b64 s[0:1], s[2:3]
	s_cbranch_execz .LBB5_11
; %bb.10:                               ;   in Loop: Header=BB5_3 Depth=1
	v_cvt_f32_u32_e32 v5, s12
	s_sub_i32 s2, 0, s12
	v_rcp_iflag_f32_e32 v5, v5
	v_mul_f32_e32 v5, 0x4f7ffffe, v5
	v_cvt_u32_f32_e32 v5, v5
	v_mul_lo_u32 v6, s2, v5
	v_mul_hi_u32 v6, v5, v6
	v_add_u32_e32 v5, v5, v6
	v_mul_hi_u32 v5, v14, v5
	v_mul_lo_u32 v5, v5, s12
	v_sub_u32_e32 v5, v14, v5
	v_subrev_u32_e32 v6, s12, v5
	v_cmp_le_u32_e32 vcc, s12, v5
	v_cndmask_b32_e32 v5, v5, v6, vcc
	v_subrev_u32_e32 v6, s12, v5
	v_cmp_le_u32_e32 vcc, s12, v5
	v_cndmask_b32_e32 v8, v5, v6, vcc
.LBB5_11:                               ;   in Loop: Header=BB5_3 Depth=1
	s_or_b64 exec, exec, s[0:1]
	v_mul_lo_u32 v6, s17, v4
	v_mad_u64_u32 v[10:11], s[0:1], s16, v8, v[6:7]
	v_mul_lo_u32 v6, s19, v4
	s_andn2_b64 vcc, exec, s[14:15]
	v_mad_u64_u32 v[6:7], s[0:1], s18, v8, v[6:7]
	s_cbranch_vccnz .LBB5_41
; %bb.12:                               ;   in Loop: Header=BB5_3 Depth=1
	v_cmp_ne_u64_e32 vcc, 0, v[2:3]
                                        ; implicit-def: $vgpr12_vgpr13
	s_and_saveexec_b64 s[0:1], vcc
	s_xor_b64 s[2:3], exec, s[0:1]
	s_cbranch_execz .LBB5_14
; %bb.13:                               ;   in Loop: Header=BB5_3 Depth=1
	s_add_u32 s0, s12, s41
	s_mov_b32 s28, s41
	s_mov_b32 s29, s41
	s_addc_u32 s1, s41, s41
	s_xor_b64 s[30:31], s[0:1], s[28:29]
	v_cvt_f32_u32_e32 v3, s30
	v_cvt_f32_u32_e32 v5, s31
	s_sub_u32 s0, 0, s30
	s_subb_u32 s1, 0, s31
	v_mac_f32_e32 v3, 0x4f800000, v5
	v_rcp_f32_e32 v3, v3
	v_mul_f32_e32 v3, 0x5f7ffffc, v3
	v_mul_f32_e32 v5, 0x2f800000, v3
	v_trunc_f32_e32 v5, v5
	v_mac_f32_e32 v3, 0xcf800000, v5
	v_cvt_u32_f32_e32 v5, v5
	v_cvt_u32_f32_e32 v3, v3
	v_mul_lo_u32 v7, s0, v5
	v_mul_hi_u32 v11, s0, v3
	v_mul_lo_u32 v9, s1, v3
	v_add_u32_e32 v7, v11, v7
	v_mul_lo_u32 v12, s0, v3
	v_add_u32_e32 v7, v7, v9
	v_mul_lo_u32 v11, v3, v7
	v_mul_hi_u32 v13, v3, v12
	v_mul_hi_u32 v9, v3, v7
	v_add_co_u32_e32 v11, vcc, v13, v11
	v_addc_co_u32_e32 v9, vcc, 0, v9, vcc
	v_mul_hi_u32 v16, v5, v12
	v_mul_lo_u32 v12, v5, v12
	v_add_co_u32_e32 v11, vcc, v11, v12
	v_mul_hi_u32 v13, v5, v7
	v_addc_co_u32_e32 v9, vcc, v9, v16, vcc
	v_addc_co_u32_e32 v11, vcc, 0, v13, vcc
	v_mul_lo_u32 v7, v5, v7
	v_add_co_u32_e32 v7, vcc, v9, v7
	v_addc_co_u32_e32 v9, vcc, 0, v11, vcc
	v_add_co_u32_e32 v3, vcc, v3, v7
	v_addc_co_u32_e32 v5, vcc, v5, v9, vcc
	v_mul_lo_u32 v7, s0, v5
	v_mul_hi_u32 v9, s0, v3
	v_add_u32_e32 v7, v9, v7
	v_mul_lo_u32 v9, s1, v3
	v_add_u32_e32 v7, v7, v9
	v_mul_lo_u32 v11, s0, v3
	v_mul_hi_u32 v12, v5, v11
	v_mul_lo_u32 v13, v5, v11
	v_mul_lo_u32 v17, v3, v7
	v_mul_hi_u32 v11, v3, v11
	v_mul_hi_u32 v16, v3, v7
	v_add_co_u32_e32 v11, vcc, v11, v17
	v_addc_co_u32_e32 v16, vcc, 0, v16, vcc
	v_add_co_u32_e32 v11, vcc, v11, v13
	v_mul_hi_u32 v9, v5, v7
	v_addc_co_u32_e32 v11, vcc, v16, v12, vcc
	v_addc_co_u32_e32 v9, vcc, 0, v9, vcc
	v_mul_lo_u32 v7, v5, v7
	v_add_co_u32_e32 v7, vcc, v11, v7
	v_addc_co_u32_e32 v9, vcc, 0, v9, vcc
	v_add_co_u32_e32 v3, vcc, v3, v7
	v_addc_co_u32_e32 v5, vcc, v5, v9, vcc
	v_ashrrev_i32_e32 v7, 31, v15
	v_add_co_u32_e32 v9, vcc, v14, v7
	v_xor_b32_e32 v9, v9, v7
	v_addc_co_u32_e32 v11, vcc, v15, v7, vcc
	v_mad_u64_u32 v[12:13], s[0:1], v9, v5, 0
	v_mul_hi_u32 v14, v9, v3
	v_xor_b32_e32 v11, v11, v7
	v_add_co_u32_e32 v16, vcc, v14, v12
	v_addc_co_u32_e32 v17, vcc, 0, v13, vcc
	v_mad_u64_u32 v[14:15], s[0:1], v11, v3, 0
	v_add_co_u32_e32 v3, vcc, v16, v14
	v_mad_u64_u32 v[12:13], s[0:1], v11, v5, 0
	v_addc_co_u32_e32 v3, vcc, v17, v15, vcc
	v_addc_co_u32_e32 v5, vcc, 0, v13, vcc
	v_add_co_u32_e32 v3, vcc, v3, v12
	v_addc_co_u32_e32 v5, vcc, 0, v5, vcc
	v_mul_lo_u32 v14, s31, v3
	v_mul_lo_u32 v15, s30, v5
	v_mad_u64_u32 v[12:13], s[0:1], s30, v3, 0
	v_add3_u32 v13, v13, v15, v14
	v_sub_u32_e32 v14, v11, v13
	v_mov_b32_e32 v15, s31
	v_sub_co_u32_e32 v9, vcc, v9, v12
	v_subb_co_u32_e64 v12, s[0:1], v14, v15, vcc
	v_subrev_co_u32_e64 v14, s[0:1], s30, v9
	v_subbrev_co_u32_e64 v12, s[0:1], 0, v12, s[0:1]
	v_cmp_le_u32_e64 s[0:1], s31, v12
	v_cndmask_b32_e64 v15, 0, -1, s[0:1]
	v_cmp_le_u32_e64 s[0:1], s30, v14
	v_cndmask_b32_e64 v14, 0, -1, s[0:1]
	v_cmp_eq_u32_e64 s[0:1], s31, v12
	v_cndmask_b32_e64 v12, v15, v14, s[0:1]
	v_add_co_u32_e64 v14, s[0:1], 2, v3
	v_subb_co_u32_e32 v11, vcc, v11, v13, vcc
	v_addc_co_u32_e64 v15, s[0:1], 0, v5, s[0:1]
	v_cmp_le_u32_e32 vcc, s31, v11
	v_add_co_u32_e64 v16, s[0:1], 1, v3
	v_cndmask_b32_e64 v13, 0, -1, vcc
	v_cmp_le_u32_e32 vcc, s30, v9
	v_addc_co_u32_e64 v17, s[0:1], 0, v5, s[0:1]
	v_cndmask_b32_e64 v9, 0, -1, vcc
	v_cmp_eq_u32_e32 vcc, s31, v11
	v_cmp_ne_u32_e64 s[0:1], 0, v12
	v_cndmask_b32_e32 v9, v13, v9, vcc
	v_cmp_ne_u32_e32 vcc, 0, v9
	v_cndmask_b32_e64 v9, v16, v14, s[0:1]
	v_cndmask_b32_e64 v12, v17, v15, s[0:1]
	v_cndmask_b32_e32 v3, v3, v9, vcc
	v_xor_b32_e32 v9, s29, v7
	v_xor_b32_e32 v7, s28, v7
	v_cndmask_b32_e32 v5, v5, v12, vcc
	v_xor_b32_e32 v3, v3, v7
	v_xor_b32_e32 v5, v5, v9
	v_sub_co_u32_e32 v12, vcc, v3, v7
	v_subb_co_u32_e32 v13, vcc, v5, v9, vcc
                                        ; implicit-def: $vgpr14_vgpr15
.LBB5_14:                               ;   in Loop: Header=BB5_3 Depth=1
	s_andn2_saveexec_b64 s[0:1], s[2:3]
	s_cbranch_execz .LBB5_16
; %bb.15:                               ;   in Loop: Header=BB5_3 Depth=1
	v_cvt_f32_u32_e32 v3, s12
	s_sub_i32 s2, 0, s12
	v_mov_b32_e32 v13, v2
	v_rcp_iflag_f32_e32 v3, v3
	v_mul_f32_e32 v3, 0x4f7ffffe, v3
	v_cvt_u32_f32_e32 v3, v3
	v_mul_lo_u32 v5, s2, v3
	v_mul_hi_u32 v5, v3, v5
	v_add_u32_e32 v3, v3, v5
	v_mul_hi_u32 v3, v14, v3
	v_mul_lo_u32 v5, v3, s12
	v_sub_u32_e32 v5, v14, v5
	v_add_u32_e32 v7, 1, v3
	v_subrev_u32_e32 v9, s12, v5
	v_cmp_le_u32_e32 vcc, s12, v5
	v_cndmask_b32_e32 v5, v5, v9, vcc
	v_cndmask_b32_e32 v3, v3, v7, vcc
	v_add_u32_e32 v7, 1, v3
	v_cmp_le_u32_e32 vcc, s12, v5
	v_cndmask_b32_e32 v12, v3, v7, vcc
.LBB5_16:                               ;   in Loop: Header=BB5_3 Depth=1
	s_or_b64 exec, exec, s[0:1]
	s_andn2_b64 vcc, exec, s[22:23]
	s_mov_b32 s53, 1
	s_mov_b32 s20, s45
	s_cbranch_vccz .LBB5_37
.LBB5_17:                               ;   in Loop: Header=BB5_3 Depth=1
	s_and_b64 vcc, exec, s[24:25]
	s_cbranch_vccz .LBB5_41
.LBB5_18:                               ;   Parent Loop BB5_3 Depth=1
                                        ; =>  This Inner Loop Header: Depth=2
	s_lshl_b64 s[2:3], s[20:21], 2
	s_add_u32 s28, s38, s2
	s_addc_u32 s29, s39, s3
	s_load_dword s53, s[28:29], 0x8
                                        ; implicit-def: $vgpr14_vgpr15
	s_waitcnt lgkmcnt(0)
	s_ashr_i32 s0, s53, 31
	v_or_b32_e32 v3, s0, v13
	v_cmp_ne_u64_e32 vcc, 0, v[2:3]
	s_and_saveexec_b64 s[30:31], vcc
	s_xor_b64 s[30:31], exec, s[30:31]
	s_cbranch_execz .LBB5_20
; %bb.19:                               ;   in Loop: Header=BB5_18 Depth=2
	s_add_u32 s36, s53, s0
	s_mov_b32 s34, s0
	s_mov_b32 s35, s0
	s_addc_u32 s37, s0, s0
	s_xor_b64 s[36:37], s[36:37], s[34:35]
	v_cvt_f32_u32_e32 v3, s36
	v_cvt_f32_u32_e32 v5, s37
	s_sub_u32 s0, 0, s36
	s_subb_u32 s1, 0, s37
	v_mac_f32_e32 v3, 0x4f800000, v5
	v_rcp_f32_e32 v3, v3
	v_mul_f32_e32 v3, 0x5f7ffffc, v3
	v_mul_f32_e32 v5, 0x2f800000, v3
	v_trunc_f32_e32 v5, v5
	v_mac_f32_e32 v3, 0xcf800000, v5
	v_cvt_u32_f32_e32 v5, v5
	v_cvt_u32_f32_e32 v3, v3
	v_mul_lo_u32 v7, s0, v5
	v_mul_hi_u32 v11, s0, v3
	v_mul_lo_u32 v9, s1, v3
	v_add_u32_e32 v7, v11, v7
	v_mul_lo_u32 v14, s0, v3
	v_add_u32_e32 v7, v7, v9
	v_mul_lo_u32 v11, v3, v7
	v_mul_hi_u32 v15, v3, v14
	v_mul_hi_u32 v9, v3, v7
	v_add_co_u32_e32 v11, vcc, v15, v11
	v_addc_co_u32_e32 v9, vcc, 0, v9, vcc
	v_mul_hi_u32 v16, v5, v14
	v_mul_lo_u32 v14, v5, v14
	v_add_co_u32_e32 v11, vcc, v11, v14
	v_mul_hi_u32 v15, v5, v7
	v_addc_co_u32_e32 v9, vcc, v9, v16, vcc
	v_addc_co_u32_e32 v11, vcc, 0, v15, vcc
	v_mul_lo_u32 v7, v5, v7
	v_add_co_u32_e32 v7, vcc, v9, v7
	v_addc_co_u32_e32 v9, vcc, 0, v11, vcc
	v_add_co_u32_e32 v3, vcc, v3, v7
	v_addc_co_u32_e32 v5, vcc, v5, v9, vcc
	v_mul_lo_u32 v7, s0, v5
	v_mul_hi_u32 v9, s0, v3
	v_add_u32_e32 v7, v9, v7
	v_mul_lo_u32 v9, s1, v3
	v_add_u32_e32 v7, v7, v9
	v_mul_lo_u32 v11, s0, v3
	v_mul_hi_u32 v14, v5, v11
	v_mul_lo_u32 v15, v5, v11
	v_mul_lo_u32 v17, v3, v7
	v_mul_hi_u32 v11, v3, v11
	v_mul_hi_u32 v16, v3, v7
	v_add_co_u32_e32 v11, vcc, v11, v17
	v_addc_co_u32_e32 v16, vcc, 0, v16, vcc
	v_add_co_u32_e32 v11, vcc, v11, v15
	v_mul_hi_u32 v9, v5, v7
	v_addc_co_u32_e32 v11, vcc, v16, v14, vcc
	v_addc_co_u32_e32 v9, vcc, 0, v9, vcc
	v_mul_lo_u32 v7, v5, v7
	v_add_co_u32_e32 v7, vcc, v11, v7
	v_addc_co_u32_e32 v9, vcc, 0, v9, vcc
	v_add_co_u32_e32 v3, vcc, v3, v7
	v_addc_co_u32_e32 v5, vcc, v5, v9, vcc
	v_ashrrev_i32_e32 v7, 31, v13
	v_add_co_u32_e32 v9, vcc, v12, v7
	v_xor_b32_e32 v9, v9, v7
	v_addc_co_u32_e32 v11, vcc, v13, v7, vcc
	v_mad_u64_u32 v[14:15], s[0:1], v9, v5, 0
	v_mul_hi_u32 v13, v9, v3
	v_xor_b32_e32 v11, v11, v7
	v_add_co_u32_e32 v13, vcc, v13, v14
	v_addc_co_u32_e32 v18, vcc, 0, v15, vcc
	v_mad_u64_u32 v[16:17], s[0:1], v11, v3, 0
	v_add_co_u32_e32 v3, vcc, v13, v16
	v_mad_u64_u32 v[14:15], s[0:1], v11, v5, 0
	v_addc_co_u32_e32 v3, vcc, v18, v17, vcc
	v_addc_co_u32_e32 v5, vcc, 0, v15, vcc
	v_add_co_u32_e32 v3, vcc, v3, v14
	v_addc_co_u32_e32 v5, vcc, 0, v5, vcc
	v_mul_lo_u32 v13, s37, v3
	v_mul_lo_u32 v16, s36, v5
	v_mad_u64_u32 v[14:15], s[0:1], s36, v3, 0
	v_add3_u32 v13, v15, v16, v13
	v_sub_u32_e32 v15, v11, v13
	v_mov_b32_e32 v16, s37
	v_sub_co_u32_e32 v9, vcc, v9, v14
	v_subb_co_u32_e64 v14, s[0:1], v15, v16, vcc
	v_subrev_co_u32_e64 v15, s[0:1], s36, v9
	v_subbrev_co_u32_e64 v14, s[0:1], 0, v14, s[0:1]
	v_cmp_le_u32_e64 s[0:1], s37, v14
	v_cndmask_b32_e64 v16, 0, -1, s[0:1]
	v_cmp_le_u32_e64 s[0:1], s36, v15
	v_cndmask_b32_e64 v15, 0, -1, s[0:1]
	v_cmp_eq_u32_e64 s[0:1], s37, v14
	v_cndmask_b32_e64 v14, v16, v15, s[0:1]
	v_add_co_u32_e64 v15, s[0:1], 2, v3
	v_subb_co_u32_e32 v11, vcc, v11, v13, vcc
	v_addc_co_u32_e64 v16, s[0:1], 0, v5, s[0:1]
	v_cmp_le_u32_e32 vcc, s37, v11
	v_add_co_u32_e64 v17, s[0:1], 1, v3
	v_cndmask_b32_e64 v13, 0, -1, vcc
	v_cmp_le_u32_e32 vcc, s36, v9
	v_addc_co_u32_e64 v18, s[0:1], 0, v5, s[0:1]
	v_cndmask_b32_e64 v9, 0, -1, vcc
	v_cmp_eq_u32_e32 vcc, s37, v11
	v_cmp_ne_u32_e64 s[0:1], 0, v14
	v_cndmask_b32_e32 v9, v13, v9, vcc
	v_cmp_ne_u32_e32 vcc, 0, v9
	v_cndmask_b32_e64 v9, v17, v15, s[0:1]
	v_cndmask_b32_e64 v14, v18, v16, s[0:1]
	v_cndmask_b32_e32 v3, v3, v9, vcc
	v_xor_b32_e32 v9, s35, v7
	v_xor_b32_e32 v7, s34, v7
	v_cndmask_b32_e32 v5, v5, v14, vcc
	v_xor_b32_e32 v3, v3, v7
	v_xor_b32_e32 v5, v5, v9
	v_sub_co_u32_e32 v14, vcc, v3, v7
	v_subb_co_u32_e32 v15, vcc, v5, v9, vcc
.LBB5_20:                               ;   in Loop: Header=BB5_18 Depth=2
	s_andn2_saveexec_b64 s[0:1], s[30:31]
	s_cbranch_execz .LBB5_22
; %bb.21:                               ;   in Loop: Header=BB5_18 Depth=2
	v_cvt_f32_u32_e32 v3, s53
	s_sub_i32 s30, 0, s53
	v_mov_b32_e32 v15, v2
	v_rcp_iflag_f32_e32 v3, v3
	v_mul_f32_e32 v3, 0x4f7ffffe, v3
	v_cvt_u32_f32_e32 v3, v3
	v_mul_lo_u32 v5, s30, v3
	v_mul_hi_u32 v5, v3, v5
	v_add_u32_e32 v3, v3, v5
	v_mul_hi_u32 v3, v12, v3
	v_mul_lo_u32 v5, v3, s53
	v_sub_u32_e32 v5, v12, v5
	v_add_u32_e32 v7, 1, v3
	v_subrev_u32_e32 v9, s53, v5
	v_cmp_le_u32_e32 vcc, s53, v5
	v_cndmask_b32_e32 v5, v5, v9, vcc
	v_cndmask_b32_e32 v3, v3, v7, vcc
	v_add_u32_e32 v7, 1, v3
	v_cmp_le_u32_e32 vcc, s53, v5
	v_cndmask_b32_e32 v14, v3, v7, vcc
.LBB5_22:                               ;   in Loop: Header=BB5_18 Depth=2
	s_or_b64 exec, exec, s[0:1]
	s_add_u32 s0, s43, s2
	s_addc_u32 s1, s44, s3
	s_add_i32 s2, s20, -1
	s_mov_b32 s3, s21
	s_lshl_b64 s[30:31], s[2:3], 2
	s_add_u32 s2, s38, s30
	s_addc_u32 s3, s39, s31
	s_load_dword s54, s[2:3], 0x8
	s_load_dword s55, s[28:29], 0x6c
	;; [unrolled: 1-line block ×3, first 2 shown]
                                        ; implicit-def: $vgpr16_vgpr17
	s_waitcnt lgkmcnt(0)
	s_ashr_i32 s0, s54, 31
	v_or_b32_e32 v3, s0, v15
	v_cmp_ne_u64_e32 vcc, 0, v[2:3]
	s_and_saveexec_b64 s[28:29], vcc
	s_xor_b64 s[28:29], exec, s[28:29]
	s_cbranch_execz .LBB5_24
; %bb.23:                               ;   in Loop: Header=BB5_18 Depth=2
	s_add_u32 s36, s54, s0
	s_mov_b32 s34, s0
	s_mov_b32 s35, s0
	s_addc_u32 s37, s0, s0
	s_xor_b64 s[36:37], s[36:37], s[34:35]
	v_cvt_f32_u32_e32 v3, s36
	v_cvt_f32_u32_e32 v5, s37
	s_sub_u32 s0, 0, s36
	s_subb_u32 s1, 0, s37
	v_mac_f32_e32 v3, 0x4f800000, v5
	v_rcp_f32_e32 v3, v3
	v_mul_f32_e32 v3, 0x5f7ffffc, v3
	v_mul_f32_e32 v5, 0x2f800000, v3
	v_trunc_f32_e32 v5, v5
	v_mac_f32_e32 v3, 0xcf800000, v5
	v_cvt_u32_f32_e32 v5, v5
	v_cvt_u32_f32_e32 v3, v3
	v_mul_lo_u32 v7, s0, v5
	v_mul_hi_u32 v11, s0, v3
	v_mul_lo_u32 v9, s1, v3
	v_add_u32_e32 v7, v11, v7
	v_mul_lo_u32 v13, s0, v3
	v_add_u32_e32 v7, v7, v9
	v_mul_lo_u32 v11, v3, v7
	v_mul_hi_u32 v16, v3, v13
	v_mul_hi_u32 v9, v3, v7
	v_add_co_u32_e32 v11, vcc, v16, v11
	v_addc_co_u32_e32 v9, vcc, 0, v9, vcc
	v_mul_hi_u32 v17, v5, v13
	v_mul_lo_u32 v13, v5, v13
	v_add_co_u32_e32 v11, vcc, v11, v13
	v_mul_hi_u32 v16, v5, v7
	v_addc_co_u32_e32 v9, vcc, v9, v17, vcc
	v_addc_co_u32_e32 v11, vcc, 0, v16, vcc
	v_mul_lo_u32 v7, v5, v7
	v_add_co_u32_e32 v7, vcc, v9, v7
	v_addc_co_u32_e32 v9, vcc, 0, v11, vcc
	v_add_co_u32_e32 v3, vcc, v3, v7
	v_addc_co_u32_e32 v5, vcc, v5, v9, vcc
	v_mul_lo_u32 v7, s0, v5
	v_mul_hi_u32 v9, s0, v3
	v_add_u32_e32 v7, v9, v7
	v_mul_lo_u32 v9, s1, v3
	v_add_u32_e32 v7, v7, v9
	v_mul_lo_u32 v11, s0, v3
	v_mul_hi_u32 v13, v5, v11
	v_mul_lo_u32 v16, v5, v11
	v_mul_lo_u32 v18, v3, v7
	v_mul_hi_u32 v11, v3, v11
	v_mul_hi_u32 v17, v3, v7
	v_add_co_u32_e32 v11, vcc, v11, v18
	v_addc_co_u32_e32 v17, vcc, 0, v17, vcc
	v_add_co_u32_e32 v11, vcc, v11, v16
	v_mul_hi_u32 v9, v5, v7
	v_addc_co_u32_e32 v11, vcc, v17, v13, vcc
	v_addc_co_u32_e32 v9, vcc, 0, v9, vcc
	v_mul_lo_u32 v7, v5, v7
	v_add_co_u32_e32 v7, vcc, v11, v7
	v_addc_co_u32_e32 v9, vcc, 0, v9, vcc
	v_add_co_u32_e32 v3, vcc, v3, v7
	v_addc_co_u32_e32 v5, vcc, v5, v9, vcc
	v_ashrrev_i32_e32 v7, 31, v15
	v_add_co_u32_e32 v9, vcc, v14, v7
	v_xor_b32_e32 v9, v9, v7
	v_addc_co_u32_e32 v11, vcc, v15, v7, vcc
	v_mad_u64_u32 v[16:17], s[0:1], v9, v5, 0
	v_mul_hi_u32 v13, v9, v3
	v_xor_b32_e32 v11, v11, v7
	v_add_co_u32_e32 v13, vcc, v13, v16
	v_addc_co_u32_e32 v15, vcc, 0, v17, vcc
	v_mad_u64_u32 v[18:19], s[0:1], v11, v3, 0
	v_add_co_u32_e32 v3, vcc, v13, v18
	v_mad_u64_u32 v[16:17], s[0:1], v11, v5, 0
	v_addc_co_u32_e32 v3, vcc, v15, v19, vcc
	v_addc_co_u32_e32 v5, vcc, 0, v17, vcc
	v_add_co_u32_e32 v3, vcc, v3, v16
	v_addc_co_u32_e32 v5, vcc, 0, v5, vcc
	v_mul_lo_u32 v13, s37, v3
	v_mul_lo_u32 v15, s36, v5
	v_mad_u64_u32 v[16:17], s[0:1], s36, v3, 0
	v_add3_u32 v13, v17, v15, v13
	v_sub_u32_e32 v15, v11, v13
	v_mov_b32_e32 v17, s37
	v_sub_co_u32_e32 v9, vcc, v9, v16
	v_subb_co_u32_e64 v15, s[0:1], v15, v17, vcc
	v_subrev_co_u32_e64 v16, s[0:1], s36, v9
	v_subbrev_co_u32_e64 v15, s[0:1], 0, v15, s[0:1]
	v_cmp_le_u32_e64 s[0:1], s37, v15
	v_cndmask_b32_e64 v17, 0, -1, s[0:1]
	v_cmp_le_u32_e64 s[0:1], s36, v16
	v_cndmask_b32_e64 v16, 0, -1, s[0:1]
	v_cmp_eq_u32_e64 s[0:1], s37, v15
	v_cndmask_b32_e64 v15, v17, v16, s[0:1]
	v_add_co_u32_e64 v16, s[0:1], 2, v3
	v_subb_co_u32_e32 v11, vcc, v11, v13, vcc
	v_addc_co_u32_e64 v17, s[0:1], 0, v5, s[0:1]
	v_cmp_le_u32_e32 vcc, s37, v11
	v_add_co_u32_e64 v18, s[0:1], 1, v3
	v_cndmask_b32_e64 v13, 0, -1, vcc
	v_cmp_le_u32_e32 vcc, s36, v9
	v_addc_co_u32_e64 v19, s[0:1], 0, v5, s[0:1]
	v_cndmask_b32_e64 v9, 0, -1, vcc
	v_cmp_eq_u32_e32 vcc, s37, v11
	v_cmp_ne_u32_e64 s[0:1], 0, v15
	v_cndmask_b32_e32 v9, v13, v9, vcc
	v_cmp_ne_u32_e32 vcc, 0, v9
	v_cndmask_b32_e64 v9, v18, v16, s[0:1]
	v_cndmask_b32_e64 v15, v19, v17, s[0:1]
	v_cndmask_b32_e32 v3, v3, v9, vcc
	v_xor_b32_e32 v9, s35, v7
	v_xor_b32_e32 v7, s34, v7
	v_cndmask_b32_e32 v5, v5, v15, vcc
	v_xor_b32_e32 v3, v3, v7
	v_xor_b32_e32 v5, v5, v9
	v_sub_co_u32_e32 v16, vcc, v3, v7
	v_subb_co_u32_e32 v17, vcc, v5, v9, vcc
.LBB5_24:                               ;   in Loop: Header=BB5_18 Depth=2
	s_andn2_saveexec_b64 s[0:1], s[28:29]
	s_cbranch_execz .LBB5_26
; %bb.25:                               ;   in Loop: Header=BB5_18 Depth=2
	v_cvt_f32_u32_e32 v3, s54
	s_sub_i32 s28, 0, s54
	v_mov_b32_e32 v17, v2
	v_rcp_iflag_f32_e32 v3, v3
	v_mul_f32_e32 v3, 0x4f7ffffe, v3
	v_cvt_u32_f32_e32 v3, v3
	v_mul_lo_u32 v5, s28, v3
	v_mul_hi_u32 v5, v3, v5
	v_add_u32_e32 v3, v3, v5
	v_mul_hi_u32 v3, v14, v3
	v_mul_lo_u32 v5, v3, s54
	v_sub_u32_e32 v5, v14, v5
	v_add_u32_e32 v7, 1, v3
	v_subrev_u32_e32 v9, s54, v5
	v_cmp_le_u32_e32 vcc, s54, v5
	v_cndmask_b32_e32 v5, v5, v9, vcc
	v_cndmask_b32_e32 v3, v3, v7, vcc
	v_add_u32_e32 v7, 1, v3
	v_cmp_le_u32_e32 vcc, s54, v5
	v_cndmask_b32_e32 v16, v3, v7, vcc
.LBB5_26:                               ;   in Loop: Header=BB5_18 Depth=2
	s_or_b64 exec, exec, s[0:1]
	s_add_u32 s0, s43, s30
	s_addc_u32 s1, s44, s31
	s_add_i32 s28, s20, -2
	s_mov_b32 s29, s21
	s_lshl_b64 s[28:29], s[28:29], 2
	s_add_u32 s30, s38, s28
	s_addc_u32 s31, s39, s29
	s_load_dword s57, s[30:31], 0x8
	s_load_dword s59, s[2:3], 0x6c
	;; [unrolled: 1-line block ×3, first 2 shown]
                                        ; implicit-def: $vgpr18_vgpr19
	s_waitcnt lgkmcnt(0)
	s_ashr_i32 s0, s57, 31
	v_or_b32_e32 v3, s0, v17
	v_cmp_ne_u64_e32 vcc, 0, v[2:3]
	s_and_saveexec_b64 s[2:3], vcc
	s_xor_b64 s[2:3], exec, s[2:3]
	s_cbranch_execz .LBB5_28
; %bb.27:                               ;   in Loop: Header=BB5_18 Depth=2
	s_add_u32 s36, s57, s0
	s_mov_b32 s34, s0
	s_mov_b32 s35, s0
	s_addc_u32 s37, s0, s0
	s_xor_b64 s[36:37], s[36:37], s[34:35]
	v_cvt_f32_u32_e32 v3, s36
	v_cvt_f32_u32_e32 v5, s37
	s_sub_u32 s0, 0, s36
	s_subb_u32 s1, 0, s37
	v_mac_f32_e32 v3, 0x4f800000, v5
	v_rcp_f32_e32 v3, v3
	v_mul_f32_e32 v3, 0x5f7ffffc, v3
	v_mul_f32_e32 v5, 0x2f800000, v3
	v_trunc_f32_e32 v5, v5
	v_mac_f32_e32 v3, 0xcf800000, v5
	v_cvt_u32_f32_e32 v5, v5
	v_cvt_u32_f32_e32 v3, v3
	v_mul_lo_u32 v7, s0, v5
	v_mul_hi_u32 v11, s0, v3
	v_mul_lo_u32 v9, s1, v3
	v_add_u32_e32 v7, v11, v7
	v_mul_lo_u32 v13, s0, v3
	v_add_u32_e32 v7, v7, v9
	v_mul_lo_u32 v11, v3, v7
	v_mul_hi_u32 v15, v3, v13
	v_mul_hi_u32 v9, v3, v7
	v_add_co_u32_e32 v11, vcc, v15, v11
	v_addc_co_u32_e32 v9, vcc, 0, v9, vcc
	v_mul_hi_u32 v18, v5, v13
	v_mul_lo_u32 v13, v5, v13
	v_add_co_u32_e32 v11, vcc, v11, v13
	v_mul_hi_u32 v15, v5, v7
	v_addc_co_u32_e32 v9, vcc, v9, v18, vcc
	v_addc_co_u32_e32 v11, vcc, 0, v15, vcc
	v_mul_lo_u32 v7, v5, v7
	v_add_co_u32_e32 v7, vcc, v9, v7
	v_addc_co_u32_e32 v9, vcc, 0, v11, vcc
	v_add_co_u32_e32 v3, vcc, v3, v7
	v_addc_co_u32_e32 v5, vcc, v5, v9, vcc
	v_mul_lo_u32 v7, s0, v5
	v_mul_hi_u32 v9, s0, v3
	v_add_u32_e32 v7, v9, v7
	v_mul_lo_u32 v9, s1, v3
	v_add_u32_e32 v7, v7, v9
	v_mul_lo_u32 v11, s0, v3
	v_mul_hi_u32 v13, v5, v11
	v_mul_lo_u32 v15, v5, v11
	v_mul_lo_u32 v19, v3, v7
	v_mul_hi_u32 v11, v3, v11
	v_mul_hi_u32 v18, v3, v7
	v_add_co_u32_e32 v11, vcc, v11, v19
	v_addc_co_u32_e32 v18, vcc, 0, v18, vcc
	v_add_co_u32_e32 v11, vcc, v11, v15
	v_mul_hi_u32 v9, v5, v7
	v_addc_co_u32_e32 v11, vcc, v18, v13, vcc
	v_addc_co_u32_e32 v9, vcc, 0, v9, vcc
	v_mul_lo_u32 v7, v5, v7
	v_add_co_u32_e32 v7, vcc, v11, v7
	v_addc_co_u32_e32 v9, vcc, 0, v9, vcc
	v_add_co_u32_e32 v3, vcc, v3, v7
	v_addc_co_u32_e32 v5, vcc, v5, v9, vcc
	v_ashrrev_i32_e32 v7, 31, v17
	v_add_co_u32_e32 v9, vcc, v16, v7
	v_xor_b32_e32 v9, v9, v7
	v_addc_co_u32_e32 v11, vcc, v17, v7, vcc
	v_mad_u64_u32 v[18:19], s[0:1], v9, v5, 0
	v_mul_hi_u32 v13, v9, v3
	v_xor_b32_e32 v11, v11, v7
	v_add_co_u32_e32 v13, vcc, v13, v18
	v_addc_co_u32_e32 v15, vcc, 0, v19, vcc
	v_mad_u64_u32 v[20:21], s[0:1], v11, v3, 0
	v_add_co_u32_e32 v3, vcc, v13, v20
	v_mad_u64_u32 v[18:19], s[0:1], v11, v5, 0
	v_addc_co_u32_e32 v3, vcc, v15, v21, vcc
	v_addc_co_u32_e32 v5, vcc, 0, v19, vcc
	v_add_co_u32_e32 v3, vcc, v3, v18
	v_addc_co_u32_e32 v5, vcc, 0, v5, vcc
	v_mul_lo_u32 v13, s37, v3
	v_mul_lo_u32 v15, s36, v5
	v_mad_u64_u32 v[18:19], s[0:1], s36, v3, 0
	v_add3_u32 v13, v19, v15, v13
	v_sub_u32_e32 v15, v11, v13
	v_mov_b32_e32 v17, s37
	v_sub_co_u32_e32 v9, vcc, v9, v18
	v_subb_co_u32_e64 v15, s[0:1], v15, v17, vcc
	v_subrev_co_u32_e64 v17, s[0:1], s36, v9
	v_subbrev_co_u32_e64 v15, s[0:1], 0, v15, s[0:1]
	v_cmp_le_u32_e64 s[0:1], s37, v15
	v_cndmask_b32_e64 v18, 0, -1, s[0:1]
	v_cmp_le_u32_e64 s[0:1], s36, v17
	v_cndmask_b32_e64 v17, 0, -1, s[0:1]
	v_cmp_eq_u32_e64 s[0:1], s37, v15
	v_cndmask_b32_e64 v15, v18, v17, s[0:1]
	v_add_co_u32_e64 v17, s[0:1], 2, v3
	v_subb_co_u32_e32 v11, vcc, v11, v13, vcc
	v_addc_co_u32_e64 v18, s[0:1], 0, v5, s[0:1]
	v_cmp_le_u32_e32 vcc, s37, v11
	v_add_co_u32_e64 v19, s[0:1], 1, v3
	v_cndmask_b32_e64 v13, 0, -1, vcc
	v_cmp_le_u32_e32 vcc, s36, v9
	v_addc_co_u32_e64 v20, s[0:1], 0, v5, s[0:1]
	v_cndmask_b32_e64 v9, 0, -1, vcc
	v_cmp_eq_u32_e32 vcc, s37, v11
	v_cmp_ne_u32_e64 s[0:1], 0, v15
	v_cndmask_b32_e32 v9, v13, v9, vcc
	v_cmp_ne_u32_e32 vcc, 0, v9
	v_cndmask_b32_e64 v9, v19, v17, s[0:1]
	v_cndmask_b32_e64 v15, v20, v18, s[0:1]
	v_cndmask_b32_e32 v3, v3, v9, vcc
	v_xor_b32_e32 v9, s35, v7
	v_xor_b32_e32 v7, s34, v7
	v_cndmask_b32_e32 v5, v5, v15, vcc
	v_xor_b32_e32 v3, v3, v7
	v_xor_b32_e32 v5, v5, v9
	v_sub_co_u32_e32 v18, vcc, v3, v7
	v_subb_co_u32_e32 v19, vcc, v5, v9, vcc
.LBB5_28:                               ;   in Loop: Header=BB5_18 Depth=2
	s_andn2_saveexec_b64 s[0:1], s[2:3]
	s_cbranch_execz .LBB5_30
; %bb.29:                               ;   in Loop: Header=BB5_18 Depth=2
	v_cvt_f32_u32_e32 v3, s57
	s_sub_i32 s2, 0, s57
	v_mov_b32_e32 v19, v2
	v_rcp_iflag_f32_e32 v3, v3
	v_mul_f32_e32 v3, 0x4f7ffffe, v3
	v_cvt_u32_f32_e32 v3, v3
	v_mul_lo_u32 v5, s2, v3
	v_mul_hi_u32 v5, v3, v5
	v_add_u32_e32 v3, v3, v5
	v_mul_hi_u32 v3, v16, v3
	v_mul_lo_u32 v5, v3, s57
	v_sub_u32_e32 v5, v16, v5
	v_add_u32_e32 v7, 1, v3
	v_subrev_u32_e32 v9, s57, v5
	v_cmp_le_u32_e32 vcc, s57, v5
	v_cndmask_b32_e32 v5, v5, v9, vcc
	v_cndmask_b32_e32 v3, v3, v7, vcc
	v_add_u32_e32 v7, 1, v3
	v_cmp_le_u32_e32 vcc, s57, v5
	v_cndmask_b32_e32 v18, v3, v7, vcc
.LBB5_30:                               ;   in Loop: Header=BB5_18 Depth=2
	s_or_b64 exec, exec, s[0:1]
	s_add_u32 s0, s43, s28
	s_addc_u32 s1, s44, s29
	s_add_i32 s2, s20, -3
	s_mov_b32 s3, s21
	s_lshl_b64 s[2:3], s[2:3], 2
	s_add_u32 s28, s38, s2
	s_addc_u32 s29, s39, s3
	s_load_dword s60, s[28:29], 0x8
	s_load_dword s61, s[30:31], 0x6c
	;; [unrolled: 1-line block ×3, first 2 shown]
                                        ; implicit-def: $vgpr20_vgpr21
	s_waitcnt lgkmcnt(0)
	s_ashr_i32 s0, s60, 31
	v_or_b32_e32 v3, s0, v19
	v_cmp_ne_u64_e32 vcc, 0, v[2:3]
	s_and_saveexec_b64 s[30:31], vcc
	s_xor_b64 s[30:31], exec, s[30:31]
	s_cbranch_execz .LBB5_32
; %bb.31:                               ;   in Loop: Header=BB5_18 Depth=2
	s_add_u32 s36, s60, s0
	s_mov_b32 s34, s0
	s_mov_b32 s35, s0
	s_addc_u32 s37, s0, s0
	s_xor_b64 s[36:37], s[36:37], s[34:35]
	v_cvt_f32_u32_e32 v3, s36
	v_cvt_f32_u32_e32 v5, s37
	s_sub_u32 s0, 0, s36
	s_subb_u32 s1, 0, s37
	v_mac_f32_e32 v3, 0x4f800000, v5
	v_rcp_f32_e32 v3, v3
	v_mul_f32_e32 v3, 0x5f7ffffc, v3
	v_mul_f32_e32 v5, 0x2f800000, v3
	v_trunc_f32_e32 v5, v5
	v_mac_f32_e32 v3, 0xcf800000, v5
	v_cvt_u32_f32_e32 v5, v5
	v_cvt_u32_f32_e32 v3, v3
	v_mul_lo_u32 v7, s0, v5
	v_mul_hi_u32 v11, s0, v3
	v_mul_lo_u32 v9, s1, v3
	v_add_u32_e32 v7, v11, v7
	v_mul_lo_u32 v13, s0, v3
	v_add_u32_e32 v7, v7, v9
	v_mul_lo_u32 v11, v3, v7
	v_mul_hi_u32 v15, v3, v13
	v_mul_hi_u32 v9, v3, v7
	v_add_co_u32_e32 v11, vcc, v15, v11
	v_addc_co_u32_e32 v9, vcc, 0, v9, vcc
	v_mul_hi_u32 v17, v5, v13
	v_mul_lo_u32 v13, v5, v13
	v_add_co_u32_e32 v11, vcc, v11, v13
	v_mul_hi_u32 v15, v5, v7
	v_addc_co_u32_e32 v9, vcc, v9, v17, vcc
	v_addc_co_u32_e32 v11, vcc, 0, v15, vcc
	v_mul_lo_u32 v7, v5, v7
	v_add_co_u32_e32 v7, vcc, v9, v7
	v_addc_co_u32_e32 v9, vcc, 0, v11, vcc
	v_add_co_u32_e32 v3, vcc, v3, v7
	v_addc_co_u32_e32 v5, vcc, v5, v9, vcc
	v_mul_lo_u32 v7, s0, v5
	v_mul_hi_u32 v9, s0, v3
	v_add_u32_e32 v7, v9, v7
	v_mul_lo_u32 v9, s1, v3
	v_add_u32_e32 v7, v7, v9
	v_mul_lo_u32 v11, s0, v3
	v_mul_hi_u32 v13, v5, v11
	v_mul_lo_u32 v15, v5, v11
	v_mul_lo_u32 v20, v3, v7
	v_mul_hi_u32 v11, v3, v11
	v_mul_hi_u32 v17, v3, v7
	v_add_co_u32_e32 v11, vcc, v11, v20
	v_addc_co_u32_e32 v17, vcc, 0, v17, vcc
	v_add_co_u32_e32 v11, vcc, v11, v15
	v_mul_hi_u32 v9, v5, v7
	v_addc_co_u32_e32 v11, vcc, v17, v13, vcc
	v_addc_co_u32_e32 v9, vcc, 0, v9, vcc
	v_mul_lo_u32 v7, v5, v7
	v_add_co_u32_e32 v7, vcc, v11, v7
	v_addc_co_u32_e32 v9, vcc, 0, v9, vcc
	v_add_co_u32_e32 v3, vcc, v3, v7
	v_addc_co_u32_e32 v5, vcc, v5, v9, vcc
	v_ashrrev_i32_e32 v7, 31, v19
	v_add_co_u32_e32 v9, vcc, v18, v7
	v_xor_b32_e32 v9, v9, v7
	v_addc_co_u32_e32 v11, vcc, v19, v7, vcc
	v_mad_u64_u32 v[20:21], s[0:1], v9, v5, 0
	v_mul_hi_u32 v13, v9, v3
	v_xor_b32_e32 v11, v11, v7
	v_add_co_u32_e32 v13, vcc, v13, v20
	v_addc_co_u32_e32 v15, vcc, 0, v21, vcc
	v_mad_u64_u32 v[24:25], s[0:1], v11, v3, 0
	v_add_co_u32_e32 v3, vcc, v13, v24
	v_mad_u64_u32 v[20:21], s[0:1], v11, v5, 0
	v_addc_co_u32_e32 v3, vcc, v15, v25, vcc
	v_addc_co_u32_e32 v5, vcc, 0, v21, vcc
	v_add_co_u32_e32 v3, vcc, v3, v20
	v_addc_co_u32_e32 v5, vcc, 0, v5, vcc
	v_mul_lo_u32 v13, s37, v3
	v_mul_lo_u32 v15, s36, v5
	v_mad_u64_u32 v[20:21], s[0:1], s36, v3, 0
	v_add3_u32 v13, v21, v15, v13
	v_sub_u32_e32 v15, v11, v13
	v_mov_b32_e32 v17, s37
	v_sub_co_u32_e32 v9, vcc, v9, v20
	v_subb_co_u32_e64 v15, s[0:1], v15, v17, vcc
	v_subrev_co_u32_e64 v17, s[0:1], s36, v9
	v_subbrev_co_u32_e64 v15, s[0:1], 0, v15, s[0:1]
	v_cmp_le_u32_e64 s[0:1], s37, v15
	v_cndmask_b32_e64 v19, 0, -1, s[0:1]
	v_cmp_le_u32_e64 s[0:1], s36, v17
	v_cndmask_b32_e64 v17, 0, -1, s[0:1]
	v_cmp_eq_u32_e64 s[0:1], s37, v15
	v_cndmask_b32_e64 v15, v19, v17, s[0:1]
	v_add_co_u32_e64 v17, s[0:1], 2, v3
	v_subb_co_u32_e32 v11, vcc, v11, v13, vcc
	v_addc_co_u32_e64 v19, s[0:1], 0, v5, s[0:1]
	v_cmp_le_u32_e32 vcc, s37, v11
	v_add_co_u32_e64 v20, s[0:1], 1, v3
	v_cndmask_b32_e64 v13, 0, -1, vcc
	v_cmp_le_u32_e32 vcc, s36, v9
	v_addc_co_u32_e64 v21, s[0:1], 0, v5, s[0:1]
	v_cndmask_b32_e64 v9, 0, -1, vcc
	v_cmp_eq_u32_e32 vcc, s37, v11
	v_cmp_ne_u32_e64 s[0:1], 0, v15
	v_cndmask_b32_e32 v9, v13, v9, vcc
	v_cmp_ne_u32_e32 vcc, 0, v9
	v_cndmask_b32_e64 v9, v20, v17, s[0:1]
	v_cndmask_b32_e64 v15, v21, v19, s[0:1]
	v_cndmask_b32_e32 v3, v3, v9, vcc
	v_xor_b32_e32 v9, s35, v7
	v_xor_b32_e32 v7, s34, v7
	v_cndmask_b32_e32 v5, v5, v15, vcc
	v_xor_b32_e32 v3, v3, v7
	v_xor_b32_e32 v5, v5, v9
	v_sub_co_u32_e32 v20, vcc, v3, v7
	v_subb_co_u32_e32 v21, vcc, v5, v9, vcc
.LBB5_32:                               ;   in Loop: Header=BB5_18 Depth=2
	s_andn2_saveexec_b64 s[0:1], s[30:31]
	s_cbranch_execz .LBB5_34
; %bb.33:                               ;   in Loop: Header=BB5_18 Depth=2
	v_cvt_f32_u32_e32 v3, s60
	s_sub_i32 s30, 0, s60
	v_mov_b32_e32 v21, v2
	v_rcp_iflag_f32_e32 v3, v3
	v_mul_f32_e32 v3, 0x4f7ffffe, v3
	v_cvt_u32_f32_e32 v3, v3
	v_mul_lo_u32 v5, s30, v3
	v_mul_hi_u32 v5, v3, v5
	v_add_u32_e32 v3, v3, v5
	v_mul_hi_u32 v3, v18, v3
	v_mul_lo_u32 v5, v3, s60
	v_sub_u32_e32 v5, v18, v5
	v_add_u32_e32 v7, 1, v3
	v_subrev_u32_e32 v9, s60, v5
	v_cmp_le_u32_e32 vcc, s60, v5
	v_cndmask_b32_e32 v5, v5, v9, vcc
	v_cndmask_b32_e32 v3, v3, v7, vcc
	v_add_u32_e32 v7, 1, v3
	v_cmp_le_u32_e32 vcc, s60, v5
	v_cndmask_b32_e32 v20, v3, v7, vcc
.LBB5_34:                               ;   in Loop: Header=BB5_18 Depth=2
	s_or_b64 exec, exec, s[0:1]
	s_add_u32 s0, s43, s2
	v_mul_lo_u32 v3, v14, s53
	v_mul_lo_u32 v7, v16, s54
	s_load_dword s2, s[28:29], 0x6c
	s_addc_u32 s1, s44, s3
	s_load_dword s0, s[0:1], 0x0
	v_sub_u32_e32 v3, v12, v3
	v_sub_u32_e32 v7, v14, v7
	v_mul_lo_u32 v5, s55, v3
	v_mul_lo_u32 v3, s56, v3
	;; [unrolled: 1-line block ×4, first 2 shown]
	v_add3_u32 v5, v5, v10, v9
	v_add3_u32 v3, v3, v6, v7
	v_mul_lo_u32 v6, v18, s57
	v_mul_lo_u32 v9, v20, s60
	v_sub_u32_e32 v6, v16, v6
	v_sub_u32_e32 v9, v18, v9
	v_mul_lo_u32 v7, s61, v6
	s_waitcnt lgkmcnt(0)
	v_mul_lo_u32 v10, s2, v9
	v_mul_lo_u32 v6, s62, v6
	v_add3_u32 v10, v7, v5, v10
	v_mul_lo_u32 v5, s0, v9
	s_add_i32 s20, s20, -4
	s_cmp_eq_u32 s20, -1
	v_add3_u32 v6, v6, v3, v5
	s_cbranch_scc1 .LBB5_41
; %bb.35:                               ;   in Loop: Header=BB5_18 Depth=2
	v_pk_mov_b32 v[12:13], v[20:21], v[20:21] op_sel:[0,1]
	s_branch .LBB5_18
.LBB5_36:                               ;   in Loop: Header=BB5_37 Depth=2
	s_or_b64 exec, exec, s[0:1]
	s_load_dword s28, s[28:29], 0x6c
	s_add_u32 s0, s43, s2
	s_addc_u32 s1, s44, s3
	s_load_dword s2, s[0:1], 0x0
	v_mul_lo_u32 v3, v12, s54
	v_sub_u32_e32 v3, v14, v3
	s_waitcnt lgkmcnt(0)
	v_mad_u64_u32 v[10:11], s[0:1], s28, v3, v[10:11]
	s_add_i32 s20, s20, -1
	s_xor_b32 s0, s48, s53
	s_add_i32 s53, s53, 1
	s_cmp_lg_u32 s0, 2
	v_mad_u64_u32 v[6:7], s[0:1], s2, v3, v[6:7]
	s_cbranch_scc0 .LBB5_17
.LBB5_37:                               ;   Parent Loop BB5_3 Depth=1
                                        ; =>  This Inner Loop Header: Depth=2
	s_lshl_b64 s[2:3], s[20:21], 2
	s_add_u32 s28, s38, s2
	s_addc_u32 s29, s39, s3
	s_load_dword s54, s[28:29], 0x8
	v_pk_mov_b32 v[14:15], v[12:13], v[12:13] op_sel:[0,1]
                                        ; implicit-def: $vgpr12_vgpr13
	s_waitcnt lgkmcnt(0)
	s_ashr_i32 s0, s54, 31
	v_or_b32_e32 v3, s0, v15
	v_cmp_ne_u64_e32 vcc, 0, v[2:3]
	s_and_saveexec_b64 s[30:31], vcc
	s_xor_b64 s[30:31], exec, s[30:31]
	s_cbranch_execz .LBB5_39
; %bb.38:                               ;   in Loop: Header=BB5_37 Depth=2
	s_add_u32 s36, s54, s0
	s_mov_b32 s34, s0
	s_mov_b32 s35, s0
	s_addc_u32 s37, s0, s0
	s_xor_b64 s[36:37], s[36:37], s[34:35]
	v_cvt_f32_u32_e32 v3, s36
	v_cvt_f32_u32_e32 v5, s37
	s_sub_u32 s0, 0, s36
	s_subb_u32 s1, 0, s37
	v_mac_f32_e32 v3, 0x4f800000, v5
	v_rcp_f32_e32 v3, v3
	v_mul_f32_e32 v3, 0x5f7ffffc, v3
	v_mul_f32_e32 v5, 0x2f800000, v3
	v_trunc_f32_e32 v5, v5
	v_mac_f32_e32 v3, 0xcf800000, v5
	v_cvt_u32_f32_e32 v5, v5
	v_cvt_u32_f32_e32 v3, v3
	v_mul_lo_u32 v7, s0, v5
	v_mul_hi_u32 v11, s0, v3
	v_mul_lo_u32 v9, s1, v3
	v_add_u32_e32 v7, v11, v7
	v_mul_lo_u32 v12, s0, v3
	v_add_u32_e32 v7, v7, v9
	v_mul_lo_u32 v11, v3, v7
	v_mul_hi_u32 v13, v3, v12
	v_mul_hi_u32 v9, v3, v7
	v_add_co_u32_e32 v11, vcc, v13, v11
	v_addc_co_u32_e32 v9, vcc, 0, v9, vcc
	v_mul_hi_u32 v16, v5, v12
	v_mul_lo_u32 v12, v5, v12
	v_add_co_u32_e32 v11, vcc, v11, v12
	v_mul_hi_u32 v13, v5, v7
	v_addc_co_u32_e32 v9, vcc, v9, v16, vcc
	v_addc_co_u32_e32 v11, vcc, 0, v13, vcc
	v_mul_lo_u32 v7, v5, v7
	v_add_co_u32_e32 v7, vcc, v9, v7
	v_addc_co_u32_e32 v9, vcc, 0, v11, vcc
	v_add_co_u32_e32 v3, vcc, v3, v7
	v_addc_co_u32_e32 v5, vcc, v5, v9, vcc
	v_mul_lo_u32 v7, s0, v5
	v_mul_hi_u32 v9, s0, v3
	v_add_u32_e32 v7, v9, v7
	v_mul_lo_u32 v9, s1, v3
	v_add_u32_e32 v7, v7, v9
	v_mul_lo_u32 v11, s0, v3
	v_mul_hi_u32 v12, v5, v11
	v_mul_lo_u32 v13, v5, v11
	v_mul_lo_u32 v17, v3, v7
	v_mul_hi_u32 v11, v3, v11
	v_mul_hi_u32 v16, v3, v7
	v_add_co_u32_e32 v11, vcc, v11, v17
	v_addc_co_u32_e32 v16, vcc, 0, v16, vcc
	v_add_co_u32_e32 v11, vcc, v11, v13
	v_mul_hi_u32 v9, v5, v7
	v_addc_co_u32_e32 v11, vcc, v16, v12, vcc
	v_addc_co_u32_e32 v9, vcc, 0, v9, vcc
	v_mul_lo_u32 v7, v5, v7
	v_add_co_u32_e32 v7, vcc, v11, v7
	v_addc_co_u32_e32 v9, vcc, 0, v9, vcc
	v_add_co_u32_e32 v3, vcc, v3, v7
	v_addc_co_u32_e32 v5, vcc, v5, v9, vcc
	v_ashrrev_i32_e32 v7, 31, v15
	v_add_co_u32_e32 v9, vcc, v14, v7
	v_xor_b32_e32 v9, v9, v7
	v_addc_co_u32_e32 v11, vcc, v15, v7, vcc
	v_mad_u64_u32 v[12:13], s[0:1], v9, v5, 0
	v_mul_hi_u32 v15, v9, v3
	v_xor_b32_e32 v11, v11, v7
	v_add_co_u32_e32 v15, vcc, v15, v12
	v_addc_co_u32_e32 v18, vcc, 0, v13, vcc
	v_mad_u64_u32 v[16:17], s[0:1], v11, v3, 0
	v_add_co_u32_e32 v3, vcc, v15, v16
	v_mad_u64_u32 v[12:13], s[0:1], v11, v5, 0
	v_addc_co_u32_e32 v3, vcc, v18, v17, vcc
	v_addc_co_u32_e32 v5, vcc, 0, v13, vcc
	v_add_co_u32_e32 v3, vcc, v3, v12
	v_addc_co_u32_e32 v5, vcc, 0, v5, vcc
	v_mul_lo_u32 v15, s37, v3
	v_mul_lo_u32 v16, s36, v5
	v_mad_u64_u32 v[12:13], s[0:1], s36, v3, 0
	v_add3_u32 v13, v13, v16, v15
	v_sub_u32_e32 v15, v11, v13
	v_mov_b32_e32 v16, s37
	v_sub_co_u32_e32 v9, vcc, v9, v12
	v_subb_co_u32_e64 v12, s[0:1], v15, v16, vcc
	v_subrev_co_u32_e64 v15, s[0:1], s36, v9
	v_subbrev_co_u32_e64 v12, s[0:1], 0, v12, s[0:1]
	v_cmp_le_u32_e64 s[0:1], s37, v12
	v_cndmask_b32_e64 v16, 0, -1, s[0:1]
	v_cmp_le_u32_e64 s[0:1], s36, v15
	v_cndmask_b32_e64 v15, 0, -1, s[0:1]
	v_cmp_eq_u32_e64 s[0:1], s37, v12
	v_cndmask_b32_e64 v12, v16, v15, s[0:1]
	v_add_co_u32_e64 v15, s[0:1], 2, v3
	v_subb_co_u32_e32 v11, vcc, v11, v13, vcc
	v_addc_co_u32_e64 v16, s[0:1], 0, v5, s[0:1]
	v_cmp_le_u32_e32 vcc, s37, v11
	v_add_co_u32_e64 v17, s[0:1], 1, v3
	v_cndmask_b32_e64 v13, 0, -1, vcc
	v_cmp_le_u32_e32 vcc, s36, v9
	v_addc_co_u32_e64 v18, s[0:1], 0, v5, s[0:1]
	v_cndmask_b32_e64 v9, 0, -1, vcc
	v_cmp_eq_u32_e32 vcc, s37, v11
	v_cmp_ne_u32_e64 s[0:1], 0, v12
	v_cndmask_b32_e32 v9, v13, v9, vcc
	v_cmp_ne_u32_e32 vcc, 0, v9
	v_cndmask_b32_e64 v9, v17, v15, s[0:1]
	v_cndmask_b32_e64 v12, v18, v16, s[0:1]
	v_cndmask_b32_e32 v3, v3, v9, vcc
	v_xor_b32_e32 v9, s35, v7
	v_xor_b32_e32 v7, s34, v7
	v_cndmask_b32_e32 v5, v5, v12, vcc
	v_xor_b32_e32 v3, v3, v7
	v_xor_b32_e32 v5, v5, v9
	v_sub_co_u32_e32 v12, vcc, v3, v7
	v_subb_co_u32_e32 v13, vcc, v5, v9, vcc
.LBB5_39:                               ;   in Loop: Header=BB5_37 Depth=2
	s_andn2_saveexec_b64 s[0:1], s[30:31]
	s_cbranch_execz .LBB5_36
; %bb.40:                               ;   in Loop: Header=BB5_37 Depth=2
	v_cvt_f32_u32_e32 v3, s54
	s_sub_i32 s30, 0, s54
	v_mov_b32_e32 v13, v2
	v_rcp_iflag_f32_e32 v3, v3
	v_mul_f32_e32 v3, 0x4f7ffffe, v3
	v_cvt_u32_f32_e32 v3, v3
	v_mul_lo_u32 v5, s30, v3
	v_mul_hi_u32 v5, v3, v5
	v_add_u32_e32 v3, v3, v5
	v_mul_hi_u32 v3, v14, v3
	v_mul_lo_u32 v5, v3, s54
	v_sub_u32_e32 v5, v14, v5
	v_add_u32_e32 v7, 1, v3
	v_subrev_u32_e32 v9, s54, v5
	v_cmp_le_u32_e32 vcc, s54, v5
	v_cndmask_b32_e32 v5, v5, v9, vcc
	v_cndmask_b32_e32 v3, v3, v7, vcc
	v_add_u32_e32 v7, 1, v3
	v_cmp_le_u32_e32 vcc, s54, v5
	v_cndmask_b32_e32 v12, v3, v7, vcc
	s_branch .LBB5_36
.LBB5_41:                               ;   in Loop: Header=BB5_3 Depth=1
	v_mov_b32_e32 v3, v4
	v_sub_u32_e32 v4, v4, v8
	v_ashrrev_i32_e32 v5, 31, v4
	v_cmp_ge_i64_e32 vcc, s[8:9], v[4:5]
                                        ; implicit-def: $vgpr7
	s_and_saveexec_b64 s[0:1], vcc
	s_xor_b64 s[0:1], exec, s[0:1]
	s_cbranch_execnz .LBB5_44
; %bb.42:                               ;   in Loop: Header=BB5_3 Depth=1
	s_andn2_saveexec_b64 s[0:1], s[0:1]
	s_cbranch_execnz .LBB5_53
.LBB5_43:                               ;   in Loop: Header=BB5_3 Depth=1
	s_or_b64 exec, exec, s[0:1]
	v_cmp_gt_i32_e32 vcc, s13, v3
	s_and_saveexec_b64 s[0:1], vcc
	s_cbranch_execz .LBB5_2
	s_branch .LBB5_54
.LBB5_44:                               ;   in Loop: Header=BB5_3 Depth=1
	v_cmp_gt_i32_e32 vcc, s13, v3
	v_mov_b32_e32 v7, 0
	s_and_saveexec_b64 s[2:3], vcc
	s_cbranch_execz .LBB5_52
; %bb.45:                               ;   in Loop: Header=BB5_3 Depth=1
	v_ashrrev_i32_e32 v5, 31, v10
	v_mov_b32_e32 v7, s7
	v_add_co_u32_e32 v4, vcc, s6, v10
	v_addc_co_u32_e32 v5, vcc, v7, v5, vcc
	global_load_ubyte v7, v[4:5], off
	v_add_u32_e32 v9, 1, v3
	v_cmp_gt_i32_e32 vcc, s13, v9
	s_and_saveexec_b64 s[28:29], vcc
	s_xor_b64 s[28:29], exec, s[28:29]
	s_cbranch_execz .LBB5_51
; %bb.46:                               ;   in Loop: Header=BB5_3 Depth=1
	v_mov_b32_e32 v9, s49
	v_add_co_u32_e32 v4, vcc, s50, v4
	v_addc_co_u32_e32 v5, vcc, v5, v9, vcc
	global_load_ubyte v4, v[4:5], off
	v_add_u32_e32 v5, 2, v3
	v_cmp_gt_i32_e32 vcc, s13, v5
	s_waitcnt vmcnt(0)
	v_lshlrev_b16_e32 v4, 8, v4
	v_or_b32_e32 v4, v7, v4
	v_and_b32_e32 v7, 0xffff, v4
	s_and_saveexec_b64 s[30:31], vcc
	s_xor_b64 s[30:31], exec, s[30:31]
	s_cbranch_execz .LBB5_50
; %bb.47:                               ;   in Loop: Header=BB5_3 Depth=1
	s_add_i32 s20, s50, s50
	v_add_u32_e32 v4, s20, v10
	v_ashrrev_i32_e32 v5, 31, v4
	v_mov_b32_e32 v9, s7
	v_add_co_u32_e32 v10, vcc, s6, v4
	v_addc_co_u32_e32 v11, vcc, v9, v5, vcc
	global_load_ubyte v5, v[10:11], off
	v_add_u32_e32 v9, 3, v3
	v_cmp_gt_i32_e32 vcc, s13, v9
	s_waitcnt vmcnt(0)
	v_lshl_or_b32 v7, v5, 16, v7
	s_and_saveexec_b64 s[34:35], vcc
	s_xor_b64 s[34:35], exec, s[34:35]
	s_cbranch_execz .LBB5_49
; %bb.48:                               ;   in Loop: Header=BB5_3 Depth=1
	v_add_u32_e32 v4, s50, v4
	v_ashrrev_i32_e32 v5, 31, v4
	v_mov_b32_e32 v9, s7
	v_add_co_u32_e32 v4, vcc, s6, v4
	v_addc_co_u32_e32 v5, vcc, v9, v5, vcc
	global_load_ubyte v4, v[4:5], off
	s_waitcnt vmcnt(0)
	v_lshlrev_b16_e32 v4, 8, v4
	v_or_b32_sdwa v4, v7, v4 dst_sel:WORD_1 dst_unused:UNUSED_PAD src0_sel:WORD_1 src1_sel:DWORD
	v_and_or_b32 v7, v7, s33, v4
.LBB5_49:                               ;   in Loop: Header=BB5_3 Depth=1
	s_or_b64 exec, exec, s[34:35]
.LBB5_50:                               ;   in Loop: Header=BB5_3 Depth=1
	s_or_b64 exec, exec, s[30:31]
.LBB5_51:                               ;   in Loop: Header=BB5_3 Depth=1
	s_or_b64 exec, exec, s[28:29]
.LBB5_52:                               ;   in Loop: Header=BB5_3 Depth=1
	s_or_b64 exec, exec, s[2:3]
	v_sub_u32_e32 v4, v3, v8
	v_ashrrev_i32_e32 v5, 31, v4
	v_add_u32_e32 v8, 1, v4
	v_cmp_ge_i64_e32 vcc, s[8:9], v[4:5]
	v_ashrrev_i32_e32 v9, 31, v8
	s_waitcnt vmcnt(0)
	v_cndmask_b32_e32 v11, 0, v7, vcc
	v_cmp_ge_i64_e32 vcc, s[8:9], v[8:9]
	v_add_u32_e32 v8, 2, v4
	v_lshrrev_b32_e32 v5, 8, v7
	v_ashrrev_i32_e32 v9, 31, v8
	v_add_u32_e32 v4, 3, v4
	v_lshrrev_b32_e32 v10, 16, v7
	v_cndmask_b32_e32 v12, 0, v5, vcc
	v_cmp_ge_i64_e32 vcc, s[8:9], v[8:9]
	v_ashrrev_i32_e32 v5, 31, v4
	v_cndmask_b32_e32 v8, 0, v10, vcc
	v_lshrrev_b32_e32 v7, 24, v7
	v_cmp_ge_i64_e32 vcc, s[8:9], v[4:5]
	v_cndmask_b32_e32 v4, 0, v7, vcc
	v_lshlrev_b16_e32 v5, 8, v12
	v_lshlrev_b16_e32 v4, 8, v4
	v_or_b32_sdwa v5, v11, v5 dst_sel:DWORD dst_unused:UNUSED_PAD src0_sel:BYTE_0 src1_sel:DWORD
	v_or_b32_sdwa v4, v8, v4 dst_sel:WORD_1 dst_unused:UNUSED_PAD src0_sel:BYTE_0 src1_sel:DWORD
	v_or_b32_sdwa v7, v5, v4 dst_sel:DWORD dst_unused:UNUSED_PAD src0_sel:WORD_0 src1_sel:DWORD
	s_andn2_saveexec_b64 s[0:1], s[0:1]
	s_cbranch_execz .LBB5_43
.LBB5_53:                               ;   in Loop: Header=BB5_3 Depth=1
	v_mov_b32_e32 v7, 0
	s_or_b64 exec, exec, s[0:1]
	v_cmp_gt_i32_e32 vcc, s13, v3
	s_and_saveexec_b64 s[0:1], vcc
	s_cbranch_execz .LBB5_2
.LBB5_54:                               ;   in Loop: Header=BB5_3 Depth=1
	v_ashrrev_i32_e32 v5, 31, v6
	v_mov_b32_e32 v8, s5
	v_add_co_u32_e32 v4, vcc, s4, v6
	v_addc_co_u32_e32 v5, vcc, v8, v5, vcc
	v_add_u32_e32 v8, 1, v3
	v_cmp_gt_i32_e32 vcc, s13, v8
	global_store_byte v[4:5], v7, off
	s_and_saveexec_b64 s[2:3], vcc
	s_xor_b64 s[2:3], exec, s[2:3]
	s_cbranch_execz .LBB5_2
; %bb.55:                               ;   in Loop: Header=BB5_3 Depth=1
	v_mov_b32_e32 v9, s51
	v_add_co_u32_e32 v4, vcc, s52, v4
	v_lshrrev_b32_e32 v8, 8, v7
	v_addc_co_u32_e32 v5, vcc, v5, v9, vcc
	global_store_byte v[4:5], v8, off
	v_add_u32_e32 v4, 2, v3
	v_cmp_gt_i32_e32 vcc, s13, v4
	s_and_saveexec_b64 s[2:3], vcc
	s_xor_b64 s[2:3], exec, s[2:3]
	s_cbranch_execz .LBB5_2
; %bb.56:                               ;   in Loop: Header=BB5_3 Depth=1
	s_add_i32 s2, s52, s52
	v_add_u32_e32 v4, s2, v6
	v_ashrrev_i32_e32 v5, 31, v4
	v_mov_b32_e32 v6, s5
	v_add_co_u32_e32 v8, vcc, s4, v4
	v_addc_co_u32_e32 v9, vcc, v6, v5, vcc
	v_add_u32_e32 v3, 3, v3
	v_cmp_gt_i32_e32 vcc, s13, v3
	global_store_byte_d16_hi v[8:9], v7, off
	s_and_saveexec_b64 s[2:3], vcc
	s_xor_b64 s[2:3], exec, s[2:3]
	s_cbranch_execz .LBB5_2
; %bb.57:                               ;   in Loop: Header=BB5_3 Depth=1
	v_add_u32_e32 v4, s52, v4
	v_ashrrev_i32_e32 v5, 31, v4
	v_mov_b32_e32 v6, s5
	v_add_co_u32_e32 v4, vcc, s4, v4
	v_lshrrev_b32_e32 v3, 24, v7
	v_addc_co_u32_e32 v5, vcc, v6, v5, vcc
	global_store_byte v[4:5], v3, off
	s_branch .LBB5_2
.LBB5_58:
	s_endpgm
	.section	.rodata,"a",@progbits
	.p2align	6, 0x0
	.amdhsa_kernel _ZN2at6native16triu_tril_kernelIaiLb0ELi4ELb0EEEvNS_4cuda6detail10TensorInfoIT_T0_EENS4_IKS5_S6_EEllS6_
		.amdhsa_group_segment_fixed_size 0
		.amdhsa_private_segment_fixed_size 0
		.amdhsa_kernarg_size 712
		.amdhsa_user_sgpr_count 6
		.amdhsa_user_sgpr_private_segment_buffer 1
		.amdhsa_user_sgpr_dispatch_ptr 0
		.amdhsa_user_sgpr_queue_ptr 0
		.amdhsa_user_sgpr_kernarg_segment_ptr 1
		.amdhsa_user_sgpr_dispatch_id 0
		.amdhsa_user_sgpr_flat_scratch_init 0
		.amdhsa_user_sgpr_kernarg_preload_length 0
		.amdhsa_user_sgpr_kernarg_preload_offset 0
		.amdhsa_user_sgpr_private_segment_size 0
		.amdhsa_uses_dynamic_stack 0
		.amdhsa_system_sgpr_private_segment_wavefront_offset 0
		.amdhsa_system_sgpr_workgroup_id_x 1
		.amdhsa_system_sgpr_workgroup_id_y 0
		.amdhsa_system_sgpr_workgroup_id_z 0
		.amdhsa_system_sgpr_workgroup_info 0
		.amdhsa_system_vgpr_workitem_id 0
		.amdhsa_next_free_vgpr 26
		.amdhsa_next_free_sgpr 63
		.amdhsa_accum_offset 28
		.amdhsa_reserve_vcc 1
		.amdhsa_reserve_flat_scratch 0
		.amdhsa_float_round_mode_32 0
		.amdhsa_float_round_mode_16_64 0
		.amdhsa_float_denorm_mode_32 3
		.amdhsa_float_denorm_mode_16_64 3
		.amdhsa_dx10_clamp 1
		.amdhsa_ieee_mode 1
		.amdhsa_fp16_overflow 0
		.amdhsa_tg_split 0
		.amdhsa_exception_fp_ieee_invalid_op 0
		.amdhsa_exception_fp_denorm_src 0
		.amdhsa_exception_fp_ieee_div_zero 0
		.amdhsa_exception_fp_ieee_overflow 0
		.amdhsa_exception_fp_ieee_underflow 0
		.amdhsa_exception_fp_ieee_inexact 0
		.amdhsa_exception_int_div_zero 0
	.end_amdhsa_kernel
	.section	.text._ZN2at6native16triu_tril_kernelIaiLb0ELi4ELb0EEEvNS_4cuda6detail10TensorInfoIT_T0_EENS4_IKS5_S6_EEllS6_,"axG",@progbits,_ZN2at6native16triu_tril_kernelIaiLb0ELi4ELb0EEEvNS_4cuda6detail10TensorInfoIT_T0_EENS4_IKS5_S6_EEllS6_,comdat
.Lfunc_end5:
	.size	_ZN2at6native16triu_tril_kernelIaiLb0ELi4ELb0EEEvNS_4cuda6detail10TensorInfoIT_T0_EENS4_IKS5_S6_EEllS6_, .Lfunc_end5-_ZN2at6native16triu_tril_kernelIaiLb0ELi4ELb0EEEvNS_4cuda6detail10TensorInfoIT_T0_EENS4_IKS5_S6_EEllS6_
                                        ; -- End function
	.section	.AMDGPU.csdata,"",@progbits
; Kernel info:
; codeLenInByte = 7956
; NumSgprs: 67
; NumVgprs: 26
; NumAgprs: 0
; TotalNumVgprs: 26
; ScratchSize: 0
; MemoryBound: 0
; FloatMode: 240
; IeeeMode: 1
; LDSByteSize: 0 bytes/workgroup (compile time only)
; SGPRBlocks: 8
; VGPRBlocks: 3
; NumSGPRsForWavesPerEU: 67
; NumVGPRsForWavesPerEU: 26
; AccumOffset: 28
; Occupancy: 8
; WaveLimiterHint : 0
; COMPUTE_PGM_RSRC2:SCRATCH_EN: 0
; COMPUTE_PGM_RSRC2:USER_SGPR: 6
; COMPUTE_PGM_RSRC2:TRAP_HANDLER: 0
; COMPUTE_PGM_RSRC2:TGID_X_EN: 1
; COMPUTE_PGM_RSRC2:TGID_Y_EN: 0
; COMPUTE_PGM_RSRC2:TGID_Z_EN: 0
; COMPUTE_PGM_RSRC2:TIDIG_COMP_CNT: 0
; COMPUTE_PGM_RSRC3_GFX90A:ACCUM_OFFSET: 6
; COMPUTE_PGM_RSRC3_GFX90A:TG_SPLIT: 0
	.section	.text._ZN2at6native16triu_tril_kernelIalLb0ELi4ELb1EEEvNS_4cuda6detail10TensorInfoIT_T0_EENS4_IKS5_S6_EEllS6_,"axG",@progbits,_ZN2at6native16triu_tril_kernelIalLb0ELi4ELb1EEEvNS_4cuda6detail10TensorInfoIT_T0_EENS4_IKS5_S6_EEllS6_,comdat
	.protected	_ZN2at6native16triu_tril_kernelIalLb0ELi4ELb1EEEvNS_4cuda6detail10TensorInfoIT_T0_EENS4_IKS5_S6_EEllS6_ ; -- Begin function _ZN2at6native16triu_tril_kernelIalLb0ELi4ELb1EEEvNS_4cuda6detail10TensorInfoIT_T0_EENS4_IKS5_S6_EEllS6_
	.globl	_ZN2at6native16triu_tril_kernelIalLb0ELi4ELb1EEEvNS_4cuda6detail10TensorInfoIT_T0_EENS4_IKS5_S6_EEllS6_
	.p2align	8
	.type	_ZN2at6native16triu_tril_kernelIalLb0ELi4ELb1EEEvNS_4cuda6detail10TensorInfoIT_T0_EENS4_IKS5_S6_EEllS6_,@function
_ZN2at6native16triu_tril_kernelIalLb0ELi4ELb1EEEvNS_4cuda6detail10TensorInfoIT_T0_EENS4_IKS5_S6_EEllS6_: ; @_ZN2at6native16triu_tril_kernelIalLb0ELi4ELb1EEEvNS_4cuda6detail10TensorInfoIT_T0_EENS4_IKS5_S6_EEllS6_
; %bb.0:
	s_load_dword s2, s[4:5], 0x364
	s_load_dwordx4 s[8:11], s[4:5], 0x340
	s_add_u32 s0, s4, 0x358
	v_mov_b32_e32 v2, 0
	s_addc_u32 s1, s5, 0
	s_waitcnt lgkmcnt(0)
	s_and_b32 s12, s2, 0xffff
	v_mov_b32_e32 v1, v2
	v_mov_b32_e32 v3, s6
	v_mad_u64_u32 v[0:1], s[2:3], s12, v3, v[0:1]
	v_lshlrev_b64 v[0:1], 2, v[0:1]
	v_cmp_gt_i64_e32 vcc, s[10:11], v[0:1]
	s_and_saveexec_b64 s[2:3], vcc
	s_cbranch_execz .LBB6_29
; %bb.1:
	s_load_dword s13, s[0:1], 0x0
	s_load_dword s18, s[4:5], 0x338
	s_load_dwordx2 s[2:3], s[4:5], 0x350
	s_load_dwordx2 s[6:7], s[4:5], 0x0
	s_mov_b32 s48, 0
	s_waitcnt lgkmcnt(0)
	s_mul_i32 s20, s13, s12
	s_ashr_i32 s19, s18, 31
	s_add_u32 s24, s4, 0x1a8
	s_addc_u32 s25, s5, 0
	s_lshl_b64 s[0:1], s[18:19], 3
	s_add_u32 s16, s0, -16
	s_addc_u32 s17, s1, -1
	s_add_u32 s14, s24, s16
	s_addc_u32 s15, s25, s17
	v_cmp_gt_i64_e64 s[12:13], s[18:19], 2
	s_add_u32 s19, s0, -8
	s_addc_u32 s21, s1, -1
	s_add_u32 s26, s4, 0xd0
	s_addc_u32 s27, s5, 0
	s_add_u32 s4, s26, s19
	v_cvt_f32_u32_e32 v3, s2
	s_addc_u32 s5, s27, s21
	s_add_u32 s16, s26, s16
	s_addc_u32 s17, s27, s17
	s_add_i32 s0, s18, -3
	s_ashr_i32 s1, s0, 31
	v_rcp_iflag_f32_e32 v3, v3
	s_add_u32 s18, s24, s19
	s_addc_u32 s19, s25, s21
	s_lshl_b32 s33, s20, 2
	s_lshl_b64 s[22:23], s[0:1], 3
	s_add_u32 s20, s26, s22
	s_load_dwordx2 s[14:15], s[14:15], 0x0
	s_addc_u32 s21, s27, s23
	v_mul_f32_e32 v3, 0x4f7ffffe, v3
	s_add_u32 s22, s24, s22
	v_cvt_u32_f32_e32 v14, v3
	s_addc_u32 s23, s25, s23
	s_add_u32 s24, s0, 1
	s_addc_u32 s25, s1, 0
	s_mov_b64 s[26:27], 0
	s_branch .LBB6_3
.LBB6_2:                                ;   in Loop: Header=BB6_3 Depth=1
	s_or_b64 exec, exec, s[28:29]
	v_mov_b32_e32 v3, s48
	v_add_co_u32_e32 v0, vcc, s33, v0
	v_addc_co_u32_e32 v1, vcc, v1, v3, vcc
	v_cmp_le_i64_e32 vcc, s[10:11], v[0:1]
	s_or_b64 s[26:27], vcc, s[26:27]
	s_andn2_b64 exec, exec, s[26:27]
	s_cbranch_execz .LBB6_29
.LBB6_3:                                ; =>This Loop Header: Depth=1
                                        ;     Child Loop BB6_25 Depth 2
	v_or_b32_e32 v3, s3, v1
	v_cmp_ne_u64_e32 vcc, 0, v[2:3]
                                        ; implicit-def: $vgpr6_vgpr7
	s_and_saveexec_b64 s[0:1], vcc
	s_xor_b64 s[28:29], exec, s[0:1]
	s_cbranch_execz .LBB6_5
; %bb.4:                                ;   in Loop: Header=BB6_3 Depth=1
	s_ashr_i32 s30, s3, 31
	s_add_u32 s0, s2, s30
	s_mov_b32 s31, s30
	s_addc_u32 s1, s3, s30
	s_xor_b64 s[34:35], s[0:1], s[30:31]
	v_cvt_f32_u32_e32 v3, s34
	v_cvt_f32_u32_e32 v4, s35
	s_sub_u32 s0, 0, s34
	s_subb_u32 s1, 0, s35
	v_mac_f32_e32 v3, 0x4f800000, v4
	v_rcp_f32_e32 v3, v3
	v_mul_f32_e32 v3, 0x5f7ffffc, v3
	v_mul_f32_e32 v4, 0x2f800000, v3
	v_trunc_f32_e32 v4, v4
	v_mac_f32_e32 v3, 0xcf800000, v4
	v_cvt_u32_f32_e32 v4, v4
	v_cvt_u32_f32_e32 v3, v3
	v_mul_lo_u32 v5, s0, v4
	v_mul_hi_u32 v7, s0, v3
	v_mul_lo_u32 v6, s1, v3
	v_add_u32_e32 v5, v7, v5
	v_mul_lo_u32 v8, s0, v3
	v_add_u32_e32 v5, v5, v6
	v_mul_lo_u32 v7, v3, v5
	v_mul_hi_u32 v9, v3, v8
	v_mul_hi_u32 v6, v3, v5
	v_add_co_u32_e32 v7, vcc, v9, v7
	v_addc_co_u32_e32 v6, vcc, 0, v6, vcc
	v_mul_hi_u32 v10, v4, v8
	v_mul_lo_u32 v8, v4, v8
	v_add_co_u32_e32 v7, vcc, v7, v8
	v_mul_hi_u32 v9, v4, v5
	v_addc_co_u32_e32 v6, vcc, v6, v10, vcc
	v_addc_co_u32_e32 v7, vcc, 0, v9, vcc
	v_mul_lo_u32 v5, v4, v5
	v_add_co_u32_e32 v5, vcc, v6, v5
	v_addc_co_u32_e32 v6, vcc, 0, v7, vcc
	v_add_co_u32_e32 v3, vcc, v3, v5
	v_addc_co_u32_e32 v4, vcc, v4, v6, vcc
	v_mul_lo_u32 v5, s0, v4
	v_mul_hi_u32 v6, s0, v3
	v_add_u32_e32 v5, v6, v5
	v_mul_lo_u32 v6, s1, v3
	v_add_u32_e32 v5, v5, v6
	v_mul_lo_u32 v7, s0, v3
	v_mul_hi_u32 v8, v4, v7
	v_mul_lo_u32 v9, v4, v7
	v_mul_lo_u32 v11, v3, v5
	v_mul_hi_u32 v7, v3, v7
	v_mul_hi_u32 v10, v3, v5
	v_add_co_u32_e32 v7, vcc, v7, v11
	v_addc_co_u32_e32 v10, vcc, 0, v10, vcc
	v_add_co_u32_e32 v7, vcc, v7, v9
	v_mul_hi_u32 v6, v4, v5
	v_addc_co_u32_e32 v7, vcc, v10, v8, vcc
	v_addc_co_u32_e32 v6, vcc, 0, v6, vcc
	v_mul_lo_u32 v5, v4, v5
	v_add_co_u32_e32 v5, vcc, v7, v5
	v_addc_co_u32_e32 v6, vcc, 0, v6, vcc
	v_add_co_u32_e32 v3, vcc, v3, v5
	v_addc_co_u32_e32 v6, vcc, v4, v6, vcc
	v_ashrrev_i32_e32 v8, 31, v1
	v_add_co_u32_e32 v4, vcc, v0, v8
	v_addc_co_u32_e32 v5, vcc, v1, v8, vcc
	v_xor_b32_e32 v10, v4, v8
	v_xor_b32_e32 v9, v5, v8
	v_mad_u64_u32 v[4:5], s[0:1], v10, v6, 0
	v_mul_hi_u32 v7, v10, v3
	v_add_co_u32_e32 v11, vcc, v7, v4
	v_addc_co_u32_e32 v12, vcc, 0, v5, vcc
	v_mad_u64_u32 v[4:5], s[0:1], v9, v6, 0
	v_mad_u64_u32 v[6:7], s[0:1], v9, v3, 0
	v_add_co_u32_e32 v3, vcc, v11, v6
	v_addc_co_u32_e32 v3, vcc, v12, v7, vcc
	v_addc_co_u32_e32 v5, vcc, 0, v5, vcc
	v_add_co_u32_e32 v3, vcc, v3, v4
	v_addc_co_u32_e32 v6, vcc, 0, v5, vcc
	v_mul_lo_u32 v7, s35, v3
	v_mul_lo_u32 v11, s34, v6
	v_mad_u64_u32 v[4:5], s[0:1], s34, v3, 0
	v_add3_u32 v5, v5, v11, v7
	v_sub_u32_e32 v7, v9, v5
	v_mov_b32_e32 v11, s35
	v_sub_co_u32_e32 v4, vcc, v10, v4
	v_subb_co_u32_e64 v7, s[0:1], v7, v11, vcc
	v_subrev_co_u32_e64 v10, s[0:1], s34, v4
	v_subbrev_co_u32_e64 v7, s[0:1], 0, v7, s[0:1]
	v_cmp_le_u32_e64 s[0:1], s35, v7
	v_cndmask_b32_e64 v11, 0, -1, s[0:1]
	v_cmp_le_u32_e64 s[0:1], s34, v10
	v_cndmask_b32_e64 v10, 0, -1, s[0:1]
	v_cmp_eq_u32_e64 s[0:1], s35, v7
	v_cndmask_b32_e64 v7, v11, v10, s[0:1]
	v_add_co_u32_e64 v10, s[0:1], 2, v3
	v_subb_co_u32_e32 v5, vcc, v9, v5, vcc
	v_addc_co_u32_e64 v11, s[0:1], 0, v6, s[0:1]
	v_cmp_le_u32_e32 vcc, s35, v5
	v_add_co_u32_e64 v12, s[0:1], 1, v3
	v_cndmask_b32_e64 v9, 0, -1, vcc
	v_cmp_le_u32_e32 vcc, s34, v4
	v_addc_co_u32_e64 v13, s[0:1], 0, v6, s[0:1]
	v_cndmask_b32_e64 v4, 0, -1, vcc
	v_cmp_eq_u32_e32 vcc, s35, v5
	v_cmp_ne_u32_e64 s[0:1], 0, v7
	v_cndmask_b32_e32 v4, v9, v4, vcc
	v_cmp_ne_u32_e32 vcc, 0, v4
	v_cndmask_b32_e64 v5, v12, v10, s[0:1]
	v_cndmask_b32_e64 v7, v13, v11, s[0:1]
	v_cndmask_b32_e32 v3, v3, v5, vcc
	v_xor_b32_e32 v5, s30, v8
	v_cndmask_b32_e32 v4, v6, v7, vcc
	v_xor_b32_e32 v3, v3, v5
	v_xor_b32_e32 v4, v4, v5
	v_sub_co_u32_e32 v6, vcc, v3, v5
	v_subb_co_u32_e32 v7, vcc, v4, v5, vcc
.LBB6_5:                                ;   in Loop: Header=BB6_3 Depth=1
	s_andn2_saveexec_b64 s[0:1], s[28:29]
	s_cbranch_execz .LBB6_7
; %bb.6:                                ;   in Loop: Header=BB6_3 Depth=1
	s_sub_i32 s28, 0, s2
	v_mul_lo_u32 v3, s28, v14
	v_mul_hi_u32 v3, v14, v3
	v_add_u32_e32 v3, v14, v3
	v_mul_hi_u32 v3, v0, v3
	v_mul_lo_u32 v4, v3, s2
	v_sub_u32_e32 v4, v0, v4
	v_subrev_u32_e32 v5, s2, v4
	v_cmp_le_u32_e32 vcc, s2, v4
	v_cndmask_b32_e32 v4, v4, v5, vcc
	v_add_u32_e32 v5, 1, v3
	v_cndmask_b32_e32 v3, v3, v5, vcc
	v_add_u32_e32 v5, 1, v3
	v_cmp_le_u32_e32 vcc, s2, v4
	v_cndmask_b32_e32 v6, v3, v5, vcc
	v_mov_b32_e32 v7, v2
.LBB6_7:                                ;   in Loop: Header=BB6_3 Depth=1
	s_or_b64 exec, exec, s[0:1]
	s_waitcnt lgkmcnt(0)
	v_or_b32_e32 v3, s15, v7
	v_cmp_ne_u64_e32 vcc, 0, v[2:3]
                                        ; implicit-def: $vgpr8_vgpr9
	s_and_saveexec_b64 s[0:1], vcc
	s_xor_b64 s[28:29], exec, s[0:1]
	s_cbranch_execz .LBB6_9
; %bb.8:                                ;   in Loop: Header=BB6_3 Depth=1
	s_ashr_i32 s30, s15, 31
	s_add_u32 s0, s14, s30
	s_mov_b32 s31, s30
	s_addc_u32 s1, s15, s30
	s_xor_b64 s[34:35], s[0:1], s[30:31]
	v_cvt_f32_u32_e32 v3, s34
	v_cvt_f32_u32_e32 v4, s35
	s_sub_u32 s0, 0, s34
	s_subb_u32 s1, 0, s35
	v_mac_f32_e32 v3, 0x4f800000, v4
	v_rcp_f32_e32 v3, v3
	v_mul_f32_e32 v3, 0x5f7ffffc, v3
	v_mul_f32_e32 v4, 0x2f800000, v3
	v_trunc_f32_e32 v4, v4
	v_mac_f32_e32 v3, 0xcf800000, v4
	v_cvt_u32_f32_e32 v4, v4
	v_cvt_u32_f32_e32 v3, v3
	v_mul_lo_u32 v5, s0, v4
	v_mul_hi_u32 v9, s0, v3
	v_mul_lo_u32 v8, s1, v3
	v_add_u32_e32 v5, v9, v5
	v_mul_lo_u32 v10, s0, v3
	v_add_u32_e32 v5, v5, v8
	v_mul_lo_u32 v9, v3, v5
	v_mul_hi_u32 v11, v3, v10
	v_mul_hi_u32 v8, v3, v5
	v_add_co_u32_e32 v9, vcc, v11, v9
	v_addc_co_u32_e32 v8, vcc, 0, v8, vcc
	v_mul_hi_u32 v12, v4, v10
	v_mul_lo_u32 v10, v4, v10
	v_add_co_u32_e32 v9, vcc, v9, v10
	v_mul_hi_u32 v11, v4, v5
	v_addc_co_u32_e32 v8, vcc, v8, v12, vcc
	v_addc_co_u32_e32 v9, vcc, 0, v11, vcc
	v_mul_lo_u32 v5, v4, v5
	v_add_co_u32_e32 v5, vcc, v8, v5
	v_addc_co_u32_e32 v8, vcc, 0, v9, vcc
	v_add_co_u32_e32 v3, vcc, v3, v5
	v_addc_co_u32_e32 v4, vcc, v4, v8, vcc
	v_mul_lo_u32 v5, s0, v4
	v_mul_hi_u32 v8, s0, v3
	v_add_u32_e32 v5, v8, v5
	v_mul_lo_u32 v8, s1, v3
	v_add_u32_e32 v5, v5, v8
	v_mul_lo_u32 v9, s0, v3
	v_mul_hi_u32 v10, v4, v9
	v_mul_lo_u32 v11, v4, v9
	v_mul_lo_u32 v13, v3, v5
	v_mul_hi_u32 v9, v3, v9
	v_mul_hi_u32 v12, v3, v5
	v_add_co_u32_e32 v9, vcc, v9, v13
	v_addc_co_u32_e32 v12, vcc, 0, v12, vcc
	v_add_co_u32_e32 v9, vcc, v9, v11
	v_mul_hi_u32 v8, v4, v5
	v_addc_co_u32_e32 v9, vcc, v12, v10, vcc
	v_addc_co_u32_e32 v8, vcc, 0, v8, vcc
	v_mul_lo_u32 v5, v4, v5
	v_add_co_u32_e32 v5, vcc, v9, v5
	v_addc_co_u32_e32 v8, vcc, 0, v8, vcc
	v_add_co_u32_e32 v3, vcc, v3, v5
	v_addc_co_u32_e32 v8, vcc, v4, v8, vcc
	v_ashrrev_i32_e32 v10, 31, v7
	v_add_co_u32_e32 v4, vcc, v6, v10
	v_addc_co_u32_e32 v5, vcc, v7, v10, vcc
	v_xor_b32_e32 v12, v4, v10
	v_xor_b32_e32 v11, v5, v10
	v_mad_u64_u32 v[4:5], s[0:1], v12, v8, 0
	v_mul_hi_u32 v9, v12, v3
	v_add_co_u32_e32 v13, vcc, v9, v4
	v_addc_co_u32_e32 v15, vcc, 0, v5, vcc
	v_mad_u64_u32 v[4:5], s[0:1], v11, v8, 0
	v_mad_u64_u32 v[8:9], s[0:1], v11, v3, 0
	v_add_co_u32_e32 v3, vcc, v13, v8
	v_addc_co_u32_e32 v3, vcc, v15, v9, vcc
	v_addc_co_u32_e32 v5, vcc, 0, v5, vcc
	v_add_co_u32_e32 v3, vcc, v3, v4
	v_addc_co_u32_e32 v8, vcc, 0, v5, vcc
	v_mul_lo_u32 v9, s35, v3
	v_mul_lo_u32 v13, s34, v8
	v_mad_u64_u32 v[4:5], s[0:1], s34, v3, 0
	v_add3_u32 v5, v5, v13, v9
	v_sub_u32_e32 v9, v11, v5
	v_mov_b32_e32 v13, s35
	v_sub_co_u32_e32 v4, vcc, v12, v4
	v_subb_co_u32_e64 v9, s[0:1], v9, v13, vcc
	v_subrev_co_u32_e64 v12, s[0:1], s34, v4
	v_subbrev_co_u32_e64 v9, s[0:1], 0, v9, s[0:1]
	v_cmp_le_u32_e64 s[0:1], s35, v9
	v_cndmask_b32_e64 v13, 0, -1, s[0:1]
	v_cmp_le_u32_e64 s[0:1], s34, v12
	v_cndmask_b32_e64 v12, 0, -1, s[0:1]
	v_cmp_eq_u32_e64 s[0:1], s35, v9
	v_cndmask_b32_e64 v9, v13, v12, s[0:1]
	v_add_co_u32_e64 v12, s[0:1], 2, v3
	v_subb_co_u32_e32 v5, vcc, v11, v5, vcc
	v_addc_co_u32_e64 v13, s[0:1], 0, v8, s[0:1]
	v_cmp_le_u32_e32 vcc, s35, v5
	v_add_co_u32_e64 v15, s[0:1], 1, v3
	v_cndmask_b32_e64 v11, 0, -1, vcc
	v_cmp_le_u32_e32 vcc, s34, v4
	v_addc_co_u32_e64 v16, s[0:1], 0, v8, s[0:1]
	v_cndmask_b32_e64 v4, 0, -1, vcc
	v_cmp_eq_u32_e32 vcc, s35, v5
	v_cmp_ne_u32_e64 s[0:1], 0, v9
	v_cndmask_b32_e32 v4, v11, v4, vcc
	v_cmp_ne_u32_e32 vcc, 0, v4
	v_cndmask_b32_e64 v5, v15, v12, s[0:1]
	v_cndmask_b32_e64 v9, v16, v13, s[0:1]
	v_cndmask_b32_e32 v3, v3, v5, vcc
	v_xor_b32_e32 v5, s30, v10
	v_cndmask_b32_e32 v4, v8, v9, vcc
	v_xor_b32_e32 v3, v3, v5
	v_xor_b32_e32 v4, v4, v5
	v_sub_co_u32_e32 v8, vcc, v3, v5
	v_subb_co_u32_e32 v9, vcc, v4, v5, vcc
.LBB6_9:                                ;   in Loop: Header=BB6_3 Depth=1
	s_andn2_saveexec_b64 s[0:1], s[28:29]
	s_cbranch_execz .LBB6_11
; %bb.10:                               ;   in Loop: Header=BB6_3 Depth=1
	v_cvt_f32_u32_e32 v3, s14
	s_sub_i32 s28, 0, s14
	v_mov_b32_e32 v9, v2
	v_rcp_iflag_f32_e32 v3, v3
	v_mul_f32_e32 v3, 0x4f7ffffe, v3
	v_cvt_u32_f32_e32 v3, v3
	v_mul_lo_u32 v4, s28, v3
	v_mul_hi_u32 v4, v3, v4
	v_add_u32_e32 v3, v3, v4
	v_mul_hi_u32 v3, v6, v3
	v_mul_lo_u32 v4, v3, s14
	v_sub_u32_e32 v4, v6, v4
	v_add_u32_e32 v5, 1, v3
	v_subrev_u32_e32 v8, s14, v4
	v_cmp_le_u32_e32 vcc, s14, v4
	v_cndmask_b32_e32 v4, v4, v8, vcc
	v_cndmask_b32_e32 v3, v3, v5, vcc
	v_add_u32_e32 v5, 1, v3
	v_cmp_le_u32_e32 vcc, s14, v4
	v_cndmask_b32_e32 v8, v3, v5, vcc
.LBB6_11:                               ;   in Loop: Header=BB6_3 Depth=1
	s_or_b64 exec, exec, s[0:1]
	v_mul_lo_u32 v3, v7, s2
	v_mul_lo_u32 v10, v6, s3
	v_mad_u64_u32 v[4:5], s[0:1], v6, s2, 0
	v_add3_u32 v3, v5, v10, v3
	v_sub_co_u32_e32 v4, vcc, v0, v4
	v_subb_co_u32_e32 v5, vcc, v1, v3, vcc
	v_mul_lo_u32 v3, v9, s14
	v_mul_lo_u32 v12, v8, s15
	v_mad_u64_u32 v[10:11], s[0:1], v8, s14, 0
	v_add3_u32 v3, v11, v12, v3
	v_sub_co_u32_e32 v15, vcc, v6, v10
	v_subb_co_u32_e32 v16, vcc, v7, v3, vcc
	v_sub_co_u32_e32 v6, vcc, v4, v15
	v_subb_co_u32_e32 v7, vcc, v5, v16, vcc
	v_add_co_u32_e32 v10, vcc, 4, v6
	v_addc_co_u32_e32 v11, vcc, 0, v7, vcc
	v_cmp_lt_i64_e32 vcc, s[8:9], v[10:11]
	s_and_saveexec_b64 s[28:29], vcc
	s_cbranch_execz .LBB6_2
; %bb.12:                               ;   in Loop: Header=BB6_3 Depth=1
	s_load_dwordx2 s[30:31], s[4:5], 0x0
	s_load_dwordx2 s[0:1], s[16:17], 0x0
	s_and_b64 vcc, exec, s[12:13]
	s_mov_b64 s[36:37], s[22:23]
	s_mov_b64 s[38:39], s[20:21]
	s_waitcnt lgkmcnt(0)
	v_mul_lo_u32 v3, s31, v4
	v_mul_lo_u32 v12, s30, v5
	v_mad_u64_u32 v[10:11], s[34:35], s30, v4, 0
	v_add3_u32 v11, v11, v12, v3
	v_mad_u64_u32 v[10:11], s[34:35], s0, v15, v[10:11]
	v_mul_lo_u32 v3, s0, v16
	v_mul_lo_u32 v12, s1, v15
	v_add3_u32 v11, v12, v11, v3
	s_mov_b64 s[34:35], s[24:25]
	s_cbranch_vccnz .LBB6_25
.LBB6_13:                               ;   in Loop: Header=BB6_3 Depth=1
	s_load_dwordx2 s[0:1], s[18:19], 0x0
	s_waitcnt lgkmcnt(0)
	v_cmp_gt_i64_e32 vcc, s[0:1], v[4:5]
	s_and_b64 exec, exec, vcc
	s_cbranch_execz .LBB6_2
; %bb.14:                               ;   in Loop: Header=BB6_3 Depth=1
	v_mov_b32_e32 v3, s7
	v_add_co_u32_e32 v8, vcc, s6, v10
	v_addc_co_u32_e32 v9, vcc, v3, v11, vcc
	v_cmp_lt_i64_e32 vcc, s[8:9], v[6:7]
	s_and_saveexec_b64 s[34:35], vcc
	s_cbranch_execz .LBB6_16
; %bb.15:                               ;   in Loop: Header=BB6_3 Depth=1
	global_store_byte v[8:9], v2, off
.LBB6_16:                               ;   in Loop: Header=BB6_3 Depth=1
	s_or_b64 exec, exec, s[34:35]
	v_add_co_u32_e32 v6, vcc, 1, v4
	v_addc_co_u32_e32 v7, vcc, 0, v5, vcc
	v_cmp_gt_i64_e32 vcc, s[0:1], v[6:7]
	s_and_b64 exec, exec, vcc
	s_cbranch_execz .LBB6_2
; %bb.17:                               ;   in Loop: Header=BB6_3 Depth=1
	v_sub_co_u32_e32 v6, vcc, v6, v15
	v_subb_co_u32_e32 v7, vcc, v7, v16, vcc
	v_cmp_lt_i64_e32 vcc, s[8:9], v[6:7]
	s_and_saveexec_b64 s[34:35], vcc
	s_cbranch_execz .LBB6_19
; %bb.18:                               ;   in Loop: Header=BB6_3 Depth=1
	v_mov_b32_e32 v3, s31
	v_add_co_u32_e32 v6, vcc, s30, v8
	v_addc_co_u32_e32 v7, vcc, v9, v3, vcc
	global_store_byte v[6:7], v2, off
.LBB6_19:                               ;   in Loop: Header=BB6_3 Depth=1
	s_or_b64 exec, exec, s[34:35]
	v_add_co_u32_e32 v6, vcc, 2, v4
	v_addc_co_u32_e32 v7, vcc, 0, v5, vcc
	v_cmp_gt_i64_e32 vcc, s[0:1], v[6:7]
	s_and_b64 exec, exec, vcc
	s_cbranch_execz .LBB6_2
; %bb.20:                               ;   in Loop: Header=BB6_3 Depth=1
	v_sub_co_u32_e32 v6, vcc, v6, v15
	v_subb_co_u32_e32 v7, vcc, v7, v16, vcc
	v_cmp_lt_i64_e32 vcc, s[8:9], v[6:7]
	s_and_saveexec_b64 s[34:35], vcc
	s_cbranch_execz .LBB6_22
; %bb.21:                               ;   in Loop: Header=BB6_3 Depth=1
	s_lshl_b64 s[36:37], s[30:31], 1
	v_mov_b32_e32 v3, s37
	v_add_co_u32_e32 v6, vcc, s36, v8
	v_addc_co_u32_e32 v7, vcc, v9, v3, vcc
	global_store_byte v[6:7], v2, off
.LBB6_22:                               ;   in Loop: Header=BB6_3 Depth=1
	s_or_b64 exec, exec, s[34:35]
	v_add_co_u32_e32 v4, vcc, 3, v4
	v_addc_co_u32_e32 v5, vcc, 0, v5, vcc
	v_cmp_gt_i64_e32 vcc, s[0:1], v[4:5]
	v_sub_co_u32_e64 v4, s[0:1], v4, v15
	v_subb_co_u32_e64 v5, s[0:1], v5, v16, s[0:1]
	v_cmp_lt_i64_e64 s[0:1], s[8:9], v[4:5]
	s_and_b64 s[0:1], vcc, s[0:1]
	s_and_b64 exec, exec, s[0:1]
	s_cbranch_execz .LBB6_2
; %bb.23:                               ;   in Loop: Header=BB6_3 Depth=1
	v_mad_u64_u32 v[4:5], s[0:1], s30, 3, v[8:9]
	v_mov_b32_e32 v6, v5
	v_mad_u64_u32 v[6:7], s[0:1], s31, 3, v[6:7]
	v_mov_b32_e32 v5, v6
	global_store_byte v[4:5], v2, off
	s_branch .LBB6_2
.LBB6_24:                               ;   in Loop: Header=BB6_25 Depth=2
	s_or_b64 exec, exec, s[0:1]
	v_mad_u64_u32 v[18:19], s[0:1], v12, s40, 0
	s_load_dwordx2 s[0:1], s[38:39], 0x0
	s_add_u32 s38, s38, -8
	s_addc_u32 s39, s39, -1
	v_mul_lo_u32 v3, v13, s40
	v_mul_lo_u32 v17, v12, s41
	s_add_u32 s36, s36, -8
	v_add3_u32 v3, v19, v17, v3
	v_sub_co_u32_e32 v8, vcc, v8, v18
	s_addc_u32 s37, s37, -1
	v_subb_co_u32_e32 v3, vcc, v9, v3, vcc
	s_add_u32 s34, s34, -1
	s_waitcnt lgkmcnt(0)
	v_mul_lo_u32 v3, s0, v3
	v_mul_lo_u32 v9, s1, v8
	v_mad_u64_u32 v[10:11], s[0:1], s0, v8, v[10:11]
	s_addc_u32 s35, s35, -1
	v_cmp_lt_i64_e64 s[0:1], s[34:35], 1
	v_add3_u32 v11, v9, v11, v3
	s_and_b64 vcc, exec, s[0:1]
	v_pk_mov_b32 v[8:9], v[12:13], v[12:13] op_sel:[0,1]
	s_cbranch_vccnz .LBB6_13
.LBB6_25:                               ;   Parent Loop BB6_3 Depth=1
                                        ; =>  This Inner Loop Header: Depth=2
	s_load_dwordx2 s[40:41], s[36:37], 0x0
                                        ; implicit-def: $vgpr12_vgpr13
	s_waitcnt lgkmcnt(0)
	v_or_b32_e32 v3, s41, v9
	v_cmp_ne_u64_e32 vcc, 0, v[2:3]
	s_and_saveexec_b64 s[0:1], vcc
	s_xor_b64 s[42:43], exec, s[0:1]
	s_cbranch_execz .LBB6_27
; %bb.26:                               ;   in Loop: Header=BB6_25 Depth=2
	s_ashr_i32 s44, s41, 31
	s_add_u32 s0, s40, s44
	s_mov_b32 s45, s44
	s_addc_u32 s1, s41, s44
	s_xor_b64 s[46:47], s[0:1], s[44:45]
	v_cvt_f32_u32_e32 v3, s46
	v_cvt_f32_u32_e32 v12, s47
	s_sub_u32 s0, 0, s46
	s_subb_u32 s1, 0, s47
	v_mac_f32_e32 v3, 0x4f800000, v12
	v_rcp_f32_e32 v3, v3
	v_mul_f32_e32 v3, 0x5f7ffffc, v3
	v_mul_f32_e32 v12, 0x2f800000, v3
	v_trunc_f32_e32 v12, v12
	v_mac_f32_e32 v3, 0xcf800000, v12
	v_cvt_u32_f32_e32 v12, v12
	v_cvt_u32_f32_e32 v3, v3
	v_mul_lo_u32 v13, s0, v12
	v_mul_hi_u32 v18, s0, v3
	v_mul_lo_u32 v17, s1, v3
	v_add_u32_e32 v13, v18, v13
	v_mul_lo_u32 v19, s0, v3
	v_add_u32_e32 v13, v13, v17
	v_mul_lo_u32 v18, v3, v13
	v_mul_hi_u32 v20, v3, v19
	v_mul_hi_u32 v17, v3, v13
	v_add_co_u32_e32 v18, vcc, v20, v18
	v_addc_co_u32_e32 v17, vcc, 0, v17, vcc
	v_mul_hi_u32 v21, v12, v19
	v_mul_lo_u32 v19, v12, v19
	v_add_co_u32_e32 v18, vcc, v18, v19
	v_mul_hi_u32 v20, v12, v13
	v_addc_co_u32_e32 v17, vcc, v17, v21, vcc
	v_addc_co_u32_e32 v18, vcc, 0, v20, vcc
	v_mul_lo_u32 v13, v12, v13
	v_add_co_u32_e32 v13, vcc, v17, v13
	v_addc_co_u32_e32 v17, vcc, 0, v18, vcc
	v_add_co_u32_e32 v3, vcc, v3, v13
	v_addc_co_u32_e32 v12, vcc, v12, v17, vcc
	v_mul_lo_u32 v13, s0, v12
	v_mul_hi_u32 v17, s0, v3
	v_add_u32_e32 v13, v17, v13
	v_mul_lo_u32 v17, s1, v3
	v_add_u32_e32 v13, v13, v17
	v_mul_lo_u32 v18, s0, v3
	v_mul_hi_u32 v19, v12, v18
	v_mul_lo_u32 v20, v12, v18
	v_mul_lo_u32 v22, v3, v13
	v_mul_hi_u32 v18, v3, v18
	v_mul_hi_u32 v21, v3, v13
	v_add_co_u32_e32 v18, vcc, v18, v22
	v_addc_co_u32_e32 v21, vcc, 0, v21, vcc
	v_add_co_u32_e32 v18, vcc, v18, v20
	v_mul_hi_u32 v17, v12, v13
	v_addc_co_u32_e32 v18, vcc, v21, v19, vcc
	v_addc_co_u32_e32 v17, vcc, 0, v17, vcc
	v_mul_lo_u32 v13, v12, v13
	v_add_co_u32_e32 v13, vcc, v18, v13
	v_addc_co_u32_e32 v17, vcc, 0, v17, vcc
	v_add_co_u32_e32 v3, vcc, v3, v13
	v_addc_co_u32_e32 v17, vcc, v12, v17, vcc
	v_ashrrev_i32_e32 v20, 31, v9
	v_add_co_u32_e32 v12, vcc, v8, v20
	v_addc_co_u32_e32 v13, vcc, v9, v20, vcc
	v_xor_b32_e32 v22, v12, v20
	v_xor_b32_e32 v21, v13, v20
	v_mad_u64_u32 v[12:13], s[0:1], v22, v17, 0
	v_mul_hi_u32 v18, v22, v3
	v_add_co_u32_e32 v23, vcc, v18, v12
	v_addc_co_u32_e32 v24, vcc, 0, v13, vcc
	v_mad_u64_u32 v[18:19], s[0:1], v21, v3, 0
	v_add_co_u32_e32 v3, vcc, v23, v18
	v_mad_u64_u32 v[12:13], s[0:1], v21, v17, 0
	v_addc_co_u32_e32 v3, vcc, v24, v19, vcc
	v_addc_co_u32_e32 v13, vcc, 0, v13, vcc
	v_add_co_u32_e32 v3, vcc, v3, v12
	v_addc_co_u32_e32 v17, vcc, 0, v13, vcc
	v_mul_lo_u32 v18, s47, v3
	v_mul_lo_u32 v19, s46, v17
	v_mad_u64_u32 v[12:13], s[0:1], s46, v3, 0
	v_add3_u32 v13, v13, v19, v18
	v_sub_u32_e32 v18, v21, v13
	v_mov_b32_e32 v19, s47
	v_sub_co_u32_e32 v12, vcc, v22, v12
	v_subb_co_u32_e64 v18, s[0:1], v18, v19, vcc
	v_subrev_co_u32_e64 v19, s[0:1], s46, v12
	v_subbrev_co_u32_e64 v18, s[0:1], 0, v18, s[0:1]
	v_cmp_le_u32_e64 s[0:1], s47, v18
	v_cndmask_b32_e64 v22, 0, -1, s[0:1]
	v_cmp_le_u32_e64 s[0:1], s46, v19
	v_cndmask_b32_e64 v19, 0, -1, s[0:1]
	v_cmp_eq_u32_e64 s[0:1], s47, v18
	v_cndmask_b32_e64 v18, v22, v19, s[0:1]
	v_add_co_u32_e64 v19, s[0:1], 2, v3
	v_subb_co_u32_e32 v13, vcc, v21, v13, vcc
	v_addc_co_u32_e64 v22, s[0:1], 0, v17, s[0:1]
	v_cmp_le_u32_e32 vcc, s47, v13
	v_add_co_u32_e64 v23, s[0:1], 1, v3
	v_cndmask_b32_e64 v21, 0, -1, vcc
	v_cmp_le_u32_e32 vcc, s46, v12
	v_addc_co_u32_e64 v24, s[0:1], 0, v17, s[0:1]
	v_cndmask_b32_e64 v12, 0, -1, vcc
	v_cmp_eq_u32_e32 vcc, s47, v13
	v_cmp_ne_u32_e64 s[0:1], 0, v18
	v_cndmask_b32_e32 v12, v21, v12, vcc
	v_cmp_ne_u32_e32 vcc, 0, v12
	v_cndmask_b32_e64 v13, v23, v19, s[0:1]
	v_cndmask_b32_e64 v18, v24, v22, s[0:1]
	v_cndmask_b32_e32 v3, v3, v13, vcc
	v_xor_b32_e32 v13, s44, v20
	v_cndmask_b32_e32 v12, v17, v18, vcc
	v_xor_b32_e32 v3, v3, v13
	v_xor_b32_e32 v17, v12, v13
	v_sub_co_u32_e32 v12, vcc, v3, v13
	v_subb_co_u32_e32 v13, vcc, v17, v13, vcc
.LBB6_27:                               ;   in Loop: Header=BB6_25 Depth=2
	s_andn2_saveexec_b64 s[0:1], s[42:43]
	s_cbranch_execz .LBB6_24
; %bb.28:                               ;   in Loop: Header=BB6_25 Depth=2
	v_cvt_f32_u32_e32 v3, s40
	s_sub_i32 s42, 0, s40
	v_rcp_iflag_f32_e32 v3, v3
	v_mul_f32_e32 v3, 0x4f7ffffe, v3
	v_cvt_u32_f32_e32 v3, v3
	v_mul_lo_u32 v12, s42, v3
	v_mul_hi_u32 v12, v3, v12
	v_add_u32_e32 v3, v3, v12
	v_mul_hi_u32 v3, v8, v3
	v_mul_lo_u32 v12, v3, s40
	v_sub_u32_e32 v12, v8, v12
	v_add_u32_e32 v13, 1, v3
	v_subrev_u32_e32 v17, s40, v12
	v_cmp_le_u32_e32 vcc, s40, v12
	v_cndmask_b32_e32 v12, v12, v17, vcc
	v_cndmask_b32_e32 v3, v3, v13, vcc
	v_add_u32_e32 v13, 1, v3
	v_cmp_le_u32_e32 vcc, s40, v12
	v_cndmask_b32_e32 v12, v3, v13, vcc
	v_mov_b32_e32 v13, v2
	s_branch .LBB6_24
.LBB6_29:
	s_endpgm
	.section	.rodata,"a",@progbits
	.p2align	6, 0x0
	.amdhsa_kernel _ZN2at6native16triu_tril_kernelIalLb0ELi4ELb1EEEvNS_4cuda6detail10TensorInfoIT_T0_EENS4_IKS5_S6_EEllS6_
		.amdhsa_group_segment_fixed_size 0
		.amdhsa_private_segment_fixed_size 0
		.amdhsa_kernarg_size 1112
		.amdhsa_user_sgpr_count 6
		.amdhsa_user_sgpr_private_segment_buffer 1
		.amdhsa_user_sgpr_dispatch_ptr 0
		.amdhsa_user_sgpr_queue_ptr 0
		.amdhsa_user_sgpr_kernarg_segment_ptr 1
		.amdhsa_user_sgpr_dispatch_id 0
		.amdhsa_user_sgpr_flat_scratch_init 0
		.amdhsa_user_sgpr_kernarg_preload_length 0
		.amdhsa_user_sgpr_kernarg_preload_offset 0
		.amdhsa_user_sgpr_private_segment_size 0
		.amdhsa_uses_dynamic_stack 0
		.amdhsa_system_sgpr_private_segment_wavefront_offset 0
		.amdhsa_system_sgpr_workgroup_id_x 1
		.amdhsa_system_sgpr_workgroup_id_y 0
		.amdhsa_system_sgpr_workgroup_id_z 0
		.amdhsa_system_sgpr_workgroup_info 0
		.amdhsa_system_vgpr_workitem_id 0
		.amdhsa_next_free_vgpr 25
		.amdhsa_next_free_sgpr 49
		.amdhsa_accum_offset 28
		.amdhsa_reserve_vcc 1
		.amdhsa_reserve_flat_scratch 0
		.amdhsa_float_round_mode_32 0
		.amdhsa_float_round_mode_16_64 0
		.amdhsa_float_denorm_mode_32 3
		.amdhsa_float_denorm_mode_16_64 3
		.amdhsa_dx10_clamp 1
		.amdhsa_ieee_mode 1
		.amdhsa_fp16_overflow 0
		.amdhsa_tg_split 0
		.amdhsa_exception_fp_ieee_invalid_op 0
		.amdhsa_exception_fp_denorm_src 0
		.amdhsa_exception_fp_ieee_div_zero 0
		.amdhsa_exception_fp_ieee_overflow 0
		.amdhsa_exception_fp_ieee_underflow 0
		.amdhsa_exception_fp_ieee_inexact 0
		.amdhsa_exception_int_div_zero 0
	.end_amdhsa_kernel
	.section	.text._ZN2at6native16triu_tril_kernelIalLb0ELi4ELb1EEEvNS_4cuda6detail10TensorInfoIT_T0_EENS4_IKS5_S6_EEllS6_,"axG",@progbits,_ZN2at6native16triu_tril_kernelIalLb0ELi4ELb1EEEvNS_4cuda6detail10TensorInfoIT_T0_EENS4_IKS5_S6_EEllS6_,comdat
.Lfunc_end6:
	.size	_ZN2at6native16triu_tril_kernelIalLb0ELi4ELb1EEEvNS_4cuda6detail10TensorInfoIT_T0_EENS4_IKS5_S6_EEllS6_, .Lfunc_end6-_ZN2at6native16triu_tril_kernelIalLb0ELi4ELb1EEEvNS_4cuda6detail10TensorInfoIT_T0_EENS4_IKS5_S6_EEllS6_
                                        ; -- End function
	.section	.AMDGPU.csdata,"",@progbits
; Kernel info:
; codeLenInByte = 3344
; NumSgprs: 53
; NumVgprs: 25
; NumAgprs: 0
; TotalNumVgprs: 25
; ScratchSize: 0
; MemoryBound: 0
; FloatMode: 240
; IeeeMode: 1
; LDSByteSize: 0 bytes/workgroup (compile time only)
; SGPRBlocks: 6
; VGPRBlocks: 3
; NumSGPRsForWavesPerEU: 53
; NumVGPRsForWavesPerEU: 25
; AccumOffset: 28
; Occupancy: 8
; WaveLimiterHint : 0
; COMPUTE_PGM_RSRC2:SCRATCH_EN: 0
; COMPUTE_PGM_RSRC2:USER_SGPR: 6
; COMPUTE_PGM_RSRC2:TRAP_HANDLER: 0
; COMPUTE_PGM_RSRC2:TGID_X_EN: 1
; COMPUTE_PGM_RSRC2:TGID_Y_EN: 0
; COMPUTE_PGM_RSRC2:TGID_Z_EN: 0
; COMPUTE_PGM_RSRC2:TIDIG_COMP_CNT: 0
; COMPUTE_PGM_RSRC3_GFX90A:ACCUM_OFFSET: 6
; COMPUTE_PGM_RSRC3_GFX90A:TG_SPLIT: 0
	.section	.text._ZN2at6native16triu_tril_kernelIalLb0ELi4ELb0EEEvNS_4cuda6detail10TensorInfoIT_T0_EENS4_IKS5_S6_EEllS6_,"axG",@progbits,_ZN2at6native16triu_tril_kernelIalLb0ELi4ELb0EEEvNS_4cuda6detail10TensorInfoIT_T0_EENS4_IKS5_S6_EEllS6_,comdat
	.protected	_ZN2at6native16triu_tril_kernelIalLb0ELi4ELb0EEEvNS_4cuda6detail10TensorInfoIT_T0_EENS4_IKS5_S6_EEllS6_ ; -- Begin function _ZN2at6native16triu_tril_kernelIalLb0ELi4ELb0EEEvNS_4cuda6detail10TensorInfoIT_T0_EENS4_IKS5_S6_EEllS6_
	.globl	_ZN2at6native16triu_tril_kernelIalLb0ELi4ELb0EEEvNS_4cuda6detail10TensorInfoIT_T0_EENS4_IKS5_S6_EEllS6_
	.p2align	8
	.type	_ZN2at6native16triu_tril_kernelIalLb0ELi4ELb0EEEvNS_4cuda6detail10TensorInfoIT_T0_EENS4_IKS5_S6_EEllS6_,@function
_ZN2at6native16triu_tril_kernelIalLb0ELi4ELb0EEEvNS_4cuda6detail10TensorInfoIT_T0_EENS4_IKS5_S6_EEllS6_: ; @_ZN2at6native16triu_tril_kernelIalLb0ELi4ELb0EEEvNS_4cuda6detail10TensorInfoIT_T0_EENS4_IKS5_S6_EEllS6_
; %bb.0:
	s_load_dword s2, s[4:5], 0x364
	s_load_dwordx4 s[8:11], s[4:5], 0x340
	s_add_u32 s0, s4, 0x358
	v_mov_b32_e32 v2, 0
	s_addc_u32 s1, s5, 0
	s_waitcnt lgkmcnt(0)
	s_and_b32 s7, s2, 0xffff
	v_mov_b32_e32 v1, v2
	v_mov_b32_e32 v3, s6
	v_mad_u64_u32 v[0:1], s[2:3], s7, v3, v[0:1]
	v_lshlrev_b64 v[0:1], 2, v[0:1]
	s_mov_b32 s33, 0xffff
	v_cmp_gt_i64_e32 vcc, s[10:11], v[0:1]
	s_and_saveexec_b64 s[2:3], vcc
	s_cbranch_execz .LBB7_32
; %bb.1:
	s_load_dword s6, s[0:1], 0x0
	s_load_dwordx2 s[2:3], s[4:5], 0x350
	s_load_dword s26, s[4:5], 0x338
	s_add_u32 s12, s4, 0x1a0
	s_addc_u32 s13, s5, 0
	s_waitcnt lgkmcnt(0)
	s_mul_i32 s28, s6, s7
	v_cvt_f32_u32_e32 v3, s2
	s_ashr_i32 s27, s26, 31
	s_add_u32 s30, s4, 0x1a8
	s_addc_u32 s31, s5, 0
	s_lshl_b64 s[0:1], s[26:27], 3
	s_add_u32 s22, s0, -16
	s_addc_u32 s23, s1, -1
	s_add_u32 s0, s30, s22
	s_addc_u32 s1, s31, s23
	s_add_u32 s20, s12, s22
	s_addc_u32 s21, s13, s23
	v_cmp_gt_i64_e64 s[24:25], s[26:27], 2
	s_add_u32 s27, s4, 0xd0
	s_addc_u32 s34, s5, 0
	s_load_dwordx4 s[12:15], s[0:1], 0x0
	s_load_dwordx4 s[16:19], s[20:21], 0xd0
	s_add_u32 s0, s27, s22
	s_addc_u32 s1, s34, s23
	s_load_dwordx2 s[6:7], s[4:5], 0x1a0
	s_load_dwordx4 s[20:23], s[0:1], 0x0
	v_rcp_iflag_f32_e32 v3, v3
	s_load_dwordx2 s[4:5], s[4:5], 0x0
	s_add_i32 s0, s26, -3
	s_ashr_i32 s1, s0, 31
	s_lshl_b32 s50, s28, 2
	s_lshl_b64 s[28:29], s[0:1], 3
	s_add_u32 s26, s27, s28
	s_addc_u32 s27, s34, s29
	v_mul_f32_e32 v3, 0x4f7ffffe, v3
	s_add_u32 s28, s30, s28
	v_cvt_u32_f32_e32 v14, v3
	s_addc_u32 s29, s31, s29
	s_add_u32 s30, s0, 1
	s_mov_b32 s51, 0
	s_addc_u32 s31, s1, 0
	s_mov_b64 s[34:35], 0
	s_branch .LBB7_3
.LBB7_2:                                ;   in Loop: Header=BB7_3 Depth=1
	s_or_b64 exec, exec, s[0:1]
	v_mov_b32_e32 v3, s51
	v_add_co_u32_e32 v0, vcc, s50, v0
	v_addc_co_u32_e32 v1, vcc, v1, v3, vcc
	v_cmp_le_i64_e32 vcc, s[10:11], v[0:1]
	s_or_b64 s[34:35], vcc, s[34:35]
	s_andn2_b64 exec, exec, s[34:35]
	s_cbranch_execz .LBB7_32
.LBB7_3:                                ; =>This Loop Header: Depth=1
                                        ;     Child Loop BB7_28 Depth 2
	v_or_b32_e32 v3, s3, v1
	v_cmp_ne_u64_e32 vcc, 0, v[2:3]
                                        ; implicit-def: $vgpr6_vgpr7
	s_and_saveexec_b64 s[0:1], vcc
	s_xor_b64 s[36:37], exec, s[0:1]
	s_cbranch_execz .LBB7_5
; %bb.4:                                ;   in Loop: Header=BB7_3 Depth=1
	s_ashr_i32 s38, s3, 31
	s_add_u32 s0, s2, s38
	s_mov_b32 s39, s38
	s_addc_u32 s1, s3, s38
	s_xor_b64 s[40:41], s[0:1], s[38:39]
	v_cvt_f32_u32_e32 v3, s40
	v_cvt_f32_u32_e32 v4, s41
	s_sub_u32 s0, 0, s40
	s_subb_u32 s1, 0, s41
	v_mac_f32_e32 v3, 0x4f800000, v4
	v_rcp_f32_e32 v3, v3
	v_mul_f32_e32 v3, 0x5f7ffffc, v3
	v_mul_f32_e32 v4, 0x2f800000, v3
	v_trunc_f32_e32 v4, v4
	v_mac_f32_e32 v3, 0xcf800000, v4
	v_cvt_u32_f32_e32 v4, v4
	v_cvt_u32_f32_e32 v3, v3
	v_mul_lo_u32 v5, s0, v4
	v_mul_hi_u32 v7, s0, v3
	v_mul_lo_u32 v6, s1, v3
	v_add_u32_e32 v5, v7, v5
	v_mul_lo_u32 v8, s0, v3
	v_add_u32_e32 v5, v5, v6
	v_mul_lo_u32 v7, v3, v5
	v_mul_hi_u32 v9, v3, v8
	v_mul_hi_u32 v6, v3, v5
	v_add_co_u32_e32 v7, vcc, v9, v7
	v_addc_co_u32_e32 v6, vcc, 0, v6, vcc
	v_mul_hi_u32 v10, v4, v8
	v_mul_lo_u32 v8, v4, v8
	v_add_co_u32_e32 v7, vcc, v7, v8
	v_mul_hi_u32 v9, v4, v5
	v_addc_co_u32_e32 v6, vcc, v6, v10, vcc
	v_addc_co_u32_e32 v7, vcc, 0, v9, vcc
	v_mul_lo_u32 v5, v4, v5
	v_add_co_u32_e32 v5, vcc, v6, v5
	v_addc_co_u32_e32 v6, vcc, 0, v7, vcc
	v_add_co_u32_e32 v3, vcc, v3, v5
	v_addc_co_u32_e32 v4, vcc, v4, v6, vcc
	v_mul_lo_u32 v5, s0, v4
	v_mul_hi_u32 v6, s0, v3
	v_add_u32_e32 v5, v6, v5
	v_mul_lo_u32 v6, s1, v3
	v_add_u32_e32 v5, v5, v6
	v_mul_lo_u32 v7, s0, v3
	v_mul_hi_u32 v8, v4, v7
	v_mul_lo_u32 v9, v4, v7
	v_mul_lo_u32 v11, v3, v5
	v_mul_hi_u32 v7, v3, v7
	v_mul_hi_u32 v10, v3, v5
	v_add_co_u32_e32 v7, vcc, v7, v11
	v_addc_co_u32_e32 v10, vcc, 0, v10, vcc
	v_add_co_u32_e32 v7, vcc, v7, v9
	v_mul_hi_u32 v6, v4, v5
	v_addc_co_u32_e32 v7, vcc, v10, v8, vcc
	v_addc_co_u32_e32 v6, vcc, 0, v6, vcc
	v_mul_lo_u32 v5, v4, v5
	v_add_co_u32_e32 v5, vcc, v7, v5
	v_addc_co_u32_e32 v6, vcc, 0, v6, vcc
	v_add_co_u32_e32 v3, vcc, v3, v5
	v_addc_co_u32_e32 v6, vcc, v4, v6, vcc
	v_ashrrev_i32_e32 v8, 31, v1
	v_add_co_u32_e32 v4, vcc, v0, v8
	v_addc_co_u32_e32 v5, vcc, v1, v8, vcc
	v_xor_b32_e32 v10, v4, v8
	v_xor_b32_e32 v9, v5, v8
	v_mad_u64_u32 v[4:5], s[0:1], v10, v6, 0
	v_mul_hi_u32 v7, v10, v3
	v_add_co_u32_e32 v11, vcc, v7, v4
	v_addc_co_u32_e32 v12, vcc, 0, v5, vcc
	v_mad_u64_u32 v[4:5], s[0:1], v9, v6, 0
	v_mad_u64_u32 v[6:7], s[0:1], v9, v3, 0
	v_add_co_u32_e32 v3, vcc, v11, v6
	v_addc_co_u32_e32 v3, vcc, v12, v7, vcc
	v_addc_co_u32_e32 v5, vcc, 0, v5, vcc
	v_add_co_u32_e32 v3, vcc, v3, v4
	v_addc_co_u32_e32 v6, vcc, 0, v5, vcc
	v_mul_lo_u32 v7, s41, v3
	v_mul_lo_u32 v11, s40, v6
	v_mad_u64_u32 v[4:5], s[0:1], s40, v3, 0
	v_add3_u32 v5, v5, v11, v7
	v_sub_u32_e32 v7, v9, v5
	v_mov_b32_e32 v11, s41
	v_sub_co_u32_e32 v4, vcc, v10, v4
	v_subb_co_u32_e64 v7, s[0:1], v7, v11, vcc
	v_subrev_co_u32_e64 v10, s[0:1], s40, v4
	v_subbrev_co_u32_e64 v7, s[0:1], 0, v7, s[0:1]
	v_cmp_le_u32_e64 s[0:1], s41, v7
	v_cndmask_b32_e64 v11, 0, -1, s[0:1]
	v_cmp_le_u32_e64 s[0:1], s40, v10
	v_cndmask_b32_e64 v10, 0, -1, s[0:1]
	v_cmp_eq_u32_e64 s[0:1], s41, v7
	v_cndmask_b32_e64 v7, v11, v10, s[0:1]
	v_add_co_u32_e64 v10, s[0:1], 2, v3
	v_subb_co_u32_e32 v5, vcc, v9, v5, vcc
	v_addc_co_u32_e64 v11, s[0:1], 0, v6, s[0:1]
	v_cmp_le_u32_e32 vcc, s41, v5
	v_add_co_u32_e64 v12, s[0:1], 1, v3
	v_cndmask_b32_e64 v9, 0, -1, vcc
	v_cmp_le_u32_e32 vcc, s40, v4
	v_addc_co_u32_e64 v13, s[0:1], 0, v6, s[0:1]
	v_cndmask_b32_e64 v4, 0, -1, vcc
	v_cmp_eq_u32_e32 vcc, s41, v5
	v_cmp_ne_u32_e64 s[0:1], 0, v7
	v_cndmask_b32_e32 v4, v9, v4, vcc
	v_cmp_ne_u32_e32 vcc, 0, v4
	v_cndmask_b32_e64 v5, v12, v10, s[0:1]
	v_cndmask_b32_e64 v7, v13, v11, s[0:1]
	v_cndmask_b32_e32 v3, v3, v5, vcc
	v_xor_b32_e32 v5, s38, v8
	v_cndmask_b32_e32 v4, v6, v7, vcc
	v_xor_b32_e32 v3, v3, v5
	v_xor_b32_e32 v4, v4, v5
	v_sub_co_u32_e32 v6, vcc, v3, v5
	v_subb_co_u32_e32 v7, vcc, v4, v5, vcc
.LBB7_5:                                ;   in Loop: Header=BB7_3 Depth=1
	s_andn2_saveexec_b64 s[0:1], s[36:37]
	s_cbranch_execz .LBB7_7
; %bb.6:                                ;   in Loop: Header=BB7_3 Depth=1
	s_sub_i32 s36, 0, s2
	v_mul_lo_u32 v3, s36, v14
	v_mul_hi_u32 v3, v14, v3
	v_add_u32_e32 v3, v14, v3
	v_mul_hi_u32 v3, v0, v3
	v_mul_lo_u32 v4, v3, s2
	v_sub_u32_e32 v4, v0, v4
	v_subrev_u32_e32 v5, s2, v4
	v_cmp_le_u32_e32 vcc, s2, v4
	v_cndmask_b32_e32 v4, v4, v5, vcc
	v_add_u32_e32 v5, 1, v3
	v_cndmask_b32_e32 v3, v3, v5, vcc
	v_add_u32_e32 v5, 1, v3
	v_cmp_le_u32_e32 vcc, s2, v4
	v_cndmask_b32_e32 v6, v3, v5, vcc
	v_mov_b32_e32 v7, v2
.LBB7_7:                                ;   in Loop: Header=BB7_3 Depth=1
	s_or_b64 exec, exec, s[0:1]
	s_waitcnt lgkmcnt(0)
	v_or_b32_e32 v3, s13, v7
	v_cmp_ne_u64_e32 vcc, 0, v[2:3]
                                        ; implicit-def: $vgpr10_vgpr11
	s_and_saveexec_b64 s[0:1], vcc
	s_xor_b64 s[36:37], exec, s[0:1]
	s_cbranch_execz .LBB7_9
; %bb.8:                                ;   in Loop: Header=BB7_3 Depth=1
	s_ashr_i32 s38, s13, 31
	s_add_u32 s0, s12, s38
	s_mov_b32 s39, s38
	s_addc_u32 s1, s13, s38
	s_xor_b64 s[40:41], s[0:1], s[38:39]
	v_cvt_f32_u32_e32 v3, s40
	v_cvt_f32_u32_e32 v4, s41
	s_sub_u32 s0, 0, s40
	s_subb_u32 s1, 0, s41
	v_mac_f32_e32 v3, 0x4f800000, v4
	v_rcp_f32_e32 v3, v3
	v_mul_f32_e32 v3, 0x5f7ffffc, v3
	v_mul_f32_e32 v4, 0x2f800000, v3
	v_trunc_f32_e32 v4, v4
	v_mac_f32_e32 v3, 0xcf800000, v4
	v_cvt_u32_f32_e32 v4, v4
	v_cvt_u32_f32_e32 v3, v3
	v_mul_lo_u32 v5, s0, v4
	v_mul_hi_u32 v9, s0, v3
	v_mul_lo_u32 v8, s1, v3
	v_add_u32_e32 v5, v9, v5
	v_mul_lo_u32 v10, s0, v3
	v_add_u32_e32 v5, v5, v8
	v_mul_lo_u32 v9, v3, v5
	v_mul_hi_u32 v11, v3, v10
	v_mul_hi_u32 v8, v3, v5
	v_add_co_u32_e32 v9, vcc, v11, v9
	v_addc_co_u32_e32 v8, vcc, 0, v8, vcc
	v_mul_hi_u32 v12, v4, v10
	v_mul_lo_u32 v10, v4, v10
	v_add_co_u32_e32 v9, vcc, v9, v10
	v_mul_hi_u32 v11, v4, v5
	v_addc_co_u32_e32 v8, vcc, v8, v12, vcc
	v_addc_co_u32_e32 v9, vcc, 0, v11, vcc
	v_mul_lo_u32 v5, v4, v5
	v_add_co_u32_e32 v5, vcc, v8, v5
	v_addc_co_u32_e32 v8, vcc, 0, v9, vcc
	v_add_co_u32_e32 v3, vcc, v3, v5
	v_addc_co_u32_e32 v4, vcc, v4, v8, vcc
	v_mul_lo_u32 v5, s0, v4
	v_mul_hi_u32 v8, s0, v3
	v_add_u32_e32 v5, v8, v5
	v_mul_lo_u32 v8, s1, v3
	v_add_u32_e32 v5, v5, v8
	v_mul_lo_u32 v9, s0, v3
	v_mul_hi_u32 v10, v4, v9
	v_mul_lo_u32 v11, v4, v9
	v_mul_lo_u32 v13, v3, v5
	v_mul_hi_u32 v9, v3, v9
	v_mul_hi_u32 v12, v3, v5
	v_add_co_u32_e32 v9, vcc, v9, v13
	v_addc_co_u32_e32 v12, vcc, 0, v12, vcc
	v_add_co_u32_e32 v9, vcc, v9, v11
	v_mul_hi_u32 v8, v4, v5
	v_addc_co_u32_e32 v9, vcc, v12, v10, vcc
	v_addc_co_u32_e32 v8, vcc, 0, v8, vcc
	v_mul_lo_u32 v5, v4, v5
	v_add_co_u32_e32 v5, vcc, v9, v5
	v_addc_co_u32_e32 v8, vcc, 0, v8, vcc
	v_add_co_u32_e32 v3, vcc, v3, v5
	v_addc_co_u32_e32 v8, vcc, v4, v8, vcc
	v_ashrrev_i32_e32 v10, 31, v7
	v_add_co_u32_e32 v4, vcc, v6, v10
	v_addc_co_u32_e32 v5, vcc, v7, v10, vcc
	v_xor_b32_e32 v12, v4, v10
	v_xor_b32_e32 v11, v5, v10
	v_mad_u64_u32 v[4:5], s[0:1], v12, v8, 0
	v_mul_hi_u32 v9, v12, v3
	v_add_co_u32_e32 v13, vcc, v9, v4
	v_addc_co_u32_e32 v15, vcc, 0, v5, vcc
	v_mad_u64_u32 v[4:5], s[0:1], v11, v8, 0
	v_mad_u64_u32 v[8:9], s[0:1], v11, v3, 0
	v_add_co_u32_e32 v3, vcc, v13, v8
	v_addc_co_u32_e32 v3, vcc, v15, v9, vcc
	v_addc_co_u32_e32 v5, vcc, 0, v5, vcc
	v_add_co_u32_e32 v3, vcc, v3, v4
	v_addc_co_u32_e32 v8, vcc, 0, v5, vcc
	v_mul_lo_u32 v9, s41, v3
	v_mul_lo_u32 v13, s40, v8
	v_mad_u64_u32 v[4:5], s[0:1], s40, v3, 0
	v_add3_u32 v5, v5, v13, v9
	v_sub_u32_e32 v9, v11, v5
	v_mov_b32_e32 v13, s41
	v_sub_co_u32_e32 v4, vcc, v12, v4
	v_subb_co_u32_e64 v9, s[0:1], v9, v13, vcc
	v_subrev_co_u32_e64 v12, s[0:1], s40, v4
	v_subbrev_co_u32_e64 v9, s[0:1], 0, v9, s[0:1]
	v_cmp_le_u32_e64 s[0:1], s41, v9
	v_cndmask_b32_e64 v13, 0, -1, s[0:1]
	v_cmp_le_u32_e64 s[0:1], s40, v12
	v_cndmask_b32_e64 v12, 0, -1, s[0:1]
	v_cmp_eq_u32_e64 s[0:1], s41, v9
	v_cndmask_b32_e64 v9, v13, v12, s[0:1]
	v_add_co_u32_e64 v12, s[0:1], 2, v3
	v_subb_co_u32_e32 v5, vcc, v11, v5, vcc
	v_addc_co_u32_e64 v13, s[0:1], 0, v8, s[0:1]
	v_cmp_le_u32_e32 vcc, s41, v5
	v_add_co_u32_e64 v15, s[0:1], 1, v3
	v_cndmask_b32_e64 v11, 0, -1, vcc
	v_cmp_le_u32_e32 vcc, s40, v4
	v_addc_co_u32_e64 v16, s[0:1], 0, v8, s[0:1]
	v_cndmask_b32_e64 v4, 0, -1, vcc
	v_cmp_eq_u32_e32 vcc, s41, v5
	v_cmp_ne_u32_e64 s[0:1], 0, v9
	v_cndmask_b32_e32 v4, v11, v4, vcc
	v_cmp_ne_u32_e32 vcc, 0, v4
	v_cndmask_b32_e64 v5, v15, v12, s[0:1]
	v_cndmask_b32_e64 v9, v16, v13, s[0:1]
	v_cndmask_b32_e32 v3, v3, v5, vcc
	v_xor_b32_e32 v5, s38, v10
	v_cndmask_b32_e32 v4, v8, v9, vcc
	v_xor_b32_e32 v3, v3, v5
	v_xor_b32_e32 v4, v4, v5
	v_sub_co_u32_e32 v10, vcc, v3, v5
	v_subb_co_u32_e32 v11, vcc, v4, v5, vcc
.LBB7_9:                                ;   in Loop: Header=BB7_3 Depth=1
	s_andn2_saveexec_b64 s[0:1], s[36:37]
	s_cbranch_execz .LBB7_11
; %bb.10:                               ;   in Loop: Header=BB7_3 Depth=1
	v_cvt_f32_u32_e32 v3, s12
	s_sub_i32 s36, 0, s12
	v_mov_b32_e32 v11, v2
	v_rcp_iflag_f32_e32 v3, v3
	v_mul_f32_e32 v3, 0x4f7ffffe, v3
	v_cvt_u32_f32_e32 v3, v3
	v_mul_lo_u32 v4, s36, v3
	v_mul_hi_u32 v4, v3, v4
	v_add_u32_e32 v3, v3, v4
	v_mul_hi_u32 v3, v6, v3
	v_mul_lo_u32 v4, v3, s12
	v_sub_u32_e32 v4, v6, v4
	v_add_u32_e32 v5, 1, v3
	v_subrev_u32_e32 v8, s12, v4
	v_cmp_le_u32_e32 vcc, s12, v4
	v_cndmask_b32_e32 v4, v4, v8, vcc
	v_cndmask_b32_e32 v3, v3, v5, vcc
	v_add_u32_e32 v5, 1, v3
	v_cmp_le_u32_e32 vcc, s12, v4
	v_cndmask_b32_e32 v10, v3, v5, vcc
.LBB7_11:                               ;   in Loop: Header=BB7_3 Depth=1
	s_or_b64 exec, exec, s[0:1]
	v_mul_lo_u32 v3, v7, s2
	v_mul_lo_u32 v8, v6, s3
	v_mad_u64_u32 v[4:5], s[0:1], v6, s2, 0
	v_add3_u32 v3, v5, v8, v3
	v_sub_co_u32_e32 v4, vcc, v0, v4
	v_subb_co_u32_e32 v5, vcc, v1, v3, vcc
	v_mul_lo_u32 v3, v11, s12
	v_mul_lo_u32 v12, v10, s13
	v_mad_u64_u32 v[8:9], s[0:1], v10, s12, 0
	v_add3_u32 v3, v9, v12, v3
	v_sub_co_u32_e32 v15, vcc, v6, v8
	v_subb_co_u32_e32 v16, vcc, v7, v3, vcc
	v_mul_lo_u32 v3, s19, v4
	v_mul_lo_u32 v8, s18, v5
	v_mad_u64_u32 v[6:7], s[0:1], s18, v4, 0
	v_add3_u32 v7, v7, v8, v3
	v_mul_lo_u32 v3, s23, v4
	v_mul_lo_u32 v8, s22, v5
	v_mad_u64_u32 v[12:13], s[0:1], s22, v4, 0
	v_add3_u32 v13, v13, v8, v3
	v_mad_u64_u32 v[8:9], s[0:1], s16, v15, v[6:7]
	v_mul_lo_u32 v3, s16, v16
	v_mul_lo_u32 v6, s17, v15
	v_add3_u32 v9, v6, v9, v3
	v_mad_u64_u32 v[6:7], s[0:1], s20, v15, v[12:13]
	v_mul_lo_u32 v3, s20, v16
	v_mul_lo_u32 v12, s21, v15
	v_add3_u32 v7, v12, v7, v3
	s_and_b64 vcc, exec, s[24:25]
	s_mov_b64 s[36:37], s[30:31]
	s_mov_b64 s[38:39], s[28:29]
	;; [unrolled: 1-line block ×3, first 2 shown]
	s_cbranch_vccnz .LBB7_28
.LBB7_12:                               ;   in Loop: Header=BB7_3 Depth=1
	v_sub_co_u32_e32 v10, vcc, v4, v15
	v_subb_co_u32_e32 v11, vcc, v5, v16, vcc
	v_cmp_ge_i64_e32 vcc, s[8:9], v[10:11]
	v_mov_b32_e32 v3, 0
	s_and_saveexec_b64 s[0:1], vcc
	s_cbranch_execz .LBB7_22
; %bb.13:                               ;   in Loop: Header=BB7_3 Depth=1
	v_cmp_gt_i64_e32 vcc, s[14:15], v[4:5]
	v_mov_b32_e32 v3, 0
	s_and_saveexec_b64 s[36:37], vcc
	s_cbranch_execz .LBB7_21
; %bb.14:                               ;   in Loop: Header=BB7_3 Depth=1
	v_mov_b32_e32 v3, s7
	v_add_co_u32_e32 v8, vcc, s6, v8
	v_addc_co_u32_e32 v9, vcc, v3, v9, vcc
	global_load_ubyte v3, v[8:9], off
	v_add_co_u32_e32 v12, vcc, 1, v4
	v_addc_co_u32_e32 v13, vcc, 0, v5, vcc
	v_cmp_gt_i64_e32 vcc, s[14:15], v[12:13]
	s_and_saveexec_b64 s[38:39], vcc
	s_xor_b64 s[38:39], exec, s[38:39]
	s_cbranch_execz .LBB7_20
; %bb.15:                               ;   in Loop: Header=BB7_3 Depth=1
	v_mov_b32_e32 v12, s19
	v_add_co_u32_e32 v8, vcc, s18, v8
	v_addc_co_u32_e32 v9, vcc, v9, v12, vcc
	global_load_ubyte v15, v[8:9], off
	v_add_co_u32_e32 v12, vcc, 2, v4
	v_addc_co_u32_e32 v13, vcc, 0, v5, vcc
	v_cmp_gt_i64_e32 vcc, s[14:15], v[12:13]
	s_waitcnt vmcnt(0)
	v_lshlrev_b16_e32 v15, 8, v15
	v_or_b32_e32 v3, v3, v15
	v_and_b32_e32 v3, 0xffff, v3
	s_and_saveexec_b64 s[40:41], vcc
	s_xor_b64 s[40:41], exec, s[40:41]
	s_cbranch_execz .LBB7_19
; %bb.16:                               ;   in Loop: Header=BB7_3 Depth=1
	v_mov_b32_e32 v12, s19
	v_add_co_u32_e32 v8, vcc, s18, v8
	v_addc_co_u32_e32 v9, vcc, v9, v12, vcc
	global_load_ubyte v15, v[8:9], off
	v_add_co_u32_e32 v12, vcc, 3, v4
	v_addc_co_u32_e32 v13, vcc, 0, v5, vcc
	v_cmp_gt_i64_e32 vcc, s[14:15], v[12:13]
	s_waitcnt vmcnt(0)
	v_lshl_or_b32 v3, v15, 16, v3
	s_and_saveexec_b64 s[42:43], vcc
	s_xor_b64 s[42:43], exec, s[42:43]
	s_cbranch_execz .LBB7_18
; %bb.17:                               ;   in Loop: Header=BB7_3 Depth=1
	v_mov_b32_e32 v12, s19
	v_add_co_u32_e32 v8, vcc, s18, v8
	v_addc_co_u32_e32 v9, vcc, v9, v12, vcc
	global_load_ubyte v8, v[8:9], off
	s_waitcnt vmcnt(0)
	v_lshlrev_b16_e32 v8, 8, v8
	v_or_b32_sdwa v8, v3, v8 dst_sel:WORD_1 dst_unused:UNUSED_PAD src0_sel:WORD_1 src1_sel:DWORD
	v_and_or_b32 v3, v3, s33, v8
.LBB7_18:                               ;   in Loop: Header=BB7_3 Depth=1
	s_or_b64 exec, exec, s[42:43]
.LBB7_19:                               ;   in Loop: Header=BB7_3 Depth=1
	s_or_b64 exec, exec, s[40:41]
.LBB7_20:                               ;   in Loop: Header=BB7_3 Depth=1
	s_or_b64 exec, exec, s[38:39]
.LBB7_21:                               ;   in Loop: Header=BB7_3 Depth=1
	s_or_b64 exec, exec, s[36:37]
	v_add_co_u32_e32 v8, vcc, 1, v10
	v_addc_co_u32_e32 v9, vcc, 0, v11, vcc
	s_waitcnt vmcnt(0)
	v_lshrrev_b32_e32 v13, 8, v3
	v_cmp_ge_i64_e32 vcc, s[8:9], v[8:9]
	v_cndmask_b32_e32 v8, 0, v13, vcc
	v_lshlrev_b16_e32 v8, 8, v8
	v_or_b32_sdwa v13, v3, v8 dst_sel:DWORD dst_unused:UNUSED_PAD src0_sel:BYTE_0 src1_sel:DWORD
	v_add_co_u32_e32 v8, vcc, 2, v10
	v_addc_co_u32_e32 v9, vcc, 0, v11, vcc
	v_lshrrev_b32_e32 v12, 16, v3
	v_cmp_ge_i64_e32 vcc, s[8:9], v[8:9]
	v_cndmask_b32_e32 v12, 0, v12, vcc
	v_add_co_u32_e32 v8, vcc, 3, v10
	v_addc_co_u32_e32 v9, vcc, 0, v11, vcc
	v_lshrrev_b32_e32 v3, 24, v3
	v_cmp_ge_i64_e32 vcc, s[8:9], v[8:9]
	v_cndmask_b32_e32 v3, 0, v3, vcc
	v_lshlrev_b16_e32 v3, 8, v3
	v_or_b32_sdwa v3, v12, v3 dst_sel:WORD_1 dst_unused:UNUSED_PAD src0_sel:BYTE_0 src1_sel:DWORD
	v_or_b32_sdwa v3, v13, v3 dst_sel:DWORD dst_unused:UNUSED_PAD src0_sel:WORD_0 src1_sel:DWORD
.LBB7_22:                               ;   in Loop: Header=BB7_3 Depth=1
	s_or_b64 exec, exec, s[0:1]
	v_cmp_gt_i64_e32 vcc, s[14:15], v[4:5]
	s_and_saveexec_b64 s[0:1], vcc
	s_cbranch_execz .LBB7_2
; %bb.23:                               ;   in Loop: Header=BB7_3 Depth=1
	v_mov_b32_e32 v8, s5
	v_add_co_u32_e32 v6, vcc, s4, v6
	v_addc_co_u32_e32 v7, vcc, v8, v7, vcc
	v_add_co_u32_e32 v8, vcc, 1, v4
	v_addc_co_u32_e32 v9, vcc, 0, v5, vcc
	v_cmp_gt_i64_e32 vcc, s[14:15], v[8:9]
	global_store_byte v[6:7], v3, off
	s_and_saveexec_b64 s[36:37], vcc
	s_xor_b64 s[36:37], exec, s[36:37]
	s_cbranch_execz .LBB7_2
; %bb.24:                               ;   in Loop: Header=BB7_3 Depth=1
	v_mov_b32_e32 v9, s23
	v_add_co_u32_e32 v6, vcc, s22, v6
	v_lshrrev_b32_e32 v8, 8, v3
	v_addc_co_u32_e32 v7, vcc, v7, v9, vcc
	global_store_byte v[6:7], v8, off
	v_add_co_u32_e32 v8, vcc, 2, v4
	v_addc_co_u32_e32 v9, vcc, 0, v5, vcc
	v_cmp_gt_i64_e32 vcc, s[14:15], v[8:9]
	s_and_saveexec_b64 s[36:37], vcc
	s_xor_b64 s[36:37], exec, s[36:37]
	s_cbranch_execz .LBB7_2
; %bb.25:                               ;   in Loop: Header=BB7_3 Depth=1
	v_mov_b32_e32 v8, s23
	v_add_co_u32_e32 v6, vcc, s22, v6
	v_addc_co_u32_e32 v7, vcc, v7, v8, vcc
	v_add_co_u32_e32 v4, vcc, 3, v4
	v_addc_co_u32_e32 v5, vcc, 0, v5, vcc
	v_cmp_gt_i64_e32 vcc, s[14:15], v[4:5]
	global_store_byte_d16_hi v[6:7], v3, off
	s_and_saveexec_b64 s[36:37], vcc
	s_xor_b64 s[36:37], exec, s[36:37]
	s_cbranch_execz .LBB7_2
; %bb.26:                               ;   in Loop: Header=BB7_3 Depth=1
	v_mov_b32_e32 v5, s23
	v_add_co_u32_e32 v4, vcc, s22, v6
	v_lshrrev_b32_e32 v3, 24, v3
	v_addc_co_u32_e32 v5, vcc, v7, v5, vcc
	global_store_byte v[4:5], v3, off
	s_branch .LBB7_2
.LBB7_27:                               ;   in Loop: Header=BB7_28 Depth=2
	s_or_b64 exec, exec, s[0:1]
	v_mad_u64_u32 v[18:19], s[0:1], v12, s42, 0
	v_mul_lo_u32 v3, v13, s42
	v_mul_lo_u32 v17, v12, s43
	s_load_dwordx2 s[0:1], s[38:39], 0xc8
	s_load_dwordx2 s[42:43], s[40:41], 0x0
	s_add_u32 s40, s40, -8
	s_addc_u32 s41, s41, -1
	s_add_u32 s38, s38, -8
	v_add3_u32 v3, v19, v17, v3
	v_sub_co_u32_e32 v10, vcc, v10, v18
	s_addc_u32 s39, s39, -1
	v_subb_co_u32_e32 v3, vcc, v11, v3, vcc
	s_add_u32 s36, s36, -1
	s_waitcnt lgkmcnt(0)
	v_mul_lo_u32 v11, s0, v3
	v_mul_lo_u32 v17, s1, v10
	v_mad_u64_u32 v[8:9], s[0:1], s0, v10, v[8:9]
	v_mad_u64_u32 v[6:7], s[0:1], s42, v10, v[6:7]
	s_addc_u32 s37, s37, -1
	v_add3_u32 v9, v17, v9, v11
	v_mul_lo_u32 v3, s42, v3
	v_mul_lo_u32 v11, s43, v10
	v_cmp_lt_i64_e64 s[0:1], s[36:37], 1
	v_add3_u32 v7, v11, v7, v3
	s_and_b64 vcc, exec, s[0:1]
	v_pk_mov_b32 v[10:11], v[12:13], v[12:13] op_sel:[0,1]
	s_cbranch_vccnz .LBB7_12
.LBB7_28:                               ;   Parent Loop BB7_3 Depth=1
                                        ; =>  This Inner Loop Header: Depth=2
	s_load_dwordx2 s[42:43], s[38:39], 0x0
                                        ; implicit-def: $vgpr12_vgpr13
	s_waitcnt lgkmcnt(0)
	v_or_b32_e32 v3, s43, v11
	v_cmp_ne_u64_e32 vcc, 0, v[2:3]
	s_and_saveexec_b64 s[0:1], vcc
	s_xor_b64 s[44:45], exec, s[0:1]
	s_cbranch_execz .LBB7_30
; %bb.29:                               ;   in Loop: Header=BB7_28 Depth=2
	s_ashr_i32 s46, s43, 31
	s_add_u32 s0, s42, s46
	s_mov_b32 s47, s46
	s_addc_u32 s1, s43, s46
	s_xor_b64 s[48:49], s[0:1], s[46:47]
	v_cvt_f32_u32_e32 v3, s48
	v_cvt_f32_u32_e32 v12, s49
	s_sub_u32 s0, 0, s48
	s_subb_u32 s1, 0, s49
	v_mac_f32_e32 v3, 0x4f800000, v12
	v_rcp_f32_e32 v3, v3
	v_mul_f32_e32 v3, 0x5f7ffffc, v3
	v_mul_f32_e32 v12, 0x2f800000, v3
	v_trunc_f32_e32 v12, v12
	v_mac_f32_e32 v3, 0xcf800000, v12
	v_cvt_u32_f32_e32 v12, v12
	v_cvt_u32_f32_e32 v3, v3
	v_mul_lo_u32 v13, s0, v12
	v_mul_hi_u32 v18, s0, v3
	v_mul_lo_u32 v17, s1, v3
	v_add_u32_e32 v13, v18, v13
	v_mul_lo_u32 v19, s0, v3
	v_add_u32_e32 v13, v13, v17
	v_mul_lo_u32 v18, v3, v13
	v_mul_hi_u32 v20, v3, v19
	v_mul_hi_u32 v17, v3, v13
	v_add_co_u32_e32 v18, vcc, v20, v18
	v_addc_co_u32_e32 v17, vcc, 0, v17, vcc
	v_mul_hi_u32 v21, v12, v19
	v_mul_lo_u32 v19, v12, v19
	v_add_co_u32_e32 v18, vcc, v18, v19
	v_mul_hi_u32 v20, v12, v13
	v_addc_co_u32_e32 v17, vcc, v17, v21, vcc
	v_addc_co_u32_e32 v18, vcc, 0, v20, vcc
	v_mul_lo_u32 v13, v12, v13
	v_add_co_u32_e32 v13, vcc, v17, v13
	v_addc_co_u32_e32 v17, vcc, 0, v18, vcc
	v_add_co_u32_e32 v3, vcc, v3, v13
	v_addc_co_u32_e32 v12, vcc, v12, v17, vcc
	v_mul_lo_u32 v13, s0, v12
	v_mul_hi_u32 v17, s0, v3
	v_add_u32_e32 v13, v17, v13
	v_mul_lo_u32 v17, s1, v3
	v_add_u32_e32 v13, v13, v17
	v_mul_lo_u32 v18, s0, v3
	v_mul_hi_u32 v19, v12, v18
	v_mul_lo_u32 v20, v12, v18
	v_mul_lo_u32 v22, v3, v13
	v_mul_hi_u32 v18, v3, v18
	v_mul_hi_u32 v21, v3, v13
	v_add_co_u32_e32 v18, vcc, v18, v22
	v_addc_co_u32_e32 v21, vcc, 0, v21, vcc
	v_add_co_u32_e32 v18, vcc, v18, v20
	v_mul_hi_u32 v17, v12, v13
	v_addc_co_u32_e32 v18, vcc, v21, v19, vcc
	v_addc_co_u32_e32 v17, vcc, 0, v17, vcc
	v_mul_lo_u32 v13, v12, v13
	v_add_co_u32_e32 v13, vcc, v18, v13
	v_addc_co_u32_e32 v17, vcc, 0, v17, vcc
	v_add_co_u32_e32 v3, vcc, v3, v13
	v_addc_co_u32_e32 v17, vcc, v12, v17, vcc
	v_ashrrev_i32_e32 v20, 31, v11
	v_add_co_u32_e32 v12, vcc, v10, v20
	v_addc_co_u32_e32 v13, vcc, v11, v20, vcc
	v_xor_b32_e32 v22, v12, v20
	v_xor_b32_e32 v21, v13, v20
	v_mad_u64_u32 v[12:13], s[0:1], v22, v17, 0
	v_mul_hi_u32 v18, v22, v3
	v_add_co_u32_e32 v23, vcc, v18, v12
	v_addc_co_u32_e32 v24, vcc, 0, v13, vcc
	v_mad_u64_u32 v[18:19], s[0:1], v21, v3, 0
	v_add_co_u32_e32 v3, vcc, v23, v18
	v_mad_u64_u32 v[12:13], s[0:1], v21, v17, 0
	v_addc_co_u32_e32 v3, vcc, v24, v19, vcc
	v_addc_co_u32_e32 v13, vcc, 0, v13, vcc
	v_add_co_u32_e32 v3, vcc, v3, v12
	v_addc_co_u32_e32 v17, vcc, 0, v13, vcc
	v_mul_lo_u32 v18, s49, v3
	v_mul_lo_u32 v19, s48, v17
	v_mad_u64_u32 v[12:13], s[0:1], s48, v3, 0
	v_add3_u32 v13, v13, v19, v18
	v_sub_u32_e32 v18, v21, v13
	v_mov_b32_e32 v19, s49
	v_sub_co_u32_e32 v12, vcc, v22, v12
	v_subb_co_u32_e64 v18, s[0:1], v18, v19, vcc
	v_subrev_co_u32_e64 v19, s[0:1], s48, v12
	v_subbrev_co_u32_e64 v18, s[0:1], 0, v18, s[0:1]
	v_cmp_le_u32_e64 s[0:1], s49, v18
	v_cndmask_b32_e64 v22, 0, -1, s[0:1]
	v_cmp_le_u32_e64 s[0:1], s48, v19
	v_cndmask_b32_e64 v19, 0, -1, s[0:1]
	v_cmp_eq_u32_e64 s[0:1], s49, v18
	v_cndmask_b32_e64 v18, v22, v19, s[0:1]
	v_add_co_u32_e64 v19, s[0:1], 2, v3
	v_subb_co_u32_e32 v13, vcc, v21, v13, vcc
	v_addc_co_u32_e64 v22, s[0:1], 0, v17, s[0:1]
	v_cmp_le_u32_e32 vcc, s49, v13
	v_add_co_u32_e64 v23, s[0:1], 1, v3
	v_cndmask_b32_e64 v21, 0, -1, vcc
	v_cmp_le_u32_e32 vcc, s48, v12
	v_addc_co_u32_e64 v24, s[0:1], 0, v17, s[0:1]
	v_cndmask_b32_e64 v12, 0, -1, vcc
	v_cmp_eq_u32_e32 vcc, s49, v13
	v_cmp_ne_u32_e64 s[0:1], 0, v18
	v_cndmask_b32_e32 v12, v21, v12, vcc
	v_cmp_ne_u32_e32 vcc, 0, v12
	v_cndmask_b32_e64 v13, v23, v19, s[0:1]
	v_cndmask_b32_e64 v18, v24, v22, s[0:1]
	v_cndmask_b32_e32 v3, v3, v13, vcc
	v_xor_b32_e32 v13, s46, v20
	v_cndmask_b32_e32 v12, v17, v18, vcc
	v_xor_b32_e32 v3, v3, v13
	v_xor_b32_e32 v17, v12, v13
	v_sub_co_u32_e32 v12, vcc, v3, v13
	v_subb_co_u32_e32 v13, vcc, v17, v13, vcc
.LBB7_30:                               ;   in Loop: Header=BB7_28 Depth=2
	s_andn2_saveexec_b64 s[0:1], s[44:45]
	s_cbranch_execz .LBB7_27
; %bb.31:                               ;   in Loop: Header=BB7_28 Depth=2
	v_cvt_f32_u32_e32 v3, s42
	s_sub_i32 s44, 0, s42
	v_rcp_iflag_f32_e32 v3, v3
	v_mul_f32_e32 v3, 0x4f7ffffe, v3
	v_cvt_u32_f32_e32 v3, v3
	v_mul_lo_u32 v12, s44, v3
	v_mul_hi_u32 v12, v3, v12
	v_add_u32_e32 v3, v3, v12
	v_mul_hi_u32 v3, v10, v3
	v_mul_lo_u32 v12, v3, s42
	v_sub_u32_e32 v12, v10, v12
	v_add_u32_e32 v13, 1, v3
	v_subrev_u32_e32 v17, s42, v12
	v_cmp_le_u32_e32 vcc, s42, v12
	v_cndmask_b32_e32 v12, v12, v17, vcc
	v_cndmask_b32_e32 v3, v3, v13, vcc
	v_add_u32_e32 v13, 1, v3
	v_cmp_le_u32_e32 vcc, s42, v12
	v_cndmask_b32_e32 v12, v3, v13, vcc
	v_mov_b32_e32 v13, v2
	s_branch .LBB7_27
.LBB7_32:
	s_endpgm
	.section	.rodata,"a",@progbits
	.p2align	6, 0x0
	.amdhsa_kernel _ZN2at6native16triu_tril_kernelIalLb0ELi4ELb0EEEvNS_4cuda6detail10TensorInfoIT_T0_EENS4_IKS5_S6_EEllS6_
		.amdhsa_group_segment_fixed_size 0
		.amdhsa_private_segment_fixed_size 0
		.amdhsa_kernarg_size 1112
		.amdhsa_user_sgpr_count 6
		.amdhsa_user_sgpr_private_segment_buffer 1
		.amdhsa_user_sgpr_dispatch_ptr 0
		.amdhsa_user_sgpr_queue_ptr 0
		.amdhsa_user_sgpr_kernarg_segment_ptr 1
		.amdhsa_user_sgpr_dispatch_id 0
		.amdhsa_user_sgpr_flat_scratch_init 0
		.amdhsa_user_sgpr_kernarg_preload_length 0
		.amdhsa_user_sgpr_kernarg_preload_offset 0
		.amdhsa_user_sgpr_private_segment_size 0
		.amdhsa_uses_dynamic_stack 0
		.amdhsa_system_sgpr_private_segment_wavefront_offset 0
		.amdhsa_system_sgpr_workgroup_id_x 1
		.amdhsa_system_sgpr_workgroup_id_y 0
		.amdhsa_system_sgpr_workgroup_id_z 0
		.amdhsa_system_sgpr_workgroup_info 0
		.amdhsa_system_vgpr_workitem_id 0
		.amdhsa_next_free_vgpr 25
		.amdhsa_next_free_sgpr 52
		.amdhsa_accum_offset 28
		.amdhsa_reserve_vcc 1
		.amdhsa_reserve_flat_scratch 0
		.amdhsa_float_round_mode_32 0
		.amdhsa_float_round_mode_16_64 0
		.amdhsa_float_denorm_mode_32 3
		.amdhsa_float_denorm_mode_16_64 3
		.amdhsa_dx10_clamp 1
		.amdhsa_ieee_mode 1
		.amdhsa_fp16_overflow 0
		.amdhsa_tg_split 0
		.amdhsa_exception_fp_ieee_invalid_op 0
		.amdhsa_exception_fp_denorm_src 0
		.amdhsa_exception_fp_ieee_div_zero 0
		.amdhsa_exception_fp_ieee_overflow 0
		.amdhsa_exception_fp_ieee_underflow 0
		.amdhsa_exception_fp_ieee_inexact 0
		.amdhsa_exception_int_div_zero 0
	.end_amdhsa_kernel
	.section	.text._ZN2at6native16triu_tril_kernelIalLb0ELi4ELb0EEEvNS_4cuda6detail10TensorInfoIT_T0_EENS4_IKS5_S6_EEllS6_,"axG",@progbits,_ZN2at6native16triu_tril_kernelIalLb0ELi4ELb0EEEvNS_4cuda6detail10TensorInfoIT_T0_EENS4_IKS5_S6_EEllS6_,comdat
.Lfunc_end7:
	.size	_ZN2at6native16triu_tril_kernelIalLb0ELi4ELb0EEEvNS_4cuda6detail10TensorInfoIT_T0_EENS4_IKS5_S6_EEllS6_, .Lfunc_end7-_ZN2at6native16triu_tril_kernelIalLb0ELi4ELb0EEEvNS_4cuda6detail10TensorInfoIT_T0_EENS4_IKS5_S6_EEllS6_
                                        ; -- End function
	.section	.AMDGPU.csdata,"",@progbits
; Kernel info:
; codeLenInByte = 3692
; NumSgprs: 56
; NumVgprs: 25
; NumAgprs: 0
; TotalNumVgprs: 25
; ScratchSize: 0
; MemoryBound: 0
; FloatMode: 240
; IeeeMode: 1
; LDSByteSize: 0 bytes/workgroup (compile time only)
; SGPRBlocks: 6
; VGPRBlocks: 3
; NumSGPRsForWavesPerEU: 56
; NumVGPRsForWavesPerEU: 25
; AccumOffset: 28
; Occupancy: 8
; WaveLimiterHint : 0
; COMPUTE_PGM_RSRC2:SCRATCH_EN: 0
; COMPUTE_PGM_RSRC2:USER_SGPR: 6
; COMPUTE_PGM_RSRC2:TRAP_HANDLER: 0
; COMPUTE_PGM_RSRC2:TGID_X_EN: 1
; COMPUTE_PGM_RSRC2:TGID_Y_EN: 0
; COMPUTE_PGM_RSRC2:TGID_Z_EN: 0
; COMPUTE_PGM_RSRC2:TIDIG_COMP_CNT: 0
; COMPUTE_PGM_RSRC3_GFX90A:ACCUM_OFFSET: 6
; COMPUTE_PGM_RSRC3_GFX90A:TG_SPLIT: 0
	.section	.text._ZN2at6native16triu_tril_kernelIiiLb0ELi2ELb1EEEvNS_4cuda6detail10TensorInfoIT_T0_EENS4_IKS5_S6_EEllS6_,"axG",@progbits,_ZN2at6native16triu_tril_kernelIiiLb0ELi2ELb1EEEvNS_4cuda6detail10TensorInfoIT_T0_EENS4_IKS5_S6_EEllS6_,comdat
	.protected	_ZN2at6native16triu_tril_kernelIiiLb0ELi2ELb1EEEvNS_4cuda6detail10TensorInfoIT_T0_EENS4_IKS5_S6_EEllS6_ ; -- Begin function _ZN2at6native16triu_tril_kernelIiiLb0ELi2ELb1EEEvNS_4cuda6detail10TensorInfoIT_T0_EENS4_IKS5_S6_EEllS6_
	.globl	_ZN2at6native16triu_tril_kernelIiiLb0ELi2ELb1EEEvNS_4cuda6detail10TensorInfoIT_T0_EENS4_IKS5_S6_EEllS6_
	.p2align	8
	.type	_ZN2at6native16triu_tril_kernelIiiLb0ELi2ELb1EEEvNS_4cuda6detail10TensorInfoIT_T0_EENS4_IKS5_S6_EEllS6_,@function
_ZN2at6native16triu_tril_kernelIiiLb0ELi2ELb1EEEvNS_4cuda6detail10TensorInfoIT_T0_EENS4_IKS5_S6_EEllS6_: ; @_ZN2at6native16triu_tril_kernelIiiLb0ELi2ELb1EEEvNS_4cuda6detail10TensorInfoIT_T0_EENS4_IKS5_S6_EEllS6_
; %bb.0:
	s_load_dword s2, s[4:5], 0x1d4
	s_load_dwordx4 s[8:11], s[4:5], 0x1b0
	s_add_u32 s0, s4, 0x1c8
	v_mov_b32_e32 v2, 0
	s_addc_u32 s1, s5, 0
	s_waitcnt lgkmcnt(0)
	s_and_b32 s7, s2, 0xffff
	v_mov_b32_e32 v1, v2
	v_mov_b32_e32 v3, s6
	v_mad_u64_u32 v[0:1], s[2:3], s7, v3, v[0:1]
	v_lshlrev_b64 v[0:1], 1, v[0:1]
	v_cmp_gt_i64_e32 vcc, s[10:11], v[0:1]
	s_and_saveexec_b64 s[2:3], vcc
	s_cbranch_execz .LBB8_63
; %bb.1:
	s_load_dword s33, s[4:5], 0x1c0
	s_load_dword s14, s[4:5], 0x1a8
	;; [unrolled: 1-line block ×3, first 2 shown]
	s_load_dwordx2 s[2:3], s[4:5], 0x0
	s_mov_b64 s[22:23], 0
	s_waitcnt lgkmcnt(0)
	s_ashr_i32 s38, s33, 31
	s_ashr_i32 s15, s14, 31
	s_add_u32 s39, s4, 0xe0
	s_addc_u32 s40, s5, 0
	s_add_i32 s0, s14, -2
	s_ashr_i32 s1, s0, 31
	s_lshl_b64 s[12:13], s[0:1], 2
	s_add_u32 s16, s39, s12
	s_addc_u32 s17, s40, s13
	s_load_dword s41, s[16:17], 0x0
	s_lshl_b64 s[16:17], s[14:15], 2
	s_mul_i32 s1, s6, s7
	v_cmp_gt_i64_e64 s[6:7], s[14:15], 2
	v_cvt_f32_u32_e32 v3, s33
	s_waitcnt lgkmcnt(0)
	s_ashr_i32 s42, s41, 31
	s_add_u32 s15, s16, -4
	s_addc_u32 s16, s17, -1
	s_add_u32 s43, s4, 0x6c
	s_addc_u32 s44, s5, 0
	s_add_u32 s4, s43, s15
	v_rcp_iflag_f32_e32 v3, v3
	s_addc_u32 s5, s44, s16
	s_add_u32 s12, s43, s12
	s_addc_u32 s13, s44, s13
	s_add_i32 s45, s14, -3
	s_add_u32 s14, s39, s15
	v_mul_f32_e32 v3, 0x4f7ffffe, v3
	s_addc_u32 s15, s40, s16
	s_lshl_b32 s46, s1, 1
	s_and_b32 s48, s0, 7
	v_cvt_u32_f32_e32 v26, v3
	s_cmp_lg_u32 s48, 0
	s_mov_b32 s17, 0
	s_cselect_b64 s[18:19], -1, 0
	s_cmp_gt_u32 s45, 6
	s_mov_b32 s47, s17
	s_cselect_b64 s[20:21], -1, 0
	s_branch .LBB8_3
.LBB8_2:                                ;   in Loop: Header=BB8_3 Depth=1
	s_or_b64 exec, exec, s[24:25]
	v_mov_b32_e32 v3, s47
	v_add_co_u32_e32 v0, vcc, s46, v0
	v_addc_co_u32_e32 v1, vcc, v1, v3, vcc
	v_cmp_le_i64_e32 vcc, s[10:11], v[0:1]
	s_or_b64 s[22:23], vcc, s[22:23]
	s_andn2_b64 exec, exec, s[22:23]
	s_cbranch_execz .LBB8_63
.LBB8_3:                                ; =>This Loop Header: Depth=1
                                        ;     Child Loop BB8_16 Depth 2
                                        ;     Child Loop BB8_23 Depth 2
	v_or_b32_e32 v3, s38, v1
	v_cmp_ne_u64_e32 vcc, 0, v[2:3]
                                        ; implicit-def: $vgpr4_vgpr5
	s_and_saveexec_b64 s[0:1], vcc
	s_xor_b64 s[24:25], exec, s[0:1]
	s_cbranch_execz .LBB8_5
; %bb.4:                                ;   in Loop: Header=BB8_3 Depth=1
	s_add_u32 s0, s33, s38
	s_mov_b32 s26, s38
	s_mov_b32 s27, s38
	s_addc_u32 s1, s38, s38
	s_xor_b64 s[28:29], s[0:1], s[26:27]
	v_cvt_f32_u32_e32 v3, s28
	v_cvt_f32_u32_e32 v4, s29
	s_sub_u32 s0, 0, s28
	s_subb_u32 s1, 0, s29
	v_mac_f32_e32 v3, 0x4f800000, v4
	v_rcp_f32_e32 v3, v3
	v_mul_f32_e32 v3, 0x5f7ffffc, v3
	v_mul_f32_e32 v4, 0x2f800000, v3
	v_trunc_f32_e32 v4, v4
	v_mac_f32_e32 v3, 0xcf800000, v4
	v_cvt_u32_f32_e32 v4, v4
	v_cvt_u32_f32_e32 v3, v3
	v_mul_lo_u32 v5, s0, v4
	v_mul_hi_u32 v7, s0, v3
	v_mul_lo_u32 v6, s1, v3
	v_add_u32_e32 v5, v7, v5
	v_mul_lo_u32 v8, s0, v3
	v_add_u32_e32 v5, v5, v6
	v_mul_lo_u32 v7, v3, v5
	v_mul_hi_u32 v9, v3, v8
	v_mul_hi_u32 v6, v3, v5
	v_add_co_u32_e32 v7, vcc, v9, v7
	v_addc_co_u32_e32 v6, vcc, 0, v6, vcc
	v_mul_hi_u32 v10, v4, v8
	v_mul_lo_u32 v8, v4, v8
	v_add_co_u32_e32 v7, vcc, v7, v8
	v_mul_hi_u32 v9, v4, v5
	v_addc_co_u32_e32 v6, vcc, v6, v10, vcc
	v_addc_co_u32_e32 v7, vcc, 0, v9, vcc
	v_mul_lo_u32 v5, v4, v5
	v_add_co_u32_e32 v5, vcc, v6, v5
	v_addc_co_u32_e32 v6, vcc, 0, v7, vcc
	v_add_co_u32_e32 v3, vcc, v3, v5
	v_addc_co_u32_e32 v4, vcc, v4, v6, vcc
	v_mul_lo_u32 v5, s0, v4
	v_mul_hi_u32 v6, s0, v3
	v_add_u32_e32 v5, v6, v5
	v_mul_lo_u32 v6, s1, v3
	v_add_u32_e32 v5, v5, v6
	v_mul_lo_u32 v7, s0, v3
	v_mul_hi_u32 v8, v4, v7
	v_mul_lo_u32 v9, v4, v7
	v_mul_lo_u32 v11, v3, v5
	v_mul_hi_u32 v7, v3, v7
	v_mul_hi_u32 v10, v3, v5
	v_add_co_u32_e32 v7, vcc, v7, v11
	v_addc_co_u32_e32 v10, vcc, 0, v10, vcc
	v_add_co_u32_e32 v7, vcc, v7, v9
	v_mul_hi_u32 v6, v4, v5
	v_addc_co_u32_e32 v7, vcc, v10, v8, vcc
	v_addc_co_u32_e32 v6, vcc, 0, v6, vcc
	v_mul_lo_u32 v5, v4, v5
	v_add_co_u32_e32 v5, vcc, v7, v5
	v_addc_co_u32_e32 v6, vcc, 0, v6, vcc
	v_add_co_u32_e32 v3, vcc, v3, v5
	v_addc_co_u32_e32 v6, vcc, v4, v6, vcc
	v_ashrrev_i32_e32 v8, 31, v1
	v_add_co_u32_e32 v4, vcc, v0, v8
	v_addc_co_u32_e32 v5, vcc, v1, v8, vcc
	v_xor_b32_e32 v10, v4, v8
	v_xor_b32_e32 v9, v5, v8
	v_mad_u64_u32 v[4:5], s[0:1], v10, v6, 0
	v_mul_hi_u32 v7, v10, v3
	v_add_co_u32_e32 v11, vcc, v7, v4
	v_addc_co_u32_e32 v12, vcc, 0, v5, vcc
	v_mad_u64_u32 v[4:5], s[0:1], v9, v6, 0
	v_mad_u64_u32 v[6:7], s[0:1], v9, v3, 0
	v_add_co_u32_e32 v3, vcc, v11, v6
	v_addc_co_u32_e32 v3, vcc, v12, v7, vcc
	v_addc_co_u32_e32 v5, vcc, 0, v5, vcc
	v_add_co_u32_e32 v3, vcc, v3, v4
	v_addc_co_u32_e32 v6, vcc, 0, v5, vcc
	v_mul_lo_u32 v7, s29, v3
	v_mul_lo_u32 v11, s28, v6
	v_mad_u64_u32 v[4:5], s[0:1], s28, v3, 0
	v_add3_u32 v5, v5, v11, v7
	v_sub_u32_e32 v7, v9, v5
	v_mov_b32_e32 v11, s29
	v_sub_co_u32_e32 v4, vcc, v10, v4
	v_subb_co_u32_e64 v7, s[0:1], v7, v11, vcc
	v_subrev_co_u32_e64 v10, s[0:1], s28, v4
	v_subbrev_co_u32_e64 v7, s[0:1], 0, v7, s[0:1]
	v_cmp_le_u32_e64 s[0:1], s29, v7
	v_cndmask_b32_e64 v11, 0, -1, s[0:1]
	v_cmp_le_u32_e64 s[0:1], s28, v10
	v_cndmask_b32_e64 v10, 0, -1, s[0:1]
	v_cmp_eq_u32_e64 s[0:1], s29, v7
	v_cndmask_b32_e64 v7, v11, v10, s[0:1]
	v_add_co_u32_e64 v10, s[0:1], 2, v3
	v_subb_co_u32_e32 v5, vcc, v9, v5, vcc
	v_addc_co_u32_e64 v11, s[0:1], 0, v6, s[0:1]
	v_cmp_le_u32_e32 vcc, s29, v5
	v_add_co_u32_e64 v12, s[0:1], 1, v3
	v_cndmask_b32_e64 v9, 0, -1, vcc
	v_cmp_le_u32_e32 vcc, s28, v4
	v_addc_co_u32_e64 v13, s[0:1], 0, v6, s[0:1]
	v_cndmask_b32_e64 v4, 0, -1, vcc
	v_cmp_eq_u32_e32 vcc, s29, v5
	v_cmp_ne_u32_e64 s[0:1], 0, v7
	v_cndmask_b32_e32 v4, v9, v4, vcc
	v_cndmask_b32_e64 v7, v13, v11, s[0:1]
	v_cmp_ne_u32_e32 vcc, 0, v4
	v_cndmask_b32_e64 v5, v12, v10, s[0:1]
	v_cndmask_b32_e32 v4, v6, v7, vcc
	v_cndmask_b32_e32 v3, v3, v5, vcc
	v_xor_b32_e32 v6, s26, v8
	v_xor_b32_e32 v5, s27, v8
	;; [unrolled: 1-line block ×4, first 2 shown]
	v_sub_co_u32_e32 v4, vcc, v3, v6
	v_subb_co_u32_e32 v5, vcc, v7, v5, vcc
.LBB8_5:                                ;   in Loop: Header=BB8_3 Depth=1
	s_andn2_saveexec_b64 s[0:1], s[24:25]
	s_cbranch_execz .LBB8_7
; %bb.6:                                ;   in Loop: Header=BB8_3 Depth=1
	s_sub_i32 s16, 0, s33
	v_mul_lo_u32 v3, s16, v26
	v_mul_hi_u32 v3, v26, v3
	v_add_u32_e32 v3, v26, v3
	v_mul_hi_u32 v3, v0, v3
	v_mul_lo_u32 v4, v3, s33
	v_sub_u32_e32 v4, v0, v4
	v_subrev_u32_e32 v5, s33, v4
	v_cmp_le_u32_e32 vcc, s33, v4
	v_cndmask_b32_e32 v4, v4, v5, vcc
	v_add_u32_e32 v5, 1, v3
	v_cndmask_b32_e32 v3, v3, v5, vcc
	v_add_u32_e32 v5, 1, v3
	v_cmp_le_u32_e32 vcc, s33, v4
	v_cndmask_b32_e32 v4, v3, v5, vcc
	v_mov_b32_e32 v5, v2
.LBB8_7:                                ;   in Loop: Header=BB8_3 Depth=1
	s_or_b64 exec, exec, s[0:1]
	v_or_b32_e32 v3, s42, v5
	v_cmp_ne_u64_e32 vcc, 0, v[2:3]
                                        ; implicit-def: $vgpr8_vgpr9
	s_and_saveexec_b64 s[0:1], vcc
	s_xor_b64 s[24:25], exec, s[0:1]
	s_cbranch_execz .LBB8_9
; %bb.8:                                ;   in Loop: Header=BB8_3 Depth=1
	s_add_u32 s0, s41, s42
	s_mov_b32 s26, s42
	s_mov_b32 s27, s42
	s_addc_u32 s1, s42, s42
	s_xor_b64 s[28:29], s[0:1], s[26:27]
	v_cvt_f32_u32_e32 v3, s28
	v_cvt_f32_u32_e32 v6, s29
	s_sub_u32 s0, 0, s28
	s_subb_u32 s1, 0, s29
	v_mac_f32_e32 v3, 0x4f800000, v6
	v_rcp_f32_e32 v3, v3
	v_mul_f32_e32 v3, 0x5f7ffffc, v3
	v_mul_f32_e32 v6, 0x2f800000, v3
	v_trunc_f32_e32 v6, v6
	v_mac_f32_e32 v3, 0xcf800000, v6
	v_cvt_u32_f32_e32 v6, v6
	v_cvt_u32_f32_e32 v3, v3
	v_mul_lo_u32 v7, s0, v6
	v_mul_hi_u32 v9, s0, v3
	v_mul_lo_u32 v8, s1, v3
	v_add_u32_e32 v7, v9, v7
	v_mul_lo_u32 v10, s0, v3
	v_add_u32_e32 v7, v7, v8
	v_mul_lo_u32 v9, v3, v7
	v_mul_hi_u32 v11, v3, v10
	v_mul_hi_u32 v8, v3, v7
	v_add_co_u32_e32 v9, vcc, v11, v9
	v_addc_co_u32_e32 v8, vcc, 0, v8, vcc
	v_mul_hi_u32 v12, v6, v10
	v_mul_lo_u32 v10, v6, v10
	v_add_co_u32_e32 v9, vcc, v9, v10
	v_mul_hi_u32 v11, v6, v7
	v_addc_co_u32_e32 v8, vcc, v8, v12, vcc
	v_addc_co_u32_e32 v9, vcc, 0, v11, vcc
	v_mul_lo_u32 v7, v6, v7
	v_add_co_u32_e32 v7, vcc, v8, v7
	v_addc_co_u32_e32 v8, vcc, 0, v9, vcc
	v_add_co_u32_e32 v3, vcc, v3, v7
	v_addc_co_u32_e32 v6, vcc, v6, v8, vcc
	v_mul_lo_u32 v7, s0, v6
	v_mul_hi_u32 v8, s0, v3
	v_add_u32_e32 v7, v8, v7
	v_mul_lo_u32 v8, s1, v3
	v_add_u32_e32 v7, v7, v8
	v_mul_lo_u32 v9, s0, v3
	v_mul_hi_u32 v10, v6, v9
	v_mul_lo_u32 v11, v6, v9
	v_mul_lo_u32 v13, v3, v7
	v_mul_hi_u32 v9, v3, v9
	v_mul_hi_u32 v12, v3, v7
	v_add_co_u32_e32 v9, vcc, v9, v13
	v_addc_co_u32_e32 v12, vcc, 0, v12, vcc
	v_add_co_u32_e32 v9, vcc, v9, v11
	v_mul_hi_u32 v8, v6, v7
	v_addc_co_u32_e32 v9, vcc, v12, v10, vcc
	v_addc_co_u32_e32 v8, vcc, 0, v8, vcc
	v_mul_lo_u32 v7, v6, v7
	v_add_co_u32_e32 v7, vcc, v9, v7
	v_addc_co_u32_e32 v8, vcc, 0, v8, vcc
	v_add_co_u32_e32 v3, vcc, v3, v7
	v_addc_co_u32_e32 v8, vcc, v6, v8, vcc
	v_ashrrev_i32_e32 v10, 31, v5
	v_add_co_u32_e32 v6, vcc, v4, v10
	v_xor_b32_e32 v11, v6, v10
	v_addc_co_u32_e32 v5, vcc, v5, v10, vcc
	v_mad_u64_u32 v[6:7], s[0:1], v11, v8, 0
	v_mul_hi_u32 v9, v11, v3
	v_xor_b32_e32 v5, v5, v10
	v_add_co_u32_e32 v12, vcc, v9, v6
	v_addc_co_u32_e32 v13, vcc, 0, v7, vcc
	v_mad_u64_u32 v[6:7], s[0:1], v5, v8, 0
	v_mad_u64_u32 v[8:9], s[0:1], v5, v3, 0
	v_add_co_u32_e32 v3, vcc, v12, v8
	v_addc_co_u32_e32 v3, vcc, v13, v9, vcc
	v_addc_co_u32_e32 v7, vcc, 0, v7, vcc
	v_add_co_u32_e32 v3, vcc, v3, v6
	v_addc_co_u32_e32 v8, vcc, 0, v7, vcc
	v_mul_lo_u32 v9, s29, v3
	v_mul_lo_u32 v12, s28, v8
	v_mad_u64_u32 v[6:7], s[0:1], s28, v3, 0
	v_add3_u32 v7, v7, v12, v9
	v_sub_u32_e32 v9, v5, v7
	v_mov_b32_e32 v12, s29
	v_sub_co_u32_e32 v6, vcc, v11, v6
	v_subb_co_u32_e64 v9, s[0:1], v9, v12, vcc
	v_subrev_co_u32_e64 v11, s[0:1], s28, v6
	v_subbrev_co_u32_e64 v9, s[0:1], 0, v9, s[0:1]
	v_cmp_le_u32_e64 s[0:1], s29, v9
	v_cndmask_b32_e64 v12, 0, -1, s[0:1]
	v_cmp_le_u32_e64 s[0:1], s28, v11
	v_cndmask_b32_e64 v11, 0, -1, s[0:1]
	v_cmp_eq_u32_e64 s[0:1], s29, v9
	v_cndmask_b32_e64 v9, v12, v11, s[0:1]
	v_add_co_u32_e64 v11, s[0:1], 2, v3
	v_subb_co_u32_e32 v5, vcc, v5, v7, vcc
	v_addc_co_u32_e64 v12, s[0:1], 0, v8, s[0:1]
	v_cmp_le_u32_e32 vcc, s29, v5
	v_add_co_u32_e64 v13, s[0:1], 1, v3
	v_cndmask_b32_e64 v7, 0, -1, vcc
	v_cmp_le_u32_e32 vcc, s28, v6
	v_addc_co_u32_e64 v14, s[0:1], 0, v8, s[0:1]
	v_cndmask_b32_e64 v6, 0, -1, vcc
	v_cmp_eq_u32_e32 vcc, s29, v5
	v_cmp_ne_u32_e64 s[0:1], 0, v9
	v_cndmask_b32_e32 v5, v7, v6, vcc
	v_cmp_ne_u32_e32 vcc, 0, v5
	v_cndmask_b32_e64 v6, v13, v11, s[0:1]
	v_cndmask_b32_e64 v9, v14, v12, s[0:1]
	v_cndmask_b32_e32 v3, v3, v6, vcc
	v_xor_b32_e32 v7, s26, v10
	v_cndmask_b32_e32 v5, v8, v9, vcc
	v_xor_b32_e32 v6, s27, v10
	v_xor_b32_e32 v3, v3, v7
	;; [unrolled: 1-line block ×3, first 2 shown]
	v_sub_co_u32_e32 v8, vcc, v3, v7
	v_subb_co_u32_e32 v9, vcc, v5, v6, vcc
.LBB8_9:                                ;   in Loop: Header=BB8_3 Depth=1
	s_andn2_saveexec_b64 s[0:1], s[24:25]
	s_cbranch_execz .LBB8_11
; %bb.10:                               ;   in Loop: Header=BB8_3 Depth=1
	v_cvt_f32_u32_e32 v3, s41
	s_sub_i32 s16, 0, s41
	v_mov_b32_e32 v9, v2
	v_rcp_iflag_f32_e32 v3, v3
	v_mul_f32_e32 v3, 0x4f7ffffe, v3
	v_cvt_u32_f32_e32 v3, v3
	v_mul_lo_u32 v5, s16, v3
	v_mul_hi_u32 v5, v3, v5
	v_add_u32_e32 v3, v3, v5
	v_mul_hi_u32 v3, v4, v3
	v_mul_lo_u32 v5, v3, s41
	v_sub_u32_e32 v5, v4, v5
	v_add_u32_e32 v6, 1, v3
	v_subrev_u32_e32 v7, s41, v5
	v_cmp_le_u32_e32 vcc, s41, v5
	v_cndmask_b32_e32 v5, v5, v7, vcc
	v_cndmask_b32_e32 v3, v3, v6, vcc
	v_add_u32_e32 v6, 1, v3
	v_cmp_le_u32_e32 vcc, s41, v5
	v_cndmask_b32_e32 v8, v3, v6, vcc
.LBB8_11:                               ;   in Loop: Header=BB8_3 Depth=1
	s_or_b64 exec, exec, s[0:1]
	v_mad_u64_u32 v[6:7], s[0:1], v4, s33, 0
	v_sub_co_u32_e32 v28, vcc, v0, v6
	v_mad_u64_u32 v[6:7], s[0:1], v8, s41, 0
	v_sub_co_u32_e32 v27, vcc, v4, v6
	v_sub_u32_e32 v4, v28, v27
	v_add_u32_e32 v6, 2, v4
	v_ashrrev_i32_e32 v7, 31, v6
	v_cmp_lt_i64_e32 vcc, s[8:9], v[6:7]
	s_and_saveexec_b64 s[24:25], vcc
	s_cbranch_execz .LBB8_2
; %bb.12:                               ;   in Loop: Header=BB8_3 Depth=1
	s_load_dword s49, s[4:5], 0x0
	s_load_dword s0, s[12:13], 0x0
	s_andn2_b64 vcc, exec, s[6:7]
	s_waitcnt lgkmcnt(0)
	v_mul_lo_u32 v6, s49, v28
	v_mad_u64_u32 v[6:7], s[0:1], s0, v27, v[6:7]
	s_cbranch_vccnz .LBB8_57
; %bb.13:                               ;   in Loop: Header=BB8_3 Depth=1
	s_andn2_b64 vcc, exec, s[18:19]
	s_cbranch_vccnz .LBB8_20
; %bb.14:                               ;   in Loop: Header=BB8_3 Depth=1
	s_mov_b32 s36, s48
	s_mov_b32 s16, s45
	s_branch .LBB8_16
.LBB8_15:                               ;   in Loop: Header=BB8_16 Depth=2
	s_or_b64 exec, exec, s[0:1]
	s_add_u32 s0, s43, s26
	s_addc_u32 s1, s44, s27
	s_load_dword s0, s[0:1], 0x0
	v_mul_lo_u32 v3, v8, s37
	v_sub_u32_e32 v3, v10, v3
	s_add_i32 s16, s16, -1
	s_add_i32 s36, s36, -1
	s_cmp_lg_u32 s36, 0
	s_waitcnt lgkmcnt(0)
	v_mad_u64_u32 v[6:7], s[0:1], s0, v3, v[6:7]
	s_cbranch_scc0 .LBB8_21
.LBB8_16:                               ;   Parent Loop BB8_3 Depth=1
                                        ; =>  This Inner Loop Header: Depth=2
	s_lshl_b64 s[26:27], s[16:17], 2
	s_add_u32 s0, s39, s26
	s_addc_u32 s1, s40, s27
	s_load_dword s37, s[0:1], 0x0
	v_pk_mov_b32 v[10:11], v[8:9], v[8:9] op_sel:[0,1]
                                        ; implicit-def: $vgpr8_vgpr9
	s_waitcnt lgkmcnt(0)
	s_ashr_i32 s0, s37, 31
	v_or_b32_e32 v3, s0, v11
	v_cmp_ne_u64_e32 vcc, 0, v[2:3]
	s_and_saveexec_b64 s[28:29], vcc
	s_xor_b64 s[28:29], exec, s[28:29]
	s_cbranch_execz .LBB8_18
; %bb.17:                               ;   in Loop: Header=BB8_16 Depth=2
	s_add_u32 s34, s37, s0
	s_mov_b32 s30, s0
	s_mov_b32 s31, s0
	s_addc_u32 s35, s0, s0
	s_xor_b64 s[34:35], s[34:35], s[30:31]
	v_cvt_f32_u32_e32 v3, s34
	v_cvt_f32_u32_e32 v5, s35
	s_sub_u32 s0, 0, s34
	s_subb_u32 s1, 0, s35
	v_mac_f32_e32 v3, 0x4f800000, v5
	v_rcp_f32_e32 v3, v3
	v_mul_f32_e32 v3, 0x5f7ffffc, v3
	v_mul_f32_e32 v5, 0x2f800000, v3
	v_trunc_f32_e32 v5, v5
	v_mac_f32_e32 v3, 0xcf800000, v5
	v_cvt_u32_f32_e32 v5, v5
	v_cvt_u32_f32_e32 v3, v3
	v_mul_lo_u32 v7, s0, v5
	v_mul_hi_u32 v9, s0, v3
	v_mul_lo_u32 v8, s1, v3
	v_add_u32_e32 v7, v9, v7
	v_mul_lo_u32 v12, s0, v3
	v_add_u32_e32 v7, v7, v8
	v_mul_lo_u32 v9, v3, v7
	v_mul_hi_u32 v13, v3, v12
	v_mul_hi_u32 v8, v3, v7
	v_add_co_u32_e32 v9, vcc, v13, v9
	v_addc_co_u32_e32 v8, vcc, 0, v8, vcc
	v_mul_hi_u32 v14, v5, v12
	v_mul_lo_u32 v12, v5, v12
	v_add_co_u32_e32 v9, vcc, v9, v12
	v_mul_hi_u32 v13, v5, v7
	v_addc_co_u32_e32 v8, vcc, v8, v14, vcc
	v_addc_co_u32_e32 v9, vcc, 0, v13, vcc
	v_mul_lo_u32 v7, v5, v7
	v_add_co_u32_e32 v7, vcc, v8, v7
	v_addc_co_u32_e32 v8, vcc, 0, v9, vcc
	v_add_co_u32_e32 v3, vcc, v3, v7
	v_addc_co_u32_e32 v5, vcc, v5, v8, vcc
	v_mul_lo_u32 v7, s0, v5
	v_mul_hi_u32 v8, s0, v3
	v_add_u32_e32 v7, v8, v7
	v_mul_lo_u32 v8, s1, v3
	v_add_u32_e32 v7, v7, v8
	v_mul_lo_u32 v9, s0, v3
	v_mul_hi_u32 v12, v5, v9
	v_mul_lo_u32 v13, v5, v9
	v_mul_lo_u32 v15, v3, v7
	v_mul_hi_u32 v9, v3, v9
	v_mul_hi_u32 v14, v3, v7
	v_add_co_u32_e32 v9, vcc, v9, v15
	v_addc_co_u32_e32 v14, vcc, 0, v14, vcc
	v_add_co_u32_e32 v9, vcc, v9, v13
	v_mul_hi_u32 v8, v5, v7
	v_addc_co_u32_e32 v9, vcc, v14, v12, vcc
	v_addc_co_u32_e32 v8, vcc, 0, v8, vcc
	v_mul_lo_u32 v7, v5, v7
	v_add_co_u32_e32 v7, vcc, v9, v7
	v_addc_co_u32_e32 v8, vcc, 0, v8, vcc
	v_add_co_u32_e32 v3, vcc, v3, v7
	v_addc_co_u32_e32 v5, vcc, v5, v8, vcc
	v_ashrrev_i32_e32 v7, 31, v11
	v_add_co_u32_e32 v8, vcc, v10, v7
	v_addc_co_u32_e32 v9, vcc, v11, v7, vcc
	v_xor_b32_e32 v14, v8, v7
	v_xor_b32_e32 v11, v9, v7
	v_mad_u64_u32 v[8:9], s[0:1], v14, v5, 0
	v_mul_hi_u32 v12, v14, v3
	v_add_co_u32_e32 v15, vcc, v12, v8
	v_addc_co_u32_e32 v16, vcc, 0, v9, vcc
	v_mad_u64_u32 v[12:13], s[0:1], v11, v3, 0
	v_add_co_u32_e32 v3, vcc, v15, v12
	v_mad_u64_u32 v[8:9], s[0:1], v11, v5, 0
	v_addc_co_u32_e32 v3, vcc, v16, v13, vcc
	v_addc_co_u32_e32 v5, vcc, 0, v9, vcc
	v_add_co_u32_e32 v3, vcc, v3, v8
	v_addc_co_u32_e32 v5, vcc, 0, v5, vcc
	v_mul_lo_u32 v12, s35, v3
	v_mul_lo_u32 v13, s34, v5
	v_mad_u64_u32 v[8:9], s[0:1], s34, v3, 0
	v_add3_u32 v9, v9, v13, v12
	v_sub_u32_e32 v12, v11, v9
	v_mov_b32_e32 v13, s35
	v_sub_co_u32_e32 v8, vcc, v14, v8
	v_subb_co_u32_e64 v12, s[0:1], v12, v13, vcc
	v_subrev_co_u32_e64 v13, s[0:1], s34, v8
	v_subbrev_co_u32_e64 v12, s[0:1], 0, v12, s[0:1]
	v_cmp_le_u32_e64 s[0:1], s35, v12
	v_cndmask_b32_e64 v14, 0, -1, s[0:1]
	v_cmp_le_u32_e64 s[0:1], s34, v13
	v_cndmask_b32_e64 v13, 0, -1, s[0:1]
	v_cmp_eq_u32_e64 s[0:1], s35, v12
	v_cndmask_b32_e64 v12, v14, v13, s[0:1]
	v_add_co_u32_e64 v13, s[0:1], 2, v3
	v_subb_co_u32_e32 v9, vcc, v11, v9, vcc
	v_addc_co_u32_e64 v14, s[0:1], 0, v5, s[0:1]
	v_cmp_le_u32_e32 vcc, s35, v9
	v_add_co_u32_e64 v15, s[0:1], 1, v3
	v_cndmask_b32_e64 v11, 0, -1, vcc
	v_cmp_le_u32_e32 vcc, s34, v8
	v_addc_co_u32_e64 v16, s[0:1], 0, v5, s[0:1]
	v_cndmask_b32_e64 v8, 0, -1, vcc
	v_cmp_eq_u32_e32 vcc, s35, v9
	v_cmp_ne_u32_e64 s[0:1], 0, v12
	v_cndmask_b32_e32 v8, v11, v8, vcc
	v_cmp_ne_u32_e32 vcc, 0, v8
	v_cndmask_b32_e64 v8, v15, v13, s[0:1]
	v_cndmask_b32_e64 v12, v16, v14, s[0:1]
	v_cndmask_b32_e32 v3, v3, v8, vcc
	v_xor_b32_e32 v9, s31, v7
	v_xor_b32_e32 v7, s30, v7
	v_cndmask_b32_e32 v5, v5, v12, vcc
	v_xor_b32_e32 v3, v3, v7
	v_xor_b32_e32 v5, v5, v9
	v_sub_co_u32_e32 v8, vcc, v3, v7
	v_subb_co_u32_e32 v9, vcc, v5, v9, vcc
.LBB8_18:                               ;   in Loop: Header=BB8_16 Depth=2
	s_andn2_saveexec_b64 s[0:1], s[28:29]
	s_cbranch_execz .LBB8_15
; %bb.19:                               ;   in Loop: Header=BB8_16 Depth=2
	v_cvt_f32_u32_e32 v3, s37
	s_sub_i32 s28, 0, s37
	v_mov_b32_e32 v9, v2
	v_rcp_iflag_f32_e32 v3, v3
	v_mul_f32_e32 v3, 0x4f7ffffe, v3
	v_cvt_u32_f32_e32 v3, v3
	v_mul_lo_u32 v5, s28, v3
	v_mul_hi_u32 v5, v3, v5
	v_add_u32_e32 v3, v3, v5
	v_mul_hi_u32 v3, v10, v3
	v_mul_lo_u32 v5, v3, s37
	v_sub_u32_e32 v5, v10, v5
	v_add_u32_e32 v7, 1, v3
	v_subrev_u32_e32 v8, s37, v5
	v_cmp_le_u32_e32 vcc, s37, v5
	v_cndmask_b32_e32 v5, v5, v8, vcc
	v_cndmask_b32_e32 v3, v3, v7, vcc
	v_add_u32_e32 v7, 1, v3
	v_cmp_le_u32_e32 vcc, s37, v5
	v_cndmask_b32_e32 v8, v3, v7, vcc
	s_branch .LBB8_15
.LBB8_20:                               ;   in Loop: Header=BB8_3 Depth=1
	s_mov_b32 s16, s45
.LBB8_21:                               ;   in Loop: Header=BB8_3 Depth=1
	s_andn2_b64 vcc, exec, s[20:21]
	s_cbranch_vccnz .LBB8_57
; %bb.22:                               ;   in Loop: Header=BB8_3 Depth=1
	s_add_i32 s26, s16, -7
.LBB8_23:                               ;   Parent Loop BB8_3 Depth=1
                                        ; =>  This Inner Loop Header: Depth=2
	s_add_i32 s16, s26, 7
	s_lshl_b64 s[28:29], s[16:17], 2
	s_add_u32 s0, s39, s28
	s_addc_u32 s1, s40, s29
	s_load_dword s50, s[0:1], 0x0
                                        ; implicit-def: $vgpr10_vgpr11
	s_waitcnt lgkmcnt(0)
	s_ashr_i32 s0, s50, 31
	v_or_b32_e32 v3, s0, v9
	v_cmp_ne_u64_e32 vcc, 0, v[2:3]
	s_and_saveexec_b64 s[30:31], vcc
	s_xor_b64 s[30:31], exec, s[30:31]
	s_cbranch_execz .LBB8_25
; %bb.24:                               ;   in Loop: Header=BB8_23 Depth=2
	s_add_u32 s36, s50, s0
	s_mov_b32 s34, s0
	s_mov_b32 s35, s0
	s_addc_u32 s37, s0, s0
	s_xor_b64 s[36:37], s[36:37], s[34:35]
	v_cvt_f32_u32_e32 v3, s36
	v_cvt_f32_u32_e32 v5, s37
	s_sub_u32 s0, 0, s36
	s_subb_u32 s1, 0, s37
	v_mac_f32_e32 v3, 0x4f800000, v5
	v_rcp_f32_e32 v3, v3
	v_mul_f32_e32 v3, 0x5f7ffffc, v3
	v_mul_f32_e32 v5, 0x2f800000, v3
	v_trunc_f32_e32 v5, v5
	v_mac_f32_e32 v3, 0xcf800000, v5
	v_cvt_u32_f32_e32 v5, v5
	v_cvt_u32_f32_e32 v3, v3
	v_mul_lo_u32 v7, s0, v5
	v_mul_hi_u32 v11, s0, v3
	v_mul_lo_u32 v10, s1, v3
	v_add_u32_e32 v7, v11, v7
	v_mul_lo_u32 v12, s0, v3
	v_add_u32_e32 v7, v7, v10
	v_mul_lo_u32 v11, v3, v7
	v_mul_hi_u32 v13, v3, v12
	v_mul_hi_u32 v10, v3, v7
	v_add_co_u32_e32 v11, vcc, v13, v11
	v_addc_co_u32_e32 v10, vcc, 0, v10, vcc
	v_mul_hi_u32 v14, v5, v12
	v_mul_lo_u32 v12, v5, v12
	v_add_co_u32_e32 v11, vcc, v11, v12
	v_mul_hi_u32 v13, v5, v7
	v_addc_co_u32_e32 v10, vcc, v10, v14, vcc
	v_addc_co_u32_e32 v11, vcc, 0, v13, vcc
	v_mul_lo_u32 v7, v5, v7
	v_add_co_u32_e32 v7, vcc, v10, v7
	v_addc_co_u32_e32 v10, vcc, 0, v11, vcc
	v_add_co_u32_e32 v3, vcc, v3, v7
	v_addc_co_u32_e32 v5, vcc, v5, v10, vcc
	v_mul_lo_u32 v7, s0, v5
	v_mul_hi_u32 v10, s0, v3
	v_add_u32_e32 v7, v10, v7
	v_mul_lo_u32 v10, s1, v3
	v_add_u32_e32 v7, v7, v10
	v_mul_lo_u32 v11, s0, v3
	v_mul_hi_u32 v12, v5, v11
	v_mul_lo_u32 v13, v5, v11
	v_mul_lo_u32 v15, v3, v7
	v_mul_hi_u32 v11, v3, v11
	v_mul_hi_u32 v14, v3, v7
	v_add_co_u32_e32 v11, vcc, v11, v15
	v_addc_co_u32_e32 v14, vcc, 0, v14, vcc
	v_add_co_u32_e32 v11, vcc, v11, v13
	v_mul_hi_u32 v10, v5, v7
	v_addc_co_u32_e32 v11, vcc, v14, v12, vcc
	v_addc_co_u32_e32 v10, vcc, 0, v10, vcc
	v_mul_lo_u32 v7, v5, v7
	v_add_co_u32_e32 v7, vcc, v11, v7
	v_addc_co_u32_e32 v10, vcc, 0, v10, vcc
	v_add_co_u32_e32 v3, vcc, v3, v7
	v_addc_co_u32_e32 v5, vcc, v5, v10, vcc
	v_ashrrev_i32_e32 v7, 31, v9
	v_add_co_u32_e32 v10, vcc, v8, v7
	v_xor_b32_e32 v14, v10, v7
	v_addc_co_u32_e32 v9, vcc, v9, v7, vcc
	v_mad_u64_u32 v[10:11], s[0:1], v14, v5, 0
	v_mul_hi_u32 v12, v14, v3
	v_xor_b32_e32 v9, v9, v7
	v_add_co_u32_e32 v15, vcc, v12, v10
	v_addc_co_u32_e32 v16, vcc, 0, v11, vcc
	v_mad_u64_u32 v[12:13], s[0:1], v9, v3, 0
	v_add_co_u32_e32 v3, vcc, v15, v12
	v_mad_u64_u32 v[10:11], s[0:1], v9, v5, 0
	v_addc_co_u32_e32 v3, vcc, v16, v13, vcc
	v_addc_co_u32_e32 v5, vcc, 0, v11, vcc
	v_add_co_u32_e32 v3, vcc, v3, v10
	v_addc_co_u32_e32 v5, vcc, 0, v5, vcc
	v_mul_lo_u32 v12, s37, v3
	v_mul_lo_u32 v13, s36, v5
	v_mad_u64_u32 v[10:11], s[0:1], s36, v3, 0
	v_add3_u32 v11, v11, v13, v12
	v_sub_u32_e32 v12, v9, v11
	v_mov_b32_e32 v13, s37
	v_sub_co_u32_e32 v10, vcc, v14, v10
	v_subb_co_u32_e64 v12, s[0:1], v12, v13, vcc
	v_subrev_co_u32_e64 v13, s[0:1], s36, v10
	v_subbrev_co_u32_e64 v12, s[0:1], 0, v12, s[0:1]
	v_cmp_le_u32_e64 s[0:1], s37, v12
	v_cndmask_b32_e64 v14, 0, -1, s[0:1]
	v_cmp_le_u32_e64 s[0:1], s36, v13
	v_cndmask_b32_e64 v13, 0, -1, s[0:1]
	v_cmp_eq_u32_e64 s[0:1], s37, v12
	v_cndmask_b32_e64 v12, v14, v13, s[0:1]
	v_add_co_u32_e64 v13, s[0:1], 2, v3
	v_subb_co_u32_e32 v9, vcc, v9, v11, vcc
	v_addc_co_u32_e64 v14, s[0:1], 0, v5, s[0:1]
	v_cmp_le_u32_e32 vcc, s37, v9
	v_add_co_u32_e64 v15, s[0:1], 1, v3
	v_cndmask_b32_e64 v11, 0, -1, vcc
	v_cmp_le_u32_e32 vcc, s36, v10
	v_addc_co_u32_e64 v16, s[0:1], 0, v5, s[0:1]
	v_cndmask_b32_e64 v10, 0, -1, vcc
	v_cmp_eq_u32_e32 vcc, s37, v9
	v_cmp_ne_u32_e64 s[0:1], 0, v12
	v_cndmask_b32_e32 v9, v11, v10, vcc
	v_cmp_ne_u32_e32 vcc, 0, v9
	v_cndmask_b32_e64 v9, v15, v13, s[0:1]
	v_cndmask_b32_e64 v12, v16, v14, s[0:1]
	v_cndmask_b32_e32 v3, v3, v9, vcc
	v_xor_b32_e32 v9, s35, v7
	v_xor_b32_e32 v7, s34, v7
	v_cndmask_b32_e32 v5, v5, v12, vcc
	v_xor_b32_e32 v3, v3, v7
	v_xor_b32_e32 v5, v5, v9
	v_sub_co_u32_e32 v10, vcc, v3, v7
	v_subb_co_u32_e32 v11, vcc, v5, v9, vcc
.LBB8_25:                               ;   in Loop: Header=BB8_23 Depth=2
	s_andn2_saveexec_b64 s[0:1], s[30:31]
	s_cbranch_execz .LBB8_27
; %bb.26:                               ;   in Loop: Header=BB8_23 Depth=2
	v_cvt_f32_u32_e32 v3, s50
	s_sub_i32 s16, 0, s50
	v_mov_b32_e32 v11, v2
	v_rcp_iflag_f32_e32 v3, v3
	v_mul_f32_e32 v3, 0x4f7ffffe, v3
	v_cvt_u32_f32_e32 v3, v3
	v_mul_lo_u32 v5, s16, v3
	v_mul_hi_u32 v5, v3, v5
	v_add_u32_e32 v3, v3, v5
	v_mul_hi_u32 v3, v8, v3
	v_mul_lo_u32 v5, v3, s50
	v_sub_u32_e32 v5, v8, v5
	v_add_u32_e32 v7, 1, v3
	v_subrev_u32_e32 v9, s50, v5
	v_cmp_le_u32_e32 vcc, s50, v5
	v_cndmask_b32_e32 v5, v5, v9, vcc
	v_cndmask_b32_e32 v3, v3, v7, vcc
	v_add_u32_e32 v7, 1, v3
	v_cmp_le_u32_e32 vcc, s50, v5
	v_cndmask_b32_e32 v10, v3, v7, vcc
.LBB8_27:                               ;   in Loop: Header=BB8_23 Depth=2
	s_or_b64 exec, exec, s[0:1]
	s_add_u32 s0, s43, s28
	s_addc_u32 s1, s44, s29
	s_add_i32 s16, s26, 6
	s_lshl_b64 s[28:29], s[16:17], 2
	s_add_u32 s30, s39, s28
	s_addc_u32 s31, s40, s29
	s_load_dword s51, s[30:31], 0x0
	s_load_dword s52, s[0:1], 0x0
                                        ; implicit-def: $vgpr12_vgpr13
	s_waitcnt lgkmcnt(0)
	s_ashr_i32 s0, s51, 31
	v_or_b32_e32 v3, s0, v11
	v_cmp_ne_u64_e32 vcc, 0, v[2:3]
	s_and_saveexec_b64 s[30:31], vcc
	s_xor_b64 s[30:31], exec, s[30:31]
	s_cbranch_execz .LBB8_29
; %bb.28:                               ;   in Loop: Header=BB8_23 Depth=2
	s_add_u32 s36, s51, s0
	s_mov_b32 s34, s0
	s_mov_b32 s35, s0
	s_addc_u32 s37, s0, s0
	s_xor_b64 s[36:37], s[36:37], s[34:35]
	v_cvt_f32_u32_e32 v3, s36
	v_cvt_f32_u32_e32 v5, s37
	s_sub_u32 s0, 0, s36
	s_subb_u32 s1, 0, s37
	v_mac_f32_e32 v3, 0x4f800000, v5
	v_rcp_f32_e32 v3, v3
	v_mul_f32_e32 v3, 0x5f7ffffc, v3
	v_mul_f32_e32 v5, 0x2f800000, v3
	v_trunc_f32_e32 v5, v5
	v_mac_f32_e32 v3, 0xcf800000, v5
	v_cvt_u32_f32_e32 v5, v5
	v_cvt_u32_f32_e32 v3, v3
	v_mul_lo_u32 v7, s0, v5
	v_mul_hi_u32 v12, s0, v3
	v_mul_lo_u32 v9, s1, v3
	v_add_u32_e32 v7, v12, v7
	v_mul_lo_u32 v13, s0, v3
	v_add_u32_e32 v7, v7, v9
	v_mul_lo_u32 v12, v3, v7
	v_mul_hi_u32 v14, v3, v13
	v_mul_hi_u32 v9, v3, v7
	v_add_co_u32_e32 v12, vcc, v14, v12
	v_addc_co_u32_e32 v9, vcc, 0, v9, vcc
	v_mul_hi_u32 v15, v5, v13
	v_mul_lo_u32 v13, v5, v13
	v_add_co_u32_e32 v12, vcc, v12, v13
	v_mul_hi_u32 v14, v5, v7
	v_addc_co_u32_e32 v9, vcc, v9, v15, vcc
	v_addc_co_u32_e32 v12, vcc, 0, v14, vcc
	v_mul_lo_u32 v7, v5, v7
	v_add_co_u32_e32 v7, vcc, v9, v7
	v_addc_co_u32_e32 v9, vcc, 0, v12, vcc
	v_add_co_u32_e32 v3, vcc, v3, v7
	v_addc_co_u32_e32 v5, vcc, v5, v9, vcc
	v_mul_lo_u32 v7, s0, v5
	v_mul_hi_u32 v9, s0, v3
	v_add_u32_e32 v7, v9, v7
	v_mul_lo_u32 v9, s1, v3
	v_add_u32_e32 v7, v7, v9
	v_mul_lo_u32 v12, s0, v3
	v_mul_hi_u32 v13, v5, v12
	v_mul_lo_u32 v14, v5, v12
	v_mul_lo_u32 v16, v3, v7
	v_mul_hi_u32 v12, v3, v12
	v_mul_hi_u32 v15, v3, v7
	v_add_co_u32_e32 v12, vcc, v12, v16
	v_addc_co_u32_e32 v15, vcc, 0, v15, vcc
	v_add_co_u32_e32 v12, vcc, v12, v14
	v_mul_hi_u32 v9, v5, v7
	v_addc_co_u32_e32 v12, vcc, v15, v13, vcc
	v_addc_co_u32_e32 v9, vcc, 0, v9, vcc
	v_mul_lo_u32 v7, v5, v7
	v_add_co_u32_e32 v7, vcc, v12, v7
	v_addc_co_u32_e32 v9, vcc, 0, v9, vcc
	v_add_co_u32_e32 v3, vcc, v3, v7
	v_addc_co_u32_e32 v5, vcc, v5, v9, vcc
	v_ashrrev_i32_e32 v7, 31, v11
	v_add_co_u32_e32 v9, vcc, v10, v7
	v_xor_b32_e32 v9, v9, v7
	v_addc_co_u32_e32 v11, vcc, v11, v7, vcc
	v_mad_u64_u32 v[12:13], s[0:1], v9, v5, 0
	v_mul_hi_u32 v14, v9, v3
	v_xor_b32_e32 v11, v11, v7
	v_add_co_u32_e32 v16, vcc, v14, v12
	v_addc_co_u32_e32 v17, vcc, 0, v13, vcc
	v_mad_u64_u32 v[14:15], s[0:1], v11, v3, 0
	v_add_co_u32_e32 v3, vcc, v16, v14
	v_mad_u64_u32 v[12:13], s[0:1], v11, v5, 0
	v_addc_co_u32_e32 v3, vcc, v17, v15, vcc
	v_addc_co_u32_e32 v5, vcc, 0, v13, vcc
	v_add_co_u32_e32 v3, vcc, v3, v12
	v_addc_co_u32_e32 v5, vcc, 0, v5, vcc
	v_mul_lo_u32 v14, s37, v3
	v_mul_lo_u32 v15, s36, v5
	v_mad_u64_u32 v[12:13], s[0:1], s36, v3, 0
	v_add3_u32 v13, v13, v15, v14
	v_sub_u32_e32 v14, v11, v13
	v_mov_b32_e32 v15, s37
	v_sub_co_u32_e32 v9, vcc, v9, v12
	v_subb_co_u32_e64 v12, s[0:1], v14, v15, vcc
	v_subrev_co_u32_e64 v14, s[0:1], s36, v9
	v_subbrev_co_u32_e64 v12, s[0:1], 0, v12, s[0:1]
	v_cmp_le_u32_e64 s[0:1], s37, v12
	v_cndmask_b32_e64 v15, 0, -1, s[0:1]
	v_cmp_le_u32_e64 s[0:1], s36, v14
	v_cndmask_b32_e64 v14, 0, -1, s[0:1]
	v_cmp_eq_u32_e64 s[0:1], s37, v12
	v_cndmask_b32_e64 v12, v15, v14, s[0:1]
	v_add_co_u32_e64 v14, s[0:1], 2, v3
	v_subb_co_u32_e32 v11, vcc, v11, v13, vcc
	v_addc_co_u32_e64 v15, s[0:1], 0, v5, s[0:1]
	v_cmp_le_u32_e32 vcc, s37, v11
	v_add_co_u32_e64 v16, s[0:1], 1, v3
	v_cndmask_b32_e64 v13, 0, -1, vcc
	v_cmp_le_u32_e32 vcc, s36, v9
	v_addc_co_u32_e64 v17, s[0:1], 0, v5, s[0:1]
	v_cndmask_b32_e64 v9, 0, -1, vcc
	v_cmp_eq_u32_e32 vcc, s37, v11
	v_cmp_ne_u32_e64 s[0:1], 0, v12
	v_cndmask_b32_e32 v9, v13, v9, vcc
	v_cmp_ne_u32_e32 vcc, 0, v9
	v_cndmask_b32_e64 v9, v16, v14, s[0:1]
	v_cndmask_b32_e64 v12, v17, v15, s[0:1]
	v_cndmask_b32_e32 v3, v3, v9, vcc
	v_xor_b32_e32 v9, s35, v7
	v_xor_b32_e32 v7, s34, v7
	v_cndmask_b32_e32 v5, v5, v12, vcc
	v_xor_b32_e32 v3, v3, v7
	v_xor_b32_e32 v5, v5, v9
	v_sub_co_u32_e32 v12, vcc, v3, v7
	v_subb_co_u32_e32 v13, vcc, v5, v9, vcc
.LBB8_29:                               ;   in Loop: Header=BB8_23 Depth=2
	s_andn2_saveexec_b64 s[0:1], s[30:31]
	s_cbranch_execz .LBB8_31
; %bb.30:                               ;   in Loop: Header=BB8_23 Depth=2
	v_cvt_f32_u32_e32 v3, s51
	s_sub_i32 s16, 0, s51
	v_mov_b32_e32 v13, v2
	v_rcp_iflag_f32_e32 v3, v3
	v_mul_f32_e32 v3, 0x4f7ffffe, v3
	v_cvt_u32_f32_e32 v3, v3
	v_mul_lo_u32 v5, s16, v3
	v_mul_hi_u32 v5, v3, v5
	v_add_u32_e32 v3, v3, v5
	v_mul_hi_u32 v3, v10, v3
	v_mul_lo_u32 v5, v3, s51
	v_sub_u32_e32 v5, v10, v5
	v_add_u32_e32 v7, 1, v3
	v_subrev_u32_e32 v9, s51, v5
	v_cmp_le_u32_e32 vcc, s51, v5
	v_cndmask_b32_e32 v5, v5, v9, vcc
	v_cndmask_b32_e32 v3, v3, v7, vcc
	v_add_u32_e32 v7, 1, v3
	v_cmp_le_u32_e32 vcc, s51, v5
	v_cndmask_b32_e32 v12, v3, v7, vcc
.LBB8_31:                               ;   in Loop: Header=BB8_23 Depth=2
	s_or_b64 exec, exec, s[0:1]
	s_add_u32 s0, s43, s28
	s_addc_u32 s1, s44, s29
	s_add_i32 s16, s26, 5
	s_lshl_b64 s[28:29], s[16:17], 2
	s_add_u32 s30, s39, s28
	s_addc_u32 s31, s40, s29
	s_load_dword s53, s[30:31], 0x0
	s_load_dword s54, s[0:1], 0x0
                                        ; implicit-def: $vgpr14_vgpr15
	s_waitcnt lgkmcnt(0)
	s_ashr_i32 s0, s53, 31
	v_or_b32_e32 v3, s0, v13
	v_cmp_ne_u64_e32 vcc, 0, v[2:3]
	s_and_saveexec_b64 s[30:31], vcc
	s_xor_b64 s[30:31], exec, s[30:31]
	s_cbranch_execz .LBB8_33
; %bb.32:                               ;   in Loop: Header=BB8_23 Depth=2
	s_add_u32 s36, s53, s0
	s_mov_b32 s34, s0
	s_mov_b32 s35, s0
	s_addc_u32 s37, s0, s0
	s_xor_b64 s[36:37], s[36:37], s[34:35]
	v_cvt_f32_u32_e32 v3, s36
	v_cvt_f32_u32_e32 v5, s37
	s_sub_u32 s0, 0, s36
	s_subb_u32 s1, 0, s37
	v_mac_f32_e32 v3, 0x4f800000, v5
	v_rcp_f32_e32 v3, v3
	v_mul_f32_e32 v3, 0x5f7ffffc, v3
	v_mul_f32_e32 v5, 0x2f800000, v3
	v_trunc_f32_e32 v5, v5
	v_mac_f32_e32 v3, 0xcf800000, v5
	v_cvt_u32_f32_e32 v5, v5
	v_cvt_u32_f32_e32 v3, v3
	v_mul_lo_u32 v7, s0, v5
	v_mul_hi_u32 v11, s0, v3
	v_mul_lo_u32 v9, s1, v3
	v_add_u32_e32 v7, v11, v7
	v_mul_lo_u32 v14, s0, v3
	v_add_u32_e32 v7, v7, v9
	v_mul_lo_u32 v11, v3, v7
	v_mul_hi_u32 v15, v3, v14
	v_mul_hi_u32 v9, v3, v7
	v_add_co_u32_e32 v11, vcc, v15, v11
	v_addc_co_u32_e32 v9, vcc, 0, v9, vcc
	v_mul_hi_u32 v16, v5, v14
	v_mul_lo_u32 v14, v5, v14
	v_add_co_u32_e32 v11, vcc, v11, v14
	v_mul_hi_u32 v15, v5, v7
	v_addc_co_u32_e32 v9, vcc, v9, v16, vcc
	v_addc_co_u32_e32 v11, vcc, 0, v15, vcc
	v_mul_lo_u32 v7, v5, v7
	v_add_co_u32_e32 v7, vcc, v9, v7
	v_addc_co_u32_e32 v9, vcc, 0, v11, vcc
	v_add_co_u32_e32 v3, vcc, v3, v7
	v_addc_co_u32_e32 v5, vcc, v5, v9, vcc
	v_mul_lo_u32 v7, s0, v5
	v_mul_hi_u32 v9, s0, v3
	v_add_u32_e32 v7, v9, v7
	v_mul_lo_u32 v9, s1, v3
	v_add_u32_e32 v7, v7, v9
	v_mul_lo_u32 v11, s0, v3
	v_mul_hi_u32 v14, v5, v11
	v_mul_lo_u32 v15, v5, v11
	v_mul_lo_u32 v17, v3, v7
	v_mul_hi_u32 v11, v3, v11
	v_mul_hi_u32 v16, v3, v7
	v_add_co_u32_e32 v11, vcc, v11, v17
	v_addc_co_u32_e32 v16, vcc, 0, v16, vcc
	v_add_co_u32_e32 v11, vcc, v11, v15
	v_mul_hi_u32 v9, v5, v7
	v_addc_co_u32_e32 v11, vcc, v16, v14, vcc
	v_addc_co_u32_e32 v9, vcc, 0, v9, vcc
	v_mul_lo_u32 v7, v5, v7
	v_add_co_u32_e32 v7, vcc, v11, v7
	v_addc_co_u32_e32 v9, vcc, 0, v9, vcc
	v_add_co_u32_e32 v3, vcc, v3, v7
	v_addc_co_u32_e32 v5, vcc, v5, v9, vcc
	v_ashrrev_i32_e32 v7, 31, v13
	v_add_co_u32_e32 v9, vcc, v12, v7
	v_xor_b32_e32 v9, v9, v7
	v_addc_co_u32_e32 v11, vcc, v13, v7, vcc
	v_mad_u64_u32 v[14:15], s[0:1], v9, v5, 0
	v_mul_hi_u32 v13, v9, v3
	v_xor_b32_e32 v11, v11, v7
	v_add_co_u32_e32 v13, vcc, v13, v14
	v_addc_co_u32_e32 v18, vcc, 0, v15, vcc
	v_mad_u64_u32 v[16:17], s[0:1], v11, v3, 0
	v_add_co_u32_e32 v3, vcc, v13, v16
	v_mad_u64_u32 v[14:15], s[0:1], v11, v5, 0
	v_addc_co_u32_e32 v3, vcc, v18, v17, vcc
	v_addc_co_u32_e32 v5, vcc, 0, v15, vcc
	v_add_co_u32_e32 v3, vcc, v3, v14
	v_addc_co_u32_e32 v5, vcc, 0, v5, vcc
	v_mul_lo_u32 v13, s37, v3
	v_mul_lo_u32 v16, s36, v5
	v_mad_u64_u32 v[14:15], s[0:1], s36, v3, 0
	v_add3_u32 v13, v15, v16, v13
	v_sub_u32_e32 v15, v11, v13
	v_mov_b32_e32 v16, s37
	v_sub_co_u32_e32 v9, vcc, v9, v14
	v_subb_co_u32_e64 v14, s[0:1], v15, v16, vcc
	v_subrev_co_u32_e64 v15, s[0:1], s36, v9
	v_subbrev_co_u32_e64 v14, s[0:1], 0, v14, s[0:1]
	v_cmp_le_u32_e64 s[0:1], s37, v14
	v_cndmask_b32_e64 v16, 0, -1, s[0:1]
	v_cmp_le_u32_e64 s[0:1], s36, v15
	v_cndmask_b32_e64 v15, 0, -1, s[0:1]
	v_cmp_eq_u32_e64 s[0:1], s37, v14
	v_cndmask_b32_e64 v14, v16, v15, s[0:1]
	v_add_co_u32_e64 v15, s[0:1], 2, v3
	v_subb_co_u32_e32 v11, vcc, v11, v13, vcc
	v_addc_co_u32_e64 v16, s[0:1], 0, v5, s[0:1]
	v_cmp_le_u32_e32 vcc, s37, v11
	v_add_co_u32_e64 v17, s[0:1], 1, v3
	v_cndmask_b32_e64 v13, 0, -1, vcc
	v_cmp_le_u32_e32 vcc, s36, v9
	v_addc_co_u32_e64 v18, s[0:1], 0, v5, s[0:1]
	v_cndmask_b32_e64 v9, 0, -1, vcc
	v_cmp_eq_u32_e32 vcc, s37, v11
	v_cmp_ne_u32_e64 s[0:1], 0, v14
	v_cndmask_b32_e32 v9, v13, v9, vcc
	v_cmp_ne_u32_e32 vcc, 0, v9
	v_cndmask_b32_e64 v9, v17, v15, s[0:1]
	v_cndmask_b32_e64 v14, v18, v16, s[0:1]
	v_cndmask_b32_e32 v3, v3, v9, vcc
	v_xor_b32_e32 v9, s35, v7
	v_xor_b32_e32 v7, s34, v7
	v_cndmask_b32_e32 v5, v5, v14, vcc
	v_xor_b32_e32 v3, v3, v7
	v_xor_b32_e32 v5, v5, v9
	v_sub_co_u32_e32 v14, vcc, v3, v7
	v_subb_co_u32_e32 v15, vcc, v5, v9, vcc
.LBB8_33:                               ;   in Loop: Header=BB8_23 Depth=2
	s_andn2_saveexec_b64 s[0:1], s[30:31]
	s_cbranch_execz .LBB8_35
; %bb.34:                               ;   in Loop: Header=BB8_23 Depth=2
	v_cvt_f32_u32_e32 v3, s53
	s_sub_i32 s16, 0, s53
	v_mov_b32_e32 v15, v2
	v_rcp_iflag_f32_e32 v3, v3
	v_mul_f32_e32 v3, 0x4f7ffffe, v3
	v_cvt_u32_f32_e32 v3, v3
	v_mul_lo_u32 v5, s16, v3
	v_mul_hi_u32 v5, v3, v5
	v_add_u32_e32 v3, v3, v5
	v_mul_hi_u32 v3, v12, v3
	v_mul_lo_u32 v5, v3, s53
	v_sub_u32_e32 v5, v12, v5
	v_add_u32_e32 v7, 1, v3
	v_subrev_u32_e32 v9, s53, v5
	v_cmp_le_u32_e32 vcc, s53, v5
	v_cndmask_b32_e32 v5, v5, v9, vcc
	v_cndmask_b32_e32 v3, v3, v7, vcc
	v_add_u32_e32 v7, 1, v3
	v_cmp_le_u32_e32 vcc, s53, v5
	v_cndmask_b32_e32 v14, v3, v7, vcc
.LBB8_35:                               ;   in Loop: Header=BB8_23 Depth=2
	s_or_b64 exec, exec, s[0:1]
	s_add_u32 s0, s43, s28
	s_addc_u32 s1, s44, s29
	s_add_i32 s16, s26, 4
	s_lshl_b64 s[28:29], s[16:17], 2
	s_add_u32 s30, s39, s28
	s_addc_u32 s31, s40, s29
	s_load_dword s55, s[30:31], 0x0
	s_load_dword s56, s[0:1], 0x0
                                        ; implicit-def: $vgpr16_vgpr17
	s_waitcnt lgkmcnt(0)
	s_ashr_i32 s0, s55, 31
	v_or_b32_e32 v3, s0, v15
	v_cmp_ne_u64_e32 vcc, 0, v[2:3]
	s_and_saveexec_b64 s[30:31], vcc
	s_xor_b64 s[30:31], exec, s[30:31]
	s_cbranch_execz .LBB8_37
; %bb.36:                               ;   in Loop: Header=BB8_23 Depth=2
	s_add_u32 s36, s55, s0
	s_mov_b32 s34, s0
	s_mov_b32 s35, s0
	s_addc_u32 s37, s0, s0
	s_xor_b64 s[36:37], s[36:37], s[34:35]
	v_cvt_f32_u32_e32 v3, s36
	v_cvt_f32_u32_e32 v5, s37
	s_sub_u32 s0, 0, s36
	s_subb_u32 s1, 0, s37
	v_mac_f32_e32 v3, 0x4f800000, v5
	v_rcp_f32_e32 v3, v3
	v_mul_f32_e32 v3, 0x5f7ffffc, v3
	v_mul_f32_e32 v5, 0x2f800000, v3
	v_trunc_f32_e32 v5, v5
	v_mac_f32_e32 v3, 0xcf800000, v5
	v_cvt_u32_f32_e32 v5, v5
	v_cvt_u32_f32_e32 v3, v3
	v_mul_lo_u32 v7, s0, v5
	v_mul_hi_u32 v11, s0, v3
	v_mul_lo_u32 v9, s1, v3
	v_add_u32_e32 v7, v11, v7
	v_mul_lo_u32 v13, s0, v3
	v_add_u32_e32 v7, v7, v9
	v_mul_lo_u32 v11, v3, v7
	v_mul_hi_u32 v16, v3, v13
	v_mul_hi_u32 v9, v3, v7
	v_add_co_u32_e32 v11, vcc, v16, v11
	v_addc_co_u32_e32 v9, vcc, 0, v9, vcc
	v_mul_hi_u32 v17, v5, v13
	v_mul_lo_u32 v13, v5, v13
	v_add_co_u32_e32 v11, vcc, v11, v13
	v_mul_hi_u32 v16, v5, v7
	v_addc_co_u32_e32 v9, vcc, v9, v17, vcc
	v_addc_co_u32_e32 v11, vcc, 0, v16, vcc
	v_mul_lo_u32 v7, v5, v7
	v_add_co_u32_e32 v7, vcc, v9, v7
	v_addc_co_u32_e32 v9, vcc, 0, v11, vcc
	v_add_co_u32_e32 v3, vcc, v3, v7
	v_addc_co_u32_e32 v5, vcc, v5, v9, vcc
	v_mul_lo_u32 v7, s0, v5
	v_mul_hi_u32 v9, s0, v3
	v_add_u32_e32 v7, v9, v7
	v_mul_lo_u32 v9, s1, v3
	v_add_u32_e32 v7, v7, v9
	v_mul_lo_u32 v11, s0, v3
	v_mul_hi_u32 v13, v5, v11
	v_mul_lo_u32 v16, v5, v11
	v_mul_lo_u32 v18, v3, v7
	v_mul_hi_u32 v11, v3, v11
	v_mul_hi_u32 v17, v3, v7
	v_add_co_u32_e32 v11, vcc, v11, v18
	v_addc_co_u32_e32 v17, vcc, 0, v17, vcc
	v_add_co_u32_e32 v11, vcc, v11, v16
	v_mul_hi_u32 v9, v5, v7
	v_addc_co_u32_e32 v11, vcc, v17, v13, vcc
	v_addc_co_u32_e32 v9, vcc, 0, v9, vcc
	v_mul_lo_u32 v7, v5, v7
	v_add_co_u32_e32 v7, vcc, v11, v7
	v_addc_co_u32_e32 v9, vcc, 0, v9, vcc
	v_add_co_u32_e32 v3, vcc, v3, v7
	v_addc_co_u32_e32 v5, vcc, v5, v9, vcc
	v_ashrrev_i32_e32 v7, 31, v15
	v_add_co_u32_e32 v9, vcc, v14, v7
	v_xor_b32_e32 v9, v9, v7
	v_addc_co_u32_e32 v11, vcc, v15, v7, vcc
	v_mad_u64_u32 v[16:17], s[0:1], v9, v5, 0
	v_mul_hi_u32 v13, v9, v3
	v_xor_b32_e32 v11, v11, v7
	v_add_co_u32_e32 v13, vcc, v13, v16
	v_addc_co_u32_e32 v15, vcc, 0, v17, vcc
	v_mad_u64_u32 v[18:19], s[0:1], v11, v3, 0
	v_add_co_u32_e32 v3, vcc, v13, v18
	v_mad_u64_u32 v[16:17], s[0:1], v11, v5, 0
	v_addc_co_u32_e32 v3, vcc, v15, v19, vcc
	v_addc_co_u32_e32 v5, vcc, 0, v17, vcc
	v_add_co_u32_e32 v3, vcc, v3, v16
	v_addc_co_u32_e32 v5, vcc, 0, v5, vcc
	v_mul_lo_u32 v13, s37, v3
	v_mul_lo_u32 v15, s36, v5
	v_mad_u64_u32 v[16:17], s[0:1], s36, v3, 0
	v_add3_u32 v13, v17, v15, v13
	v_sub_u32_e32 v15, v11, v13
	v_mov_b32_e32 v17, s37
	v_sub_co_u32_e32 v9, vcc, v9, v16
	v_subb_co_u32_e64 v15, s[0:1], v15, v17, vcc
	v_subrev_co_u32_e64 v16, s[0:1], s36, v9
	v_subbrev_co_u32_e64 v15, s[0:1], 0, v15, s[0:1]
	v_cmp_le_u32_e64 s[0:1], s37, v15
	v_cndmask_b32_e64 v17, 0, -1, s[0:1]
	v_cmp_le_u32_e64 s[0:1], s36, v16
	v_cndmask_b32_e64 v16, 0, -1, s[0:1]
	v_cmp_eq_u32_e64 s[0:1], s37, v15
	v_cndmask_b32_e64 v15, v17, v16, s[0:1]
	v_add_co_u32_e64 v16, s[0:1], 2, v3
	v_subb_co_u32_e32 v11, vcc, v11, v13, vcc
	v_addc_co_u32_e64 v17, s[0:1], 0, v5, s[0:1]
	v_cmp_le_u32_e32 vcc, s37, v11
	v_add_co_u32_e64 v18, s[0:1], 1, v3
	v_cndmask_b32_e64 v13, 0, -1, vcc
	v_cmp_le_u32_e32 vcc, s36, v9
	v_addc_co_u32_e64 v19, s[0:1], 0, v5, s[0:1]
	v_cndmask_b32_e64 v9, 0, -1, vcc
	v_cmp_eq_u32_e32 vcc, s37, v11
	v_cmp_ne_u32_e64 s[0:1], 0, v15
	v_cndmask_b32_e32 v9, v13, v9, vcc
	v_cmp_ne_u32_e32 vcc, 0, v9
	v_cndmask_b32_e64 v9, v18, v16, s[0:1]
	v_cndmask_b32_e64 v15, v19, v17, s[0:1]
	v_cndmask_b32_e32 v3, v3, v9, vcc
	v_xor_b32_e32 v9, s35, v7
	v_xor_b32_e32 v7, s34, v7
	v_cndmask_b32_e32 v5, v5, v15, vcc
	v_xor_b32_e32 v3, v3, v7
	v_xor_b32_e32 v5, v5, v9
	v_sub_co_u32_e32 v16, vcc, v3, v7
	v_subb_co_u32_e32 v17, vcc, v5, v9, vcc
.LBB8_37:                               ;   in Loop: Header=BB8_23 Depth=2
	s_andn2_saveexec_b64 s[0:1], s[30:31]
	s_cbranch_execz .LBB8_39
; %bb.38:                               ;   in Loop: Header=BB8_23 Depth=2
	v_cvt_f32_u32_e32 v3, s55
	s_sub_i32 s16, 0, s55
	v_mov_b32_e32 v17, v2
	v_rcp_iflag_f32_e32 v3, v3
	v_mul_f32_e32 v3, 0x4f7ffffe, v3
	v_cvt_u32_f32_e32 v3, v3
	v_mul_lo_u32 v5, s16, v3
	v_mul_hi_u32 v5, v3, v5
	v_add_u32_e32 v3, v3, v5
	v_mul_hi_u32 v3, v14, v3
	v_mul_lo_u32 v5, v3, s55
	v_sub_u32_e32 v5, v14, v5
	v_add_u32_e32 v7, 1, v3
	v_subrev_u32_e32 v9, s55, v5
	v_cmp_le_u32_e32 vcc, s55, v5
	v_cndmask_b32_e32 v5, v5, v9, vcc
	v_cndmask_b32_e32 v3, v3, v7, vcc
	v_add_u32_e32 v7, 1, v3
	v_cmp_le_u32_e32 vcc, s55, v5
	v_cndmask_b32_e32 v16, v3, v7, vcc
.LBB8_39:                               ;   in Loop: Header=BB8_23 Depth=2
	s_or_b64 exec, exec, s[0:1]
	s_add_u32 s0, s43, s28
	s_addc_u32 s1, s44, s29
	s_add_i32 s16, s26, 3
	s_lshl_b64 s[28:29], s[16:17], 2
	s_add_u32 s30, s39, s28
	s_addc_u32 s31, s40, s29
	s_load_dword s57, s[30:31], 0x0
	s_load_dword s58, s[0:1], 0x0
                                        ; implicit-def: $vgpr18_vgpr19
	s_waitcnt lgkmcnt(0)
	s_ashr_i32 s0, s57, 31
	v_or_b32_e32 v3, s0, v17
	v_cmp_ne_u64_e32 vcc, 0, v[2:3]
	s_and_saveexec_b64 s[30:31], vcc
	s_xor_b64 s[30:31], exec, s[30:31]
	s_cbranch_execz .LBB8_41
; %bb.40:                               ;   in Loop: Header=BB8_23 Depth=2
	s_add_u32 s36, s57, s0
	s_mov_b32 s34, s0
	s_mov_b32 s35, s0
	s_addc_u32 s37, s0, s0
	s_xor_b64 s[36:37], s[36:37], s[34:35]
	v_cvt_f32_u32_e32 v3, s36
	v_cvt_f32_u32_e32 v5, s37
	s_sub_u32 s0, 0, s36
	s_subb_u32 s1, 0, s37
	v_mac_f32_e32 v3, 0x4f800000, v5
	v_rcp_f32_e32 v3, v3
	v_mul_f32_e32 v3, 0x5f7ffffc, v3
	v_mul_f32_e32 v5, 0x2f800000, v3
	v_trunc_f32_e32 v5, v5
	v_mac_f32_e32 v3, 0xcf800000, v5
	v_cvt_u32_f32_e32 v5, v5
	v_cvt_u32_f32_e32 v3, v3
	v_mul_lo_u32 v7, s0, v5
	v_mul_hi_u32 v11, s0, v3
	v_mul_lo_u32 v9, s1, v3
	v_add_u32_e32 v7, v11, v7
	v_mul_lo_u32 v13, s0, v3
	v_add_u32_e32 v7, v7, v9
	v_mul_lo_u32 v11, v3, v7
	v_mul_hi_u32 v15, v3, v13
	v_mul_hi_u32 v9, v3, v7
	v_add_co_u32_e32 v11, vcc, v15, v11
	v_addc_co_u32_e32 v9, vcc, 0, v9, vcc
	v_mul_hi_u32 v18, v5, v13
	v_mul_lo_u32 v13, v5, v13
	v_add_co_u32_e32 v11, vcc, v11, v13
	v_mul_hi_u32 v15, v5, v7
	v_addc_co_u32_e32 v9, vcc, v9, v18, vcc
	v_addc_co_u32_e32 v11, vcc, 0, v15, vcc
	v_mul_lo_u32 v7, v5, v7
	v_add_co_u32_e32 v7, vcc, v9, v7
	v_addc_co_u32_e32 v9, vcc, 0, v11, vcc
	v_add_co_u32_e32 v3, vcc, v3, v7
	v_addc_co_u32_e32 v5, vcc, v5, v9, vcc
	v_mul_lo_u32 v7, s0, v5
	v_mul_hi_u32 v9, s0, v3
	v_add_u32_e32 v7, v9, v7
	v_mul_lo_u32 v9, s1, v3
	v_add_u32_e32 v7, v7, v9
	v_mul_lo_u32 v11, s0, v3
	v_mul_hi_u32 v13, v5, v11
	v_mul_lo_u32 v15, v5, v11
	v_mul_lo_u32 v19, v3, v7
	v_mul_hi_u32 v11, v3, v11
	v_mul_hi_u32 v18, v3, v7
	v_add_co_u32_e32 v11, vcc, v11, v19
	v_addc_co_u32_e32 v18, vcc, 0, v18, vcc
	v_add_co_u32_e32 v11, vcc, v11, v15
	v_mul_hi_u32 v9, v5, v7
	v_addc_co_u32_e32 v11, vcc, v18, v13, vcc
	v_addc_co_u32_e32 v9, vcc, 0, v9, vcc
	v_mul_lo_u32 v7, v5, v7
	v_add_co_u32_e32 v7, vcc, v11, v7
	v_addc_co_u32_e32 v9, vcc, 0, v9, vcc
	v_add_co_u32_e32 v3, vcc, v3, v7
	v_addc_co_u32_e32 v5, vcc, v5, v9, vcc
	v_ashrrev_i32_e32 v7, 31, v17
	v_add_co_u32_e32 v9, vcc, v16, v7
	v_xor_b32_e32 v9, v9, v7
	v_addc_co_u32_e32 v11, vcc, v17, v7, vcc
	v_mad_u64_u32 v[18:19], s[0:1], v9, v5, 0
	v_mul_hi_u32 v13, v9, v3
	v_xor_b32_e32 v11, v11, v7
	v_add_co_u32_e32 v13, vcc, v13, v18
	v_addc_co_u32_e32 v15, vcc, 0, v19, vcc
	v_mad_u64_u32 v[20:21], s[0:1], v11, v3, 0
	v_add_co_u32_e32 v3, vcc, v13, v20
	v_mad_u64_u32 v[18:19], s[0:1], v11, v5, 0
	v_addc_co_u32_e32 v3, vcc, v15, v21, vcc
	v_addc_co_u32_e32 v5, vcc, 0, v19, vcc
	v_add_co_u32_e32 v3, vcc, v3, v18
	v_addc_co_u32_e32 v5, vcc, 0, v5, vcc
	v_mul_lo_u32 v13, s37, v3
	v_mul_lo_u32 v15, s36, v5
	v_mad_u64_u32 v[18:19], s[0:1], s36, v3, 0
	v_add3_u32 v13, v19, v15, v13
	v_sub_u32_e32 v15, v11, v13
	v_mov_b32_e32 v17, s37
	v_sub_co_u32_e32 v9, vcc, v9, v18
	v_subb_co_u32_e64 v15, s[0:1], v15, v17, vcc
	v_subrev_co_u32_e64 v17, s[0:1], s36, v9
	v_subbrev_co_u32_e64 v15, s[0:1], 0, v15, s[0:1]
	v_cmp_le_u32_e64 s[0:1], s37, v15
	v_cndmask_b32_e64 v18, 0, -1, s[0:1]
	v_cmp_le_u32_e64 s[0:1], s36, v17
	v_cndmask_b32_e64 v17, 0, -1, s[0:1]
	v_cmp_eq_u32_e64 s[0:1], s37, v15
	v_cndmask_b32_e64 v15, v18, v17, s[0:1]
	v_add_co_u32_e64 v17, s[0:1], 2, v3
	v_subb_co_u32_e32 v11, vcc, v11, v13, vcc
	v_addc_co_u32_e64 v18, s[0:1], 0, v5, s[0:1]
	v_cmp_le_u32_e32 vcc, s37, v11
	v_add_co_u32_e64 v19, s[0:1], 1, v3
	v_cndmask_b32_e64 v13, 0, -1, vcc
	v_cmp_le_u32_e32 vcc, s36, v9
	v_addc_co_u32_e64 v20, s[0:1], 0, v5, s[0:1]
	v_cndmask_b32_e64 v9, 0, -1, vcc
	v_cmp_eq_u32_e32 vcc, s37, v11
	v_cmp_ne_u32_e64 s[0:1], 0, v15
	v_cndmask_b32_e32 v9, v13, v9, vcc
	v_cmp_ne_u32_e32 vcc, 0, v9
	v_cndmask_b32_e64 v9, v19, v17, s[0:1]
	v_cndmask_b32_e64 v15, v20, v18, s[0:1]
	v_cndmask_b32_e32 v3, v3, v9, vcc
	v_xor_b32_e32 v9, s35, v7
	v_xor_b32_e32 v7, s34, v7
	v_cndmask_b32_e32 v5, v5, v15, vcc
	v_xor_b32_e32 v3, v3, v7
	v_xor_b32_e32 v5, v5, v9
	v_sub_co_u32_e32 v18, vcc, v3, v7
	v_subb_co_u32_e32 v19, vcc, v5, v9, vcc
.LBB8_41:                               ;   in Loop: Header=BB8_23 Depth=2
	s_andn2_saveexec_b64 s[0:1], s[30:31]
	s_cbranch_execz .LBB8_43
; %bb.42:                               ;   in Loop: Header=BB8_23 Depth=2
	v_cvt_f32_u32_e32 v3, s57
	s_sub_i32 s16, 0, s57
	v_mov_b32_e32 v19, v2
	v_rcp_iflag_f32_e32 v3, v3
	v_mul_f32_e32 v3, 0x4f7ffffe, v3
	v_cvt_u32_f32_e32 v3, v3
	v_mul_lo_u32 v5, s16, v3
	v_mul_hi_u32 v5, v3, v5
	v_add_u32_e32 v3, v3, v5
	v_mul_hi_u32 v3, v16, v3
	v_mul_lo_u32 v5, v3, s57
	v_sub_u32_e32 v5, v16, v5
	v_add_u32_e32 v7, 1, v3
	v_subrev_u32_e32 v9, s57, v5
	v_cmp_le_u32_e32 vcc, s57, v5
	v_cndmask_b32_e32 v5, v5, v9, vcc
	v_cndmask_b32_e32 v3, v3, v7, vcc
	v_add_u32_e32 v7, 1, v3
	v_cmp_le_u32_e32 vcc, s57, v5
	v_cndmask_b32_e32 v18, v3, v7, vcc
.LBB8_43:                               ;   in Loop: Header=BB8_23 Depth=2
	s_or_b64 exec, exec, s[0:1]
	s_add_u32 s0, s43, s28
	s_addc_u32 s1, s44, s29
	s_add_i32 s16, s26, 2
	s_lshl_b64 s[28:29], s[16:17], 2
	s_add_u32 s30, s39, s28
	s_addc_u32 s31, s40, s29
	s_load_dword s59, s[30:31], 0x0
	s_load_dword s60, s[0:1], 0x0
                                        ; implicit-def: $vgpr20_vgpr21
	s_waitcnt lgkmcnt(0)
	s_ashr_i32 s0, s59, 31
	v_or_b32_e32 v3, s0, v19
	v_cmp_ne_u64_e32 vcc, 0, v[2:3]
	s_and_saveexec_b64 s[30:31], vcc
	s_xor_b64 s[30:31], exec, s[30:31]
	s_cbranch_execz .LBB8_45
; %bb.44:                               ;   in Loop: Header=BB8_23 Depth=2
	s_add_u32 s36, s59, s0
	s_mov_b32 s34, s0
	s_mov_b32 s35, s0
	s_addc_u32 s37, s0, s0
	s_xor_b64 s[36:37], s[36:37], s[34:35]
	v_cvt_f32_u32_e32 v3, s36
	v_cvt_f32_u32_e32 v5, s37
	s_sub_u32 s0, 0, s36
	s_subb_u32 s1, 0, s37
	v_mac_f32_e32 v3, 0x4f800000, v5
	v_rcp_f32_e32 v3, v3
	v_mul_f32_e32 v3, 0x5f7ffffc, v3
	v_mul_f32_e32 v5, 0x2f800000, v3
	v_trunc_f32_e32 v5, v5
	v_mac_f32_e32 v3, 0xcf800000, v5
	v_cvt_u32_f32_e32 v5, v5
	v_cvt_u32_f32_e32 v3, v3
	v_mul_lo_u32 v7, s0, v5
	v_mul_hi_u32 v11, s0, v3
	v_mul_lo_u32 v9, s1, v3
	v_add_u32_e32 v7, v11, v7
	v_mul_lo_u32 v13, s0, v3
	v_add_u32_e32 v7, v7, v9
	v_mul_lo_u32 v11, v3, v7
	v_mul_hi_u32 v15, v3, v13
	v_mul_hi_u32 v9, v3, v7
	v_add_co_u32_e32 v11, vcc, v15, v11
	v_addc_co_u32_e32 v9, vcc, 0, v9, vcc
	v_mul_hi_u32 v17, v5, v13
	v_mul_lo_u32 v13, v5, v13
	v_add_co_u32_e32 v11, vcc, v11, v13
	v_mul_hi_u32 v15, v5, v7
	v_addc_co_u32_e32 v9, vcc, v9, v17, vcc
	v_addc_co_u32_e32 v11, vcc, 0, v15, vcc
	v_mul_lo_u32 v7, v5, v7
	v_add_co_u32_e32 v7, vcc, v9, v7
	v_addc_co_u32_e32 v9, vcc, 0, v11, vcc
	v_add_co_u32_e32 v3, vcc, v3, v7
	v_addc_co_u32_e32 v5, vcc, v5, v9, vcc
	v_mul_lo_u32 v7, s0, v5
	v_mul_hi_u32 v9, s0, v3
	v_add_u32_e32 v7, v9, v7
	v_mul_lo_u32 v9, s1, v3
	v_add_u32_e32 v7, v7, v9
	v_mul_lo_u32 v11, s0, v3
	v_mul_hi_u32 v13, v5, v11
	v_mul_lo_u32 v15, v5, v11
	v_mul_lo_u32 v20, v3, v7
	v_mul_hi_u32 v11, v3, v11
	v_mul_hi_u32 v17, v3, v7
	v_add_co_u32_e32 v11, vcc, v11, v20
	v_addc_co_u32_e32 v17, vcc, 0, v17, vcc
	v_add_co_u32_e32 v11, vcc, v11, v15
	v_mul_hi_u32 v9, v5, v7
	v_addc_co_u32_e32 v11, vcc, v17, v13, vcc
	v_addc_co_u32_e32 v9, vcc, 0, v9, vcc
	v_mul_lo_u32 v7, v5, v7
	v_add_co_u32_e32 v7, vcc, v11, v7
	v_addc_co_u32_e32 v9, vcc, 0, v9, vcc
	v_add_co_u32_e32 v3, vcc, v3, v7
	v_addc_co_u32_e32 v5, vcc, v5, v9, vcc
	v_ashrrev_i32_e32 v7, 31, v19
	v_add_co_u32_e32 v9, vcc, v18, v7
	v_xor_b32_e32 v9, v9, v7
	v_addc_co_u32_e32 v11, vcc, v19, v7, vcc
	v_mad_u64_u32 v[20:21], s[0:1], v9, v5, 0
	v_mul_hi_u32 v13, v9, v3
	v_xor_b32_e32 v11, v11, v7
	v_add_co_u32_e32 v13, vcc, v13, v20
	v_addc_co_u32_e32 v15, vcc, 0, v21, vcc
	v_mad_u64_u32 v[22:23], s[0:1], v11, v3, 0
	v_add_co_u32_e32 v3, vcc, v13, v22
	v_mad_u64_u32 v[20:21], s[0:1], v11, v5, 0
	v_addc_co_u32_e32 v3, vcc, v15, v23, vcc
	v_addc_co_u32_e32 v5, vcc, 0, v21, vcc
	v_add_co_u32_e32 v3, vcc, v3, v20
	v_addc_co_u32_e32 v5, vcc, 0, v5, vcc
	v_mul_lo_u32 v13, s37, v3
	v_mul_lo_u32 v15, s36, v5
	v_mad_u64_u32 v[20:21], s[0:1], s36, v3, 0
	v_add3_u32 v13, v21, v15, v13
	v_sub_u32_e32 v15, v11, v13
	v_mov_b32_e32 v17, s37
	v_sub_co_u32_e32 v9, vcc, v9, v20
	v_subb_co_u32_e64 v15, s[0:1], v15, v17, vcc
	v_subrev_co_u32_e64 v17, s[0:1], s36, v9
	v_subbrev_co_u32_e64 v15, s[0:1], 0, v15, s[0:1]
	v_cmp_le_u32_e64 s[0:1], s37, v15
	v_cndmask_b32_e64 v19, 0, -1, s[0:1]
	v_cmp_le_u32_e64 s[0:1], s36, v17
	v_cndmask_b32_e64 v17, 0, -1, s[0:1]
	v_cmp_eq_u32_e64 s[0:1], s37, v15
	v_cndmask_b32_e64 v15, v19, v17, s[0:1]
	v_add_co_u32_e64 v17, s[0:1], 2, v3
	v_subb_co_u32_e32 v11, vcc, v11, v13, vcc
	v_addc_co_u32_e64 v19, s[0:1], 0, v5, s[0:1]
	v_cmp_le_u32_e32 vcc, s37, v11
	v_add_co_u32_e64 v20, s[0:1], 1, v3
	v_cndmask_b32_e64 v13, 0, -1, vcc
	v_cmp_le_u32_e32 vcc, s36, v9
	v_addc_co_u32_e64 v21, s[0:1], 0, v5, s[0:1]
	v_cndmask_b32_e64 v9, 0, -1, vcc
	v_cmp_eq_u32_e32 vcc, s37, v11
	v_cmp_ne_u32_e64 s[0:1], 0, v15
	v_cndmask_b32_e32 v9, v13, v9, vcc
	v_cmp_ne_u32_e32 vcc, 0, v9
	v_cndmask_b32_e64 v9, v20, v17, s[0:1]
	v_cndmask_b32_e64 v15, v21, v19, s[0:1]
	v_cndmask_b32_e32 v3, v3, v9, vcc
	v_xor_b32_e32 v9, s35, v7
	v_xor_b32_e32 v7, s34, v7
	v_cndmask_b32_e32 v5, v5, v15, vcc
	v_xor_b32_e32 v3, v3, v7
	v_xor_b32_e32 v5, v5, v9
	v_sub_co_u32_e32 v20, vcc, v3, v7
	v_subb_co_u32_e32 v21, vcc, v5, v9, vcc
.LBB8_45:                               ;   in Loop: Header=BB8_23 Depth=2
	s_andn2_saveexec_b64 s[0:1], s[30:31]
	s_cbranch_execz .LBB8_47
; %bb.46:                               ;   in Loop: Header=BB8_23 Depth=2
	v_cvt_f32_u32_e32 v3, s59
	s_sub_i32 s16, 0, s59
	v_mov_b32_e32 v21, v2
	v_rcp_iflag_f32_e32 v3, v3
	v_mul_f32_e32 v3, 0x4f7ffffe, v3
	v_cvt_u32_f32_e32 v3, v3
	v_mul_lo_u32 v5, s16, v3
	v_mul_hi_u32 v5, v3, v5
	v_add_u32_e32 v3, v3, v5
	v_mul_hi_u32 v3, v18, v3
	v_mul_lo_u32 v5, v3, s59
	v_sub_u32_e32 v5, v18, v5
	v_add_u32_e32 v7, 1, v3
	v_subrev_u32_e32 v9, s59, v5
	v_cmp_le_u32_e32 vcc, s59, v5
	v_cndmask_b32_e32 v5, v5, v9, vcc
	v_cndmask_b32_e32 v3, v3, v7, vcc
	v_add_u32_e32 v7, 1, v3
	v_cmp_le_u32_e32 vcc, s59, v5
	v_cndmask_b32_e32 v20, v3, v7, vcc
.LBB8_47:                               ;   in Loop: Header=BB8_23 Depth=2
	s_or_b64 exec, exec, s[0:1]
	s_add_u32 s0, s43, s28
	s_addc_u32 s1, s44, s29
	s_add_i32 s16, s26, 1
	s_lshl_b64 s[28:29], s[16:17], 2
	s_add_u32 s30, s39, s28
	s_addc_u32 s31, s40, s29
	s_load_dword s16, s[30:31], 0x0
	s_load_dword s61, s[0:1], 0x0
                                        ; implicit-def: $vgpr22_vgpr23
	s_waitcnt lgkmcnt(0)
	s_ashr_i32 s0, s16, 31
	v_or_b32_e32 v3, s0, v21
	v_cmp_ne_u64_e32 vcc, 0, v[2:3]
	s_and_saveexec_b64 s[30:31], vcc
	s_xor_b64 s[30:31], exec, s[30:31]
	s_cbranch_execz .LBB8_49
; %bb.48:                               ;   in Loop: Header=BB8_23 Depth=2
	s_add_u32 s36, s16, s0
	s_mov_b32 s34, s0
	s_mov_b32 s35, s0
	s_addc_u32 s37, s0, s0
	s_xor_b64 s[36:37], s[36:37], s[34:35]
	v_cvt_f32_u32_e32 v3, s36
	v_cvt_f32_u32_e32 v5, s37
	s_sub_u32 s0, 0, s36
	s_subb_u32 s1, 0, s37
	v_mac_f32_e32 v3, 0x4f800000, v5
	v_rcp_f32_e32 v3, v3
	v_mul_f32_e32 v3, 0x5f7ffffc, v3
	v_mul_f32_e32 v5, 0x2f800000, v3
	v_trunc_f32_e32 v5, v5
	v_mac_f32_e32 v3, 0xcf800000, v5
	v_cvt_u32_f32_e32 v5, v5
	v_cvt_u32_f32_e32 v3, v3
	v_mul_lo_u32 v7, s0, v5
	v_mul_hi_u32 v11, s0, v3
	v_mul_lo_u32 v9, s1, v3
	v_add_u32_e32 v7, v11, v7
	v_mul_lo_u32 v13, s0, v3
	v_add_u32_e32 v7, v7, v9
	v_mul_lo_u32 v11, v3, v7
	v_mul_hi_u32 v15, v3, v13
	v_mul_hi_u32 v9, v3, v7
	v_add_co_u32_e32 v11, vcc, v15, v11
	v_addc_co_u32_e32 v9, vcc, 0, v9, vcc
	v_mul_hi_u32 v17, v5, v13
	v_mul_lo_u32 v13, v5, v13
	v_add_co_u32_e32 v11, vcc, v11, v13
	v_mul_hi_u32 v15, v5, v7
	v_addc_co_u32_e32 v9, vcc, v9, v17, vcc
	v_addc_co_u32_e32 v11, vcc, 0, v15, vcc
	v_mul_lo_u32 v7, v5, v7
	v_add_co_u32_e32 v7, vcc, v9, v7
	v_addc_co_u32_e32 v9, vcc, 0, v11, vcc
	v_add_co_u32_e32 v3, vcc, v3, v7
	v_addc_co_u32_e32 v5, vcc, v5, v9, vcc
	v_mul_lo_u32 v7, s0, v5
	v_mul_hi_u32 v9, s0, v3
	v_add_u32_e32 v7, v9, v7
	v_mul_lo_u32 v9, s1, v3
	v_add_u32_e32 v7, v7, v9
	v_mul_lo_u32 v11, s0, v3
	v_mul_hi_u32 v13, v5, v11
	v_mul_lo_u32 v15, v5, v11
	v_mul_lo_u32 v19, v3, v7
	v_mul_hi_u32 v11, v3, v11
	v_mul_hi_u32 v17, v3, v7
	v_add_co_u32_e32 v11, vcc, v11, v19
	v_addc_co_u32_e32 v17, vcc, 0, v17, vcc
	v_add_co_u32_e32 v11, vcc, v11, v15
	v_mul_hi_u32 v9, v5, v7
	v_addc_co_u32_e32 v11, vcc, v17, v13, vcc
	v_addc_co_u32_e32 v9, vcc, 0, v9, vcc
	v_mul_lo_u32 v7, v5, v7
	v_add_co_u32_e32 v7, vcc, v11, v7
	v_addc_co_u32_e32 v9, vcc, 0, v9, vcc
	v_add_co_u32_e32 v3, vcc, v3, v7
	v_addc_co_u32_e32 v5, vcc, v5, v9, vcc
	v_ashrrev_i32_e32 v7, 31, v21
	v_add_co_u32_e32 v9, vcc, v20, v7
	v_xor_b32_e32 v9, v9, v7
	v_addc_co_u32_e32 v11, vcc, v21, v7, vcc
	v_mad_u64_u32 v[22:23], s[0:1], v9, v5, 0
	v_mul_hi_u32 v13, v9, v3
	v_xor_b32_e32 v11, v11, v7
	v_add_co_u32_e32 v13, vcc, v13, v22
	v_addc_co_u32_e32 v15, vcc, 0, v23, vcc
	v_mad_u64_u32 v[24:25], s[0:1], v11, v3, 0
	v_add_co_u32_e32 v3, vcc, v13, v24
	v_mad_u64_u32 v[22:23], s[0:1], v11, v5, 0
	v_addc_co_u32_e32 v3, vcc, v15, v25, vcc
	v_addc_co_u32_e32 v5, vcc, 0, v23, vcc
	v_add_co_u32_e32 v3, vcc, v3, v22
	v_addc_co_u32_e32 v5, vcc, 0, v5, vcc
	v_mul_lo_u32 v13, s37, v3
	v_mul_lo_u32 v15, s36, v5
	v_mad_u64_u32 v[22:23], s[0:1], s36, v3, 0
	v_add3_u32 v13, v23, v15, v13
	v_sub_u32_e32 v15, v11, v13
	v_mov_b32_e32 v17, s37
	v_sub_co_u32_e32 v9, vcc, v9, v22
	v_subb_co_u32_e64 v15, s[0:1], v15, v17, vcc
	v_subrev_co_u32_e64 v17, s[0:1], s36, v9
	v_subbrev_co_u32_e64 v15, s[0:1], 0, v15, s[0:1]
	v_cmp_le_u32_e64 s[0:1], s37, v15
	v_cndmask_b32_e64 v19, 0, -1, s[0:1]
	v_cmp_le_u32_e64 s[0:1], s36, v17
	v_cndmask_b32_e64 v17, 0, -1, s[0:1]
	v_cmp_eq_u32_e64 s[0:1], s37, v15
	v_cndmask_b32_e64 v15, v19, v17, s[0:1]
	v_add_co_u32_e64 v17, s[0:1], 2, v3
	v_subb_co_u32_e32 v11, vcc, v11, v13, vcc
	v_addc_co_u32_e64 v19, s[0:1], 0, v5, s[0:1]
	v_cmp_le_u32_e32 vcc, s37, v11
	v_add_co_u32_e64 v21, s[0:1], 1, v3
	v_cndmask_b32_e64 v13, 0, -1, vcc
	v_cmp_le_u32_e32 vcc, s36, v9
	v_addc_co_u32_e64 v22, s[0:1], 0, v5, s[0:1]
	v_cndmask_b32_e64 v9, 0, -1, vcc
	v_cmp_eq_u32_e32 vcc, s37, v11
	v_cmp_ne_u32_e64 s[0:1], 0, v15
	v_cndmask_b32_e32 v9, v13, v9, vcc
	v_cmp_ne_u32_e32 vcc, 0, v9
	v_cndmask_b32_e64 v9, v21, v17, s[0:1]
	v_cndmask_b32_e64 v15, v22, v19, s[0:1]
	v_cndmask_b32_e32 v3, v3, v9, vcc
	v_xor_b32_e32 v9, s35, v7
	v_xor_b32_e32 v7, s34, v7
	v_cndmask_b32_e32 v5, v5, v15, vcc
	v_xor_b32_e32 v3, v3, v7
	v_xor_b32_e32 v5, v5, v9
	v_sub_co_u32_e32 v22, vcc, v3, v7
	v_subb_co_u32_e32 v23, vcc, v5, v9, vcc
.LBB8_49:                               ;   in Loop: Header=BB8_23 Depth=2
	s_andn2_saveexec_b64 s[0:1], s[30:31]
	s_cbranch_execz .LBB8_51
; %bb.50:                               ;   in Loop: Header=BB8_23 Depth=2
	v_cvt_f32_u32_e32 v3, s16
	s_sub_i32 s27, 0, s16
	v_mov_b32_e32 v23, v2
	v_rcp_iflag_f32_e32 v3, v3
	v_mul_f32_e32 v3, 0x4f7ffffe, v3
	v_cvt_u32_f32_e32 v3, v3
	v_mul_lo_u32 v5, s27, v3
	v_mul_hi_u32 v5, v3, v5
	v_add_u32_e32 v3, v3, v5
	v_mul_hi_u32 v3, v20, v3
	v_mul_lo_u32 v5, v3, s16
	v_sub_u32_e32 v5, v20, v5
	v_add_u32_e32 v7, 1, v3
	v_subrev_u32_e32 v9, s16, v5
	v_cmp_le_u32_e32 vcc, s16, v5
	v_cndmask_b32_e32 v5, v5, v9, vcc
	v_cndmask_b32_e32 v3, v3, v7, vcc
	v_add_u32_e32 v7, 1, v3
	v_cmp_le_u32_e32 vcc, s16, v5
	v_cndmask_b32_e32 v22, v3, v7, vcc
.LBB8_51:                               ;   in Loop: Header=BB8_23 Depth=2
	s_or_b64 exec, exec, s[0:1]
	s_add_u32 s0, s43, s28
	s_mov_b32 s27, s17
	s_addc_u32 s1, s44, s29
	s_lshl_b64 s[28:29], s[26:27], 2
	s_add_u32 s30, s39, s28
	s_addc_u32 s31, s40, s29
	s_load_dword s27, s[30:31], 0x0
	s_load_dword s62, s[0:1], 0x0
                                        ; implicit-def: $vgpr24_vgpr25
	s_waitcnt lgkmcnt(0)
	s_ashr_i32 s0, s27, 31
	v_or_b32_e32 v3, s0, v23
	v_cmp_ne_u64_e32 vcc, 0, v[2:3]
	s_and_saveexec_b64 s[30:31], vcc
	s_xor_b64 s[30:31], exec, s[30:31]
	s_cbranch_execz .LBB8_53
; %bb.52:                               ;   in Loop: Header=BB8_23 Depth=2
	s_add_u32 s36, s27, s0
	s_mov_b32 s34, s0
	s_mov_b32 s35, s0
	s_addc_u32 s37, s0, s0
	s_xor_b64 s[36:37], s[36:37], s[34:35]
	v_cvt_f32_u32_e32 v3, s36
	v_cvt_f32_u32_e32 v5, s37
	s_sub_u32 s0, 0, s36
	s_subb_u32 s1, 0, s37
	v_mac_f32_e32 v3, 0x4f800000, v5
	v_rcp_f32_e32 v3, v3
	v_mul_f32_e32 v3, 0x5f7ffffc, v3
	v_mul_f32_e32 v5, 0x2f800000, v3
	v_trunc_f32_e32 v5, v5
	v_mac_f32_e32 v3, 0xcf800000, v5
	v_cvt_u32_f32_e32 v5, v5
	v_cvt_u32_f32_e32 v3, v3
	v_mul_lo_u32 v7, s0, v5
	v_mul_hi_u32 v11, s0, v3
	v_mul_lo_u32 v9, s1, v3
	v_add_u32_e32 v7, v11, v7
	v_mul_lo_u32 v13, s0, v3
	v_add_u32_e32 v7, v7, v9
	v_mul_lo_u32 v11, v3, v7
	v_mul_hi_u32 v15, v3, v13
	v_mul_hi_u32 v9, v3, v7
	v_add_co_u32_e32 v11, vcc, v15, v11
	v_addc_co_u32_e32 v9, vcc, 0, v9, vcc
	v_mul_hi_u32 v17, v5, v13
	v_mul_lo_u32 v13, v5, v13
	v_add_co_u32_e32 v11, vcc, v11, v13
	v_mul_hi_u32 v15, v5, v7
	v_addc_co_u32_e32 v9, vcc, v9, v17, vcc
	v_addc_co_u32_e32 v11, vcc, 0, v15, vcc
	v_mul_lo_u32 v7, v5, v7
	v_add_co_u32_e32 v7, vcc, v9, v7
	v_addc_co_u32_e32 v9, vcc, 0, v11, vcc
	v_add_co_u32_e32 v3, vcc, v3, v7
	v_addc_co_u32_e32 v5, vcc, v5, v9, vcc
	v_mul_lo_u32 v7, s0, v5
	v_mul_hi_u32 v9, s0, v3
	v_add_u32_e32 v7, v9, v7
	v_mul_lo_u32 v9, s1, v3
	v_add_u32_e32 v7, v7, v9
	v_mul_lo_u32 v11, s0, v3
	v_mul_hi_u32 v13, v5, v11
	v_mul_lo_u32 v15, v5, v11
	v_mul_lo_u32 v19, v3, v7
	v_mul_hi_u32 v11, v3, v11
	v_mul_hi_u32 v17, v3, v7
	v_add_co_u32_e32 v11, vcc, v11, v19
	v_addc_co_u32_e32 v17, vcc, 0, v17, vcc
	v_add_co_u32_e32 v11, vcc, v11, v15
	v_mul_hi_u32 v9, v5, v7
	v_addc_co_u32_e32 v11, vcc, v17, v13, vcc
	v_addc_co_u32_e32 v9, vcc, 0, v9, vcc
	v_mul_lo_u32 v7, v5, v7
	v_add_co_u32_e32 v7, vcc, v11, v7
	v_addc_co_u32_e32 v9, vcc, 0, v9, vcc
	v_add_co_u32_e32 v3, vcc, v3, v7
	v_addc_co_u32_e32 v5, vcc, v5, v9, vcc
	v_ashrrev_i32_e32 v7, 31, v23
	v_add_co_u32_e32 v9, vcc, v22, v7
	v_xor_b32_e32 v9, v9, v7
	v_addc_co_u32_e32 v11, vcc, v23, v7, vcc
	v_mad_u64_u32 v[24:25], s[0:1], v9, v5, 0
	v_mul_hi_u32 v13, v9, v3
	v_xor_b32_e32 v11, v11, v7
	v_add_co_u32_e32 v13, vcc, v13, v24
	v_addc_co_u32_e32 v15, vcc, 0, v25, vcc
	v_mad_u64_u32 v[30:31], s[0:1], v11, v3, 0
	v_add_co_u32_e32 v3, vcc, v13, v30
	v_mad_u64_u32 v[24:25], s[0:1], v11, v5, 0
	v_addc_co_u32_e32 v3, vcc, v15, v31, vcc
	v_addc_co_u32_e32 v5, vcc, 0, v25, vcc
	v_add_co_u32_e32 v3, vcc, v3, v24
	v_addc_co_u32_e32 v5, vcc, 0, v5, vcc
	v_mul_lo_u32 v13, s37, v3
	v_mul_lo_u32 v15, s36, v5
	v_mad_u64_u32 v[24:25], s[0:1], s36, v3, 0
	v_add3_u32 v13, v25, v15, v13
	v_sub_u32_e32 v15, v11, v13
	v_mov_b32_e32 v17, s37
	v_sub_co_u32_e32 v9, vcc, v9, v24
	v_subb_co_u32_e64 v15, s[0:1], v15, v17, vcc
	v_subrev_co_u32_e64 v17, s[0:1], s36, v9
	v_subbrev_co_u32_e64 v15, s[0:1], 0, v15, s[0:1]
	v_cmp_le_u32_e64 s[0:1], s37, v15
	v_cndmask_b32_e64 v19, 0, -1, s[0:1]
	v_cmp_le_u32_e64 s[0:1], s36, v17
	v_cndmask_b32_e64 v17, 0, -1, s[0:1]
	v_cmp_eq_u32_e64 s[0:1], s37, v15
	v_cndmask_b32_e64 v15, v19, v17, s[0:1]
	v_add_co_u32_e64 v17, s[0:1], 2, v3
	v_subb_co_u32_e32 v11, vcc, v11, v13, vcc
	v_addc_co_u32_e64 v19, s[0:1], 0, v5, s[0:1]
	v_cmp_le_u32_e32 vcc, s37, v11
	v_add_co_u32_e64 v21, s[0:1], 1, v3
	v_cndmask_b32_e64 v13, 0, -1, vcc
	v_cmp_le_u32_e32 vcc, s36, v9
	v_addc_co_u32_e64 v23, s[0:1], 0, v5, s[0:1]
	v_cndmask_b32_e64 v9, 0, -1, vcc
	v_cmp_eq_u32_e32 vcc, s37, v11
	v_cmp_ne_u32_e64 s[0:1], 0, v15
	v_cndmask_b32_e32 v9, v13, v9, vcc
	v_cmp_ne_u32_e32 vcc, 0, v9
	v_cndmask_b32_e64 v9, v21, v17, s[0:1]
	v_cndmask_b32_e64 v15, v23, v19, s[0:1]
	v_cndmask_b32_e32 v3, v3, v9, vcc
	v_xor_b32_e32 v9, s35, v7
	v_xor_b32_e32 v7, s34, v7
	v_cndmask_b32_e32 v5, v5, v15, vcc
	v_xor_b32_e32 v3, v3, v7
	v_xor_b32_e32 v5, v5, v9
	v_sub_co_u32_e32 v24, vcc, v3, v7
	v_subb_co_u32_e32 v25, vcc, v5, v9, vcc
.LBB8_53:                               ;   in Loop: Header=BB8_23 Depth=2
	s_andn2_saveexec_b64 s[0:1], s[30:31]
	s_cbranch_execz .LBB8_55
; %bb.54:                               ;   in Loop: Header=BB8_23 Depth=2
	v_cvt_f32_u32_e32 v3, s27
	s_sub_i32 s30, 0, s27
	v_mov_b32_e32 v25, v2
	v_rcp_iflag_f32_e32 v3, v3
	v_mul_f32_e32 v3, 0x4f7ffffe, v3
	v_cvt_u32_f32_e32 v3, v3
	v_mul_lo_u32 v5, s30, v3
	v_mul_hi_u32 v5, v3, v5
	v_add_u32_e32 v3, v3, v5
	v_mul_hi_u32 v3, v22, v3
	v_mul_lo_u32 v5, v3, s27
	v_sub_u32_e32 v5, v22, v5
	v_add_u32_e32 v7, 1, v3
	v_subrev_u32_e32 v9, s27, v5
	v_cmp_le_u32_e32 vcc, s27, v5
	v_cndmask_b32_e32 v5, v5, v9, vcc
	v_cndmask_b32_e32 v3, v3, v7, vcc
	v_add_u32_e32 v7, 1, v3
	v_cmp_le_u32_e32 vcc, s27, v5
	v_cndmask_b32_e32 v24, v3, v7, vcc
.LBB8_55:                               ;   in Loop: Header=BB8_23 Depth=2
	s_or_b64 exec, exec, s[0:1]
	v_mul_lo_u32 v3, v10, s50
	v_mul_lo_u32 v5, v12, s51
	v_sub_u32_e32 v3, v8, v3
	v_sub_u32_e32 v5, v10, v5
	v_mul_lo_u32 v3, s52, v3
	v_mul_lo_u32 v5, s54, v5
	v_add3_u32 v3, v3, v6, v5
	v_mul_lo_u32 v5, v14, s53
	v_mul_lo_u32 v6, v16, s55
	v_sub_u32_e32 v5, v12, v5
	v_sub_u32_e32 v6, v14, v6
	s_add_u32 s0, s43, s28
	v_mul_lo_u32 v5, s56, v5
	v_mul_lo_u32 v6, s58, v6
	s_addc_u32 s1, s44, s29
	v_add3_u32 v3, v5, v3, v6
	v_mul_lo_u32 v5, v18, s57
	v_mul_lo_u32 v6, v20, s59
	s_load_dword s0, s[0:1], 0x0
	v_sub_u32_e32 v5, v16, v5
	v_sub_u32_e32 v6, v18, v6
	v_mul_lo_u32 v5, s60, v5
	v_mul_lo_u32 v6, s61, v6
	v_add3_u32 v3, v5, v3, v6
	v_mul_lo_u32 v5, v22, s16
	v_mul_lo_u32 v6, v24, s27
	v_sub_u32_e32 v5, v20, v5
	v_sub_u32_e32 v6, v22, v6
	v_mul_lo_u32 v5, s62, v5
	s_waitcnt lgkmcnt(0)
	v_mul_lo_u32 v6, s0, v6
	s_add_i32 s26, s26, -8
	s_cmp_eq_u32 s26, -8
	v_add3_u32 v6, v5, v3, v6
	s_cbranch_scc1 .LBB8_57
; %bb.56:                               ;   in Loop: Header=BB8_23 Depth=2
	v_pk_mov_b32 v[8:9], v[24:25], v[24:25] op_sel:[0,1]
	s_branch .LBB8_23
.LBB8_57:                               ;   in Loop: Header=BB8_3 Depth=1
	s_load_dword s16, s[14:15], 0x0
	s_waitcnt lgkmcnt(0)
	v_cmp_gt_i32_e32 vcc, s16, v28
	s_and_b64 exec, exec, vcc
	s_cbranch_execz .LBB8_2
; %bb.58:                               ;   in Loop: Header=BB8_3 Depth=1
	v_ashrrev_i32_e32 v5, 31, v4
	v_cmp_lt_i64_e32 vcc, s[8:9], v[4:5]
	s_and_saveexec_b64 s[0:1], vcc
	s_cbranch_execz .LBB8_60
; %bb.59:                               ;   in Loop: Header=BB8_3 Depth=1
	v_ashrrev_i32_e32 v7, 31, v6
	v_lshlrev_b64 v[4:5], 2, v[6:7]
	v_mov_b32_e32 v3, s3
	v_add_co_u32_e32 v4, vcc, s2, v4
	v_addc_co_u32_e32 v5, vcc, v3, v5, vcc
	global_store_dword v[4:5], v2, off
.LBB8_60:                               ;   in Loop: Header=BB8_3 Depth=1
	s_or_b64 exec, exec, s[0:1]
	v_add_u32_e32 v3, 1, v28
	v_cmp_gt_i32_e32 vcc, s16, v3
	s_and_b64 exec, exec, vcc
	s_cbranch_execz .LBB8_2
; %bb.61:                               ;   in Loop: Header=BB8_3 Depth=1
	v_sub_u32_e32 v4, v3, v27
	v_ashrrev_i32_e32 v5, 31, v4
	v_cmp_lt_i64_e32 vcc, s[8:9], v[4:5]
	s_and_b64 exec, exec, vcc
	s_cbranch_execz .LBB8_2
; %bb.62:                               ;   in Loop: Header=BB8_3 Depth=1
	v_add_u32_e32 v4, s49, v6
	v_ashrrev_i32_e32 v5, 31, v4
	v_lshlrev_b64 v[4:5], 2, v[4:5]
	v_mov_b32_e32 v3, s3
	v_add_co_u32_e32 v4, vcc, s2, v4
	v_addc_co_u32_e32 v5, vcc, v3, v5, vcc
	global_store_dword v[4:5], v2, off
	s_branch .LBB8_2
.LBB8_63:
	s_endpgm
	.section	.rodata,"a",@progbits
	.p2align	6, 0x0
	.amdhsa_kernel _ZN2at6native16triu_tril_kernelIiiLb0ELi2ELb1EEEvNS_4cuda6detail10TensorInfoIT_T0_EENS4_IKS5_S6_EEllS6_
		.amdhsa_group_segment_fixed_size 0
		.amdhsa_private_segment_fixed_size 0
		.amdhsa_kernarg_size 712
		.amdhsa_user_sgpr_count 6
		.amdhsa_user_sgpr_private_segment_buffer 1
		.amdhsa_user_sgpr_dispatch_ptr 0
		.amdhsa_user_sgpr_queue_ptr 0
		.amdhsa_user_sgpr_kernarg_segment_ptr 1
		.amdhsa_user_sgpr_dispatch_id 0
		.amdhsa_user_sgpr_flat_scratch_init 0
		.amdhsa_user_sgpr_kernarg_preload_length 0
		.amdhsa_user_sgpr_kernarg_preload_offset 0
		.amdhsa_user_sgpr_private_segment_size 0
		.amdhsa_uses_dynamic_stack 0
		.amdhsa_system_sgpr_private_segment_wavefront_offset 0
		.amdhsa_system_sgpr_workgroup_id_x 1
		.amdhsa_system_sgpr_workgroup_id_y 0
		.amdhsa_system_sgpr_workgroup_id_z 0
		.amdhsa_system_sgpr_workgroup_info 0
		.amdhsa_system_vgpr_workitem_id 0
		.amdhsa_next_free_vgpr 32
		.amdhsa_next_free_sgpr 63
		.amdhsa_accum_offset 32
		.amdhsa_reserve_vcc 1
		.amdhsa_reserve_flat_scratch 0
		.amdhsa_float_round_mode_32 0
		.amdhsa_float_round_mode_16_64 0
		.amdhsa_float_denorm_mode_32 3
		.amdhsa_float_denorm_mode_16_64 3
		.amdhsa_dx10_clamp 1
		.amdhsa_ieee_mode 1
		.amdhsa_fp16_overflow 0
		.amdhsa_tg_split 0
		.amdhsa_exception_fp_ieee_invalid_op 0
		.amdhsa_exception_fp_denorm_src 0
		.amdhsa_exception_fp_ieee_div_zero 0
		.amdhsa_exception_fp_ieee_overflow 0
		.amdhsa_exception_fp_ieee_underflow 0
		.amdhsa_exception_fp_ieee_inexact 0
		.amdhsa_exception_int_div_zero 0
	.end_amdhsa_kernel
	.section	.text._ZN2at6native16triu_tril_kernelIiiLb0ELi2ELb1EEEvNS_4cuda6detail10TensorInfoIT_T0_EENS4_IKS5_S6_EEllS6_,"axG",@progbits,_ZN2at6native16triu_tril_kernelIiiLb0ELi2ELb1EEEvNS_4cuda6detail10TensorInfoIT_T0_EENS4_IKS5_S6_EEllS6_,comdat
.Lfunc_end8:
	.size	_ZN2at6native16triu_tril_kernelIiiLb0ELi2ELb1EEEvNS_4cuda6detail10TensorInfoIT_T0_EENS4_IKS5_S6_EEllS6_, .Lfunc_end8-_ZN2at6native16triu_tril_kernelIiiLb0ELi2ELb1EEEvNS_4cuda6detail10TensorInfoIT_T0_EENS4_IKS5_S6_EEllS6_
                                        ; -- End function
	.section	.AMDGPU.csdata,"",@progbits
; Kernel info:
; codeLenInByte = 10136
; NumSgprs: 67
; NumVgprs: 32
; NumAgprs: 0
; TotalNumVgprs: 32
; ScratchSize: 0
; MemoryBound: 0
; FloatMode: 240
; IeeeMode: 1
; LDSByteSize: 0 bytes/workgroup (compile time only)
; SGPRBlocks: 8
; VGPRBlocks: 3
; NumSGPRsForWavesPerEU: 67
; NumVGPRsForWavesPerEU: 32
; AccumOffset: 32
; Occupancy: 8
; WaveLimiterHint : 0
; COMPUTE_PGM_RSRC2:SCRATCH_EN: 0
; COMPUTE_PGM_RSRC2:USER_SGPR: 6
; COMPUTE_PGM_RSRC2:TRAP_HANDLER: 0
; COMPUTE_PGM_RSRC2:TGID_X_EN: 1
; COMPUTE_PGM_RSRC2:TGID_Y_EN: 0
; COMPUTE_PGM_RSRC2:TGID_Z_EN: 0
; COMPUTE_PGM_RSRC2:TIDIG_COMP_CNT: 0
; COMPUTE_PGM_RSRC3_GFX90A:ACCUM_OFFSET: 7
; COMPUTE_PGM_RSRC3_GFX90A:TG_SPLIT: 0
	.section	.text._ZN2at6native16triu_tril_kernelIiiLb0ELi2ELb0EEEvNS_4cuda6detail10TensorInfoIT_T0_EENS4_IKS5_S6_EEllS6_,"axG",@progbits,_ZN2at6native16triu_tril_kernelIiiLb0ELi2ELb0EEEvNS_4cuda6detail10TensorInfoIT_T0_EENS4_IKS5_S6_EEllS6_,comdat
	.protected	_ZN2at6native16triu_tril_kernelIiiLb0ELi2ELb0EEEvNS_4cuda6detail10TensorInfoIT_T0_EENS4_IKS5_S6_EEllS6_ ; -- Begin function _ZN2at6native16triu_tril_kernelIiiLb0ELi2ELb0EEEvNS_4cuda6detail10TensorInfoIT_T0_EENS4_IKS5_S6_EEllS6_
	.globl	_ZN2at6native16triu_tril_kernelIiiLb0ELi2ELb0EEEvNS_4cuda6detail10TensorInfoIT_T0_EENS4_IKS5_S6_EEllS6_
	.p2align	8
	.type	_ZN2at6native16triu_tril_kernelIiiLb0ELi2ELb0EEEvNS_4cuda6detail10TensorInfoIT_T0_EENS4_IKS5_S6_EEllS6_,@function
_ZN2at6native16triu_tril_kernelIiiLb0ELi2ELb0EEEvNS_4cuda6detail10TensorInfoIT_T0_EENS4_IKS5_S6_EEllS6_: ; @_ZN2at6native16triu_tril_kernelIiiLb0ELi2ELb0EEEvNS_4cuda6detail10TensorInfoIT_T0_EENS4_IKS5_S6_EEllS6_
; %bb.0:
	s_load_dword s2, s[4:5], 0x1d4
	s_load_dwordx4 s[8:11], s[4:5], 0x1b0
	s_add_u32 s0, s4, 0x1c8
	v_mov_b32_e32 v2, 0
	s_addc_u32 s1, s5, 0
	s_waitcnt lgkmcnt(0)
	s_and_b32 s2, s2, 0xffff
	v_mov_b32_e32 v1, v2
	v_mov_b32_e32 v3, s6
	v_mad_u64_u32 v[0:1], s[6:7], s2, v3, v[0:1]
	v_lshlrev_b64 v[0:1], 1, v[0:1]
	v_cmp_gt_i64_e32 vcc, s[10:11], v[0:1]
	s_and_saveexec_b64 s[6:7], vcc
	s_cbranch_execz .LBB9_52
; %bb.1:
	s_load_dword s20, s[4:5], 0x1a8
	s_add_u32 s33, s4, 0xd8
	s_addc_u32 s46, s5, 0
	s_load_dword s3, s[0:1], 0x0
	s_load_dwordx2 s[6:7], s[4:5], 0xd8
	s_mov_b32 s22, s8
	s_waitcnt lgkmcnt(0)
	s_ashr_i32 s21, s20, 31
	s_lshl_b64 s[0:1], s[20:21], 2
	s_add_u32 s18, s0, -8
	s_addc_u32 s19, s1, -1
	s_add_u32 s0, s33, s18
	s_addc_u32 s1, s46, s19
	s_load_dwordx2 s[12:13], s[0:1], 0x8
	s_load_dword s47, s[4:5], 0x1c0
	s_load_dwordx2 s[16:17], s[0:1], 0x6c
	s_mul_i32 s3, s3, s2
	v_cmp_gt_i64_e64 s[14:15], s[20:21], 2
	s_waitcnt lgkmcnt(0)
	s_ashr_i32 s48, s12, 31
	v_cvt_f32_u32_e32 v3, s47
	s_ashr_i32 s49, s47, 31
	s_add_u32 s50, s4, 0x6c
	s_addc_u32 s51, s5, 0
	s_add_u32 s0, s50, s18
	v_rcp_iflag_f32_e32 v3, v3
	s_addc_u32 s1, s51, s19
	s_load_dwordx2 s[18:19], s[0:1], 0x0
	s_add_i32 s52, s20, -3
	s_load_dwordx2 s[4:5], s[4:5], 0x0
	s_lshl_b32 s53, s3, 1
	s_and_b32 s55, s20, 3
	v_mul_f32_e32 v3, 0x4f7ffffe, v3
	s_cmp_lg_u32 s55, 2
	v_cvt_u32_f32_e32 v22, v3
	s_cselect_b64 s[26:27], -1, 0
	s_cmp_gt_u32 s52, 2
	s_mov_b32 s21, 0
	s_cselect_b64 s[28:29], -1, 0
	s_ashr_i32 s1, s17, 31
	s_mov_b32 s0, s17
	s_waitcnt lgkmcnt(0)
	s_ashr_i32 s3, s19, 31
	s_mov_b32 s2, s19
	s_mov_b32 s54, s21
	;; [unrolled: 1-line block ×5, first 2 shown]
	s_mov_b64 s[30:31], 0
	s_lshl_b64 s[34:35], s[0:1], 2
	s_lshl_b64 s[36:37], s[2:3], 2
	s_branch .LBB9_3
.LBB9_2:                                ;   in Loop: Header=BB9_3 Depth=1
	s_or_b64 exec, exec, s[0:1]
	v_mov_b32_e32 v3, s54
	v_add_co_u32_e32 v0, vcc, s53, v0
	v_addc_co_u32_e32 v1, vcc, v1, v3, vcc
	v_cmp_le_i64_e32 vcc, s[10:11], v[0:1]
	s_or_b64 s[30:31], vcc, s[30:31]
	s_andn2_b64 exec, exec, s[30:31]
	s_cbranch_execz .LBB9_52
.LBB9_3:                                ; =>This Loop Header: Depth=1
                                        ;     Child Loop BB9_37 Depth 2
                                        ;     Child Loop BB9_18 Depth 2
	v_or_b32_e32 v3, s49, v1
	v_cmp_ne_u64_e32 vcc, 0, v[2:3]
                                        ; implicit-def: $vgpr4_vgpr5
                                        ; implicit-def: $vgpr14_vgpr15
	s_and_saveexec_b64 s[0:1], vcc
	s_xor_b64 s[38:39], exec, s[0:1]
	s_cbranch_execz .LBB9_5
; %bb.4:                                ;   in Loop: Header=BB9_3 Depth=1
	s_add_u32 s0, s47, s49
	s_mov_b32 s2, s49
	s_mov_b32 s3, s49
	s_addc_u32 s1, s49, s49
	s_xor_b64 s[40:41], s[0:1], s[2:3]
	v_cvt_f32_u32_e32 v3, s40
	v_cvt_f32_u32_e32 v4, s41
	s_sub_u32 s0, 0, s40
	s_subb_u32 s1, 0, s41
	v_mac_f32_e32 v3, 0x4f800000, v4
	v_rcp_f32_e32 v3, v3
	v_mul_f32_e32 v3, 0x5f7ffffc, v3
	v_mul_f32_e32 v4, 0x2f800000, v3
	v_trunc_f32_e32 v4, v4
	v_mac_f32_e32 v3, 0xcf800000, v4
	v_cvt_u32_f32_e32 v4, v4
	v_cvt_u32_f32_e32 v3, v3
	v_mul_lo_u32 v5, s0, v4
	v_mul_hi_u32 v7, s0, v3
	v_mul_lo_u32 v6, s1, v3
	v_add_u32_e32 v5, v7, v5
	v_mul_lo_u32 v8, s0, v3
	v_add_u32_e32 v5, v5, v6
	v_mul_lo_u32 v7, v3, v5
	v_mul_hi_u32 v9, v3, v8
	v_mul_hi_u32 v6, v3, v5
	v_add_co_u32_e32 v7, vcc, v9, v7
	v_addc_co_u32_e32 v6, vcc, 0, v6, vcc
	v_mul_hi_u32 v10, v4, v8
	v_mul_lo_u32 v8, v4, v8
	v_add_co_u32_e32 v7, vcc, v7, v8
	v_mul_hi_u32 v9, v4, v5
	v_addc_co_u32_e32 v6, vcc, v6, v10, vcc
	v_addc_co_u32_e32 v7, vcc, 0, v9, vcc
	v_mul_lo_u32 v5, v4, v5
	v_add_co_u32_e32 v5, vcc, v6, v5
	v_addc_co_u32_e32 v6, vcc, 0, v7, vcc
	v_add_co_u32_e32 v3, vcc, v3, v5
	v_addc_co_u32_e32 v4, vcc, v4, v6, vcc
	v_mul_lo_u32 v5, s0, v4
	v_mul_hi_u32 v6, s0, v3
	v_add_u32_e32 v5, v6, v5
	v_mul_lo_u32 v6, s1, v3
	v_add_u32_e32 v5, v5, v6
	v_mul_lo_u32 v7, s0, v3
	v_mul_hi_u32 v8, v4, v7
	v_mul_lo_u32 v9, v4, v7
	v_mul_lo_u32 v11, v3, v5
	v_mul_hi_u32 v7, v3, v7
	v_mul_hi_u32 v10, v3, v5
	v_add_co_u32_e32 v7, vcc, v7, v11
	v_addc_co_u32_e32 v10, vcc, 0, v10, vcc
	v_add_co_u32_e32 v7, vcc, v7, v9
	v_mul_hi_u32 v6, v4, v5
	v_addc_co_u32_e32 v7, vcc, v10, v8, vcc
	v_addc_co_u32_e32 v6, vcc, 0, v6, vcc
	v_mul_lo_u32 v5, v4, v5
	v_add_co_u32_e32 v5, vcc, v7, v5
	v_addc_co_u32_e32 v6, vcc, 0, v6, vcc
	v_add_co_u32_e32 v3, vcc, v3, v5
	v_addc_co_u32_e32 v6, vcc, v4, v6, vcc
	v_ashrrev_i32_e32 v8, 31, v1
	v_add_co_u32_e32 v4, vcc, v0, v8
	v_addc_co_u32_e32 v5, vcc, v1, v8, vcc
	v_xor_b32_e32 v10, v4, v8
	v_xor_b32_e32 v9, v5, v8
	v_mad_u64_u32 v[4:5], s[0:1], v10, v6, 0
	v_mul_hi_u32 v7, v10, v3
	v_add_co_u32_e32 v11, vcc, v7, v4
	v_addc_co_u32_e32 v12, vcc, 0, v5, vcc
	v_mad_u64_u32 v[4:5], s[0:1], v9, v6, 0
	v_mad_u64_u32 v[6:7], s[0:1], v9, v3, 0
	v_add_co_u32_e32 v3, vcc, v11, v6
	v_addc_co_u32_e32 v3, vcc, v12, v7, vcc
	v_addc_co_u32_e32 v5, vcc, 0, v5, vcc
	v_add_co_u32_e32 v3, vcc, v3, v4
	v_addc_co_u32_e32 v6, vcc, 0, v5, vcc
	v_mul_lo_u32 v7, s41, v3
	v_mul_lo_u32 v11, s40, v6
	v_mad_u64_u32 v[4:5], s[0:1], s40, v3, 0
	v_add3_u32 v5, v5, v11, v7
	v_sub_u32_e32 v7, v9, v5
	v_mov_b32_e32 v11, s41
	v_sub_co_u32_e32 v4, vcc, v10, v4
	v_subb_co_u32_e64 v7, s[0:1], v7, v11, vcc
	v_subrev_co_u32_e64 v10, s[0:1], s40, v4
	v_subbrev_co_u32_e64 v7, s[0:1], 0, v7, s[0:1]
	v_cmp_le_u32_e64 s[0:1], s41, v7
	v_cndmask_b32_e64 v11, 0, -1, s[0:1]
	v_cmp_le_u32_e64 s[0:1], s40, v10
	v_cndmask_b32_e64 v12, 0, -1, s[0:1]
	v_cmp_eq_u32_e64 s[0:1], s41, v7
	v_cndmask_b32_e64 v7, v11, v12, s[0:1]
	v_add_co_u32_e64 v11, s[0:1], 2, v3
	v_addc_co_u32_e64 v12, s[0:1], 0, v6, s[0:1]
	v_add_co_u32_e64 v13, s[0:1], 1, v3
	v_subb_co_u32_e32 v5, vcc, v9, v5, vcc
	v_addc_co_u32_e64 v14, s[0:1], 0, v6, s[0:1]
	v_cmp_le_u32_e32 vcc, s41, v5
	v_cmp_ne_u32_e64 s[0:1], 0, v7
	v_cndmask_b32_e64 v9, 0, -1, vcc
	v_cmp_le_u32_e32 vcc, s40, v4
	v_cndmask_b32_e64 v7, v14, v12, s[0:1]
	v_cndmask_b32_e64 v12, 0, -1, vcc
	v_cmp_eq_u32_e32 vcc, s41, v5
	v_cndmask_b32_e32 v5, v9, v12, vcc
	v_cmp_ne_u32_e32 vcc, 0, v5
	v_cndmask_b32_e32 v5, v6, v7, vcc
	v_cndmask_b32_e64 v6, v13, v11, s[0:1]
	v_cndmask_b32_e32 v3, v3, v6, vcc
	v_xor_b32_e32 v7, s2, v8
	v_xor_b32_e32 v6, s3, v8
	;; [unrolled: 1-line block ×4, first 2 shown]
	v_sub_co_u32_e64 v14, s[2:3], v3, v7
	v_subb_co_u32_e64 v15, s[2:3], v5, v6, s[2:3]
	v_subrev_co_u32_e64 v3, s[2:3], s40, v10
	v_cndmask_b32_e64 v3, v10, v3, s[0:1]
	v_cndmask_b32_e32 v3, v4, v3, vcc
	v_xor_b32_e32 v3, v3, v8
	v_sub_co_u32_e32 v4, vcc, v3, v8
.LBB9_5:                                ;   in Loop: Header=BB9_3 Depth=1
	s_andn2_saveexec_b64 s[2:3], s[38:39]
	s_cbranch_execz .LBB9_7
; %bb.6:                                ;   in Loop: Header=BB9_3 Depth=1
	s_sub_i32 s0, 0, s47
	v_mul_lo_u32 v3, s0, v22
	v_mul_hi_u32 v3, v22, v3
	v_add_u32_e32 v3, v22, v3
	v_mul_hi_u32 v3, v0, v3
	v_mul_lo_u32 v4, v3, s47
	v_sub_u32_e32 v4, v0, v4
	v_subrev_u32_e32 v5, s47, v4
	v_cmp_le_u32_e32 vcc, s47, v4
	v_cndmask_b32_e32 v4, v4, v5, vcc
	v_subrev_u32_e32 v5, s47, v4
	v_cmp_le_u32_e64 s[0:1], s47, v4
	v_cndmask_b32_e64 v4, v4, v5, s[0:1]
	v_add_u32_e32 v5, 1, v3
	v_cndmask_b32_e32 v3, v3, v5, vcc
	v_add_u32_e32 v5, 1, v3
	v_cndmask_b32_e64 v14, v3, v5, s[0:1]
	v_mov_b32_e32 v15, v2
.LBB9_7:                                ;   in Loop: Header=BB9_3 Depth=1
	s_or_b64 exec, exec, s[2:3]
	v_or_b32_e32 v3, s48, v15
	v_cmp_ne_u64_e32 vcc, 0, v[2:3]
                                        ; implicit-def: $vgpr6_vgpr7
	s_and_saveexec_b64 s[0:1], vcc
	s_xor_b64 s[2:3], exec, s[0:1]
	s_cbranch_execz .LBB9_9
; %bb.8:                                ;   in Loop: Header=BB9_3 Depth=1
	s_add_u32 s38, s12, s48
	s_mov_b32 s0, s48
	s_mov_b32 s1, s48
	s_addc_u32 s39, s48, s48
	s_xor_b64 s[38:39], s[38:39], s[0:1]
	v_cvt_f32_u32_e32 v5, s38
	v_cvt_f32_u32_e32 v6, s39
	s_sub_u32 s0, 0, s38
	s_subb_u32 s1, 0, s39
	v_mac_f32_e32 v5, 0x4f800000, v6
	v_rcp_f32_e32 v5, v5
	v_mul_f32_e32 v5, 0x5f7ffffc, v5
	v_mul_f32_e32 v6, 0x2f800000, v5
	v_trunc_f32_e32 v6, v6
	v_mac_f32_e32 v5, 0xcf800000, v6
	v_cvt_u32_f32_e32 v6, v6
	v_cvt_u32_f32_e32 v5, v5
	v_mul_lo_u32 v7, s0, v6
	v_mul_hi_u32 v9, s0, v5
	v_mul_lo_u32 v8, s1, v5
	v_add_u32_e32 v7, v9, v7
	v_mul_lo_u32 v10, s0, v5
	v_add_u32_e32 v7, v7, v8
	v_mul_lo_u32 v9, v5, v7
	v_mul_hi_u32 v11, v5, v10
	v_mul_hi_u32 v8, v5, v7
	v_add_co_u32_e32 v9, vcc, v11, v9
	v_addc_co_u32_e32 v8, vcc, 0, v8, vcc
	v_mul_hi_u32 v12, v6, v10
	v_mul_lo_u32 v10, v6, v10
	v_add_co_u32_e32 v9, vcc, v9, v10
	v_mul_hi_u32 v11, v6, v7
	v_addc_co_u32_e32 v8, vcc, v8, v12, vcc
	v_addc_co_u32_e32 v9, vcc, 0, v11, vcc
	v_mul_lo_u32 v7, v6, v7
	v_add_co_u32_e32 v7, vcc, v8, v7
	v_addc_co_u32_e32 v8, vcc, 0, v9, vcc
	v_add_co_u32_e32 v5, vcc, v5, v7
	v_addc_co_u32_e32 v6, vcc, v6, v8, vcc
	v_mul_lo_u32 v7, s0, v6
	v_mul_hi_u32 v8, s0, v5
	v_add_u32_e32 v7, v8, v7
	v_mul_lo_u32 v8, s1, v5
	v_add_u32_e32 v7, v7, v8
	v_mul_lo_u32 v9, s0, v5
	v_mul_hi_u32 v10, v6, v9
	v_mul_lo_u32 v11, v6, v9
	v_mul_lo_u32 v13, v5, v7
	v_mul_hi_u32 v9, v5, v9
	v_mul_hi_u32 v12, v5, v7
	v_add_co_u32_e32 v9, vcc, v9, v13
	v_addc_co_u32_e32 v12, vcc, 0, v12, vcc
	v_add_co_u32_e32 v9, vcc, v9, v11
	v_mul_hi_u32 v8, v6, v7
	v_addc_co_u32_e32 v9, vcc, v12, v10, vcc
	v_addc_co_u32_e32 v8, vcc, 0, v8, vcc
	v_mul_lo_u32 v7, v6, v7
	v_add_co_u32_e32 v7, vcc, v9, v7
	v_addc_co_u32_e32 v8, vcc, 0, v8, vcc
	v_add_co_u32_e32 v5, vcc, v5, v7
	v_addc_co_u32_e32 v8, vcc, v6, v8, vcc
	v_ashrrev_i32_e32 v10, 31, v15
	v_add_co_u32_e32 v6, vcc, v14, v10
	v_addc_co_u32_e32 v7, vcc, v15, v10, vcc
	v_xor_b32_e32 v12, v6, v10
	v_xor_b32_e32 v11, v7, v10
	v_mad_u64_u32 v[6:7], s[0:1], v12, v8, 0
	v_mul_hi_u32 v9, v12, v5
	v_add_co_u32_e32 v13, vcc, v9, v6
	v_addc_co_u32_e32 v16, vcc, 0, v7, vcc
	v_mad_u64_u32 v[6:7], s[0:1], v11, v8, 0
	v_mad_u64_u32 v[8:9], s[0:1], v11, v5, 0
	v_add_co_u32_e32 v5, vcc, v13, v8
	v_addc_co_u32_e32 v5, vcc, v16, v9, vcc
	v_addc_co_u32_e32 v7, vcc, 0, v7, vcc
	v_add_co_u32_e32 v5, vcc, v5, v6
	v_addc_co_u32_e32 v6, vcc, 0, v7, vcc
	v_mul_lo_u32 v8, s39, v5
	v_mul_lo_u32 v9, s38, v6
	v_mad_u64_u32 v[6:7], s[0:1], s38, v5, 0
	v_add3_u32 v5, v7, v9, v8
	v_sub_u32_e32 v7, v11, v5
	v_mov_b32_e32 v8, s39
	v_sub_co_u32_e32 v6, vcc, v12, v6
	v_subb_co_u32_e64 v7, s[0:1], v7, v8, vcc
	v_subrev_co_u32_e64 v8, s[0:1], s38, v6
	v_subbrev_co_u32_e64 v7, s[0:1], 0, v7, s[0:1]
	v_cmp_le_u32_e64 s[0:1], s39, v7
	v_subb_co_u32_e32 v5, vcc, v11, v5, vcc
	v_cndmask_b32_e64 v9, 0, -1, s[0:1]
	v_cmp_le_u32_e64 s[0:1], s38, v8
	v_cmp_le_u32_e32 vcc, s39, v5
	v_cndmask_b32_e64 v12, 0, -1, s[0:1]
	v_cmp_eq_u32_e64 s[0:1], s39, v7
	v_cndmask_b32_e64 v11, 0, -1, vcc
	v_cmp_le_u32_e32 vcc, s38, v6
	v_cndmask_b32_e64 v7, v9, v12, s[0:1]
	v_cndmask_b32_e64 v12, 0, -1, vcc
	v_cmp_eq_u32_e32 vcc, s39, v5
	v_subrev_co_u32_e64 v9, s[0:1], s38, v8
	v_cndmask_b32_e32 v5, v11, v12, vcc
	v_cmp_ne_u32_e32 vcc, 0, v7
	v_cndmask_b32_e32 v7, v8, v9, vcc
	v_cmp_ne_u32_e32 vcc, 0, v5
	v_cndmask_b32_e32 v5, v6, v7, vcc
	v_xor_b32_e32 v5, v5, v10
	v_sub_co_u32_e32 v6, vcc, v5, v10
.LBB9_9:                                ;   in Loop: Header=BB9_3 Depth=1
	s_andn2_saveexec_b64 s[0:1], s[2:3]
	s_cbranch_execz .LBB9_11
; %bb.10:                               ;   in Loop: Header=BB9_3 Depth=1
	v_cvt_f32_u32_e32 v5, s12
	s_sub_i32 s2, 0, s12
	v_rcp_iflag_f32_e32 v5, v5
	v_mul_f32_e32 v5, 0x4f7ffffe, v5
	v_cvt_u32_f32_e32 v5, v5
	v_mul_lo_u32 v6, s2, v5
	v_mul_hi_u32 v6, v5, v6
	v_add_u32_e32 v5, v5, v6
	v_mul_hi_u32 v5, v14, v5
	v_mul_lo_u32 v5, v5, s12
	v_sub_u32_e32 v5, v14, v5
	v_subrev_u32_e32 v6, s12, v5
	v_cmp_le_u32_e32 vcc, s12, v5
	v_cndmask_b32_e32 v5, v5, v6, vcc
	v_subrev_u32_e32 v6, s12, v5
	v_cmp_le_u32_e32 vcc, s12, v5
	v_cndmask_b32_e32 v6, v5, v6, vcc
.LBB9_11:                               ;   in Loop: Header=BB9_3 Depth=1
	s_or_b64 exec, exec, s[0:1]
	v_mul_lo_u32 v8, s17, v4
	v_mad_u64_u32 v[10:11], s[0:1], s16, v6, v[8:9]
	v_mul_lo_u32 v8, s19, v4
	s_andn2_b64 vcc, exec, s[14:15]
	v_mad_u64_u32 v[8:9], s[0:1], s18, v6, v[8:9]
	s_cbranch_vccnz .LBB9_41
; %bb.12:                               ;   in Loop: Header=BB9_3 Depth=1
	v_cmp_ne_u64_e32 vcc, 0, v[2:3]
                                        ; implicit-def: $vgpr12_vgpr13
	s_and_saveexec_b64 s[0:1], vcc
	s_xor_b64 s[2:3], exec, s[0:1]
	s_cbranch_execz .LBB9_14
; %bb.13:                               ;   in Loop: Header=BB9_3 Depth=1
	s_add_u32 s0, s12, s48
	s_mov_b32 s38, s48
	s_mov_b32 s39, s48
	s_addc_u32 s1, s48, s48
	s_xor_b64 s[40:41], s[0:1], s[38:39]
	v_cvt_f32_u32_e32 v3, s40
	v_cvt_f32_u32_e32 v5, s41
	s_sub_u32 s0, 0, s40
	s_subb_u32 s1, 0, s41
	v_mac_f32_e32 v3, 0x4f800000, v5
	v_rcp_f32_e32 v3, v3
	v_mul_f32_e32 v3, 0x5f7ffffc, v3
	v_mul_f32_e32 v5, 0x2f800000, v3
	v_trunc_f32_e32 v5, v5
	v_mac_f32_e32 v3, 0xcf800000, v5
	v_cvt_u32_f32_e32 v5, v5
	v_cvt_u32_f32_e32 v3, v3
	v_mul_lo_u32 v7, s0, v5
	v_mul_hi_u32 v11, s0, v3
	v_mul_lo_u32 v9, s1, v3
	v_add_u32_e32 v7, v11, v7
	v_mul_lo_u32 v12, s0, v3
	v_add_u32_e32 v7, v7, v9
	v_mul_lo_u32 v11, v3, v7
	v_mul_hi_u32 v13, v3, v12
	v_mul_hi_u32 v9, v3, v7
	v_add_co_u32_e32 v11, vcc, v13, v11
	v_addc_co_u32_e32 v9, vcc, 0, v9, vcc
	v_mul_hi_u32 v16, v5, v12
	v_mul_lo_u32 v12, v5, v12
	v_add_co_u32_e32 v11, vcc, v11, v12
	v_mul_hi_u32 v13, v5, v7
	v_addc_co_u32_e32 v9, vcc, v9, v16, vcc
	v_addc_co_u32_e32 v11, vcc, 0, v13, vcc
	v_mul_lo_u32 v7, v5, v7
	v_add_co_u32_e32 v7, vcc, v9, v7
	v_addc_co_u32_e32 v9, vcc, 0, v11, vcc
	v_add_co_u32_e32 v3, vcc, v3, v7
	v_addc_co_u32_e32 v5, vcc, v5, v9, vcc
	v_mul_lo_u32 v7, s0, v5
	v_mul_hi_u32 v9, s0, v3
	v_add_u32_e32 v7, v9, v7
	v_mul_lo_u32 v9, s1, v3
	v_add_u32_e32 v7, v7, v9
	v_mul_lo_u32 v11, s0, v3
	v_mul_hi_u32 v12, v5, v11
	v_mul_lo_u32 v13, v5, v11
	v_mul_lo_u32 v17, v3, v7
	v_mul_hi_u32 v11, v3, v11
	v_mul_hi_u32 v16, v3, v7
	v_add_co_u32_e32 v11, vcc, v11, v17
	v_addc_co_u32_e32 v16, vcc, 0, v16, vcc
	v_add_co_u32_e32 v11, vcc, v11, v13
	v_mul_hi_u32 v9, v5, v7
	v_addc_co_u32_e32 v11, vcc, v16, v12, vcc
	v_addc_co_u32_e32 v9, vcc, 0, v9, vcc
	v_mul_lo_u32 v7, v5, v7
	v_add_co_u32_e32 v7, vcc, v11, v7
	v_addc_co_u32_e32 v9, vcc, 0, v9, vcc
	v_add_co_u32_e32 v3, vcc, v3, v7
	v_addc_co_u32_e32 v5, vcc, v5, v9, vcc
	v_ashrrev_i32_e32 v7, 31, v15
	v_add_co_u32_e32 v9, vcc, v14, v7
	v_xor_b32_e32 v9, v9, v7
	v_addc_co_u32_e32 v11, vcc, v15, v7, vcc
	v_mad_u64_u32 v[12:13], s[0:1], v9, v5, 0
	v_mul_hi_u32 v14, v9, v3
	v_xor_b32_e32 v11, v11, v7
	v_add_co_u32_e32 v16, vcc, v14, v12
	v_addc_co_u32_e32 v17, vcc, 0, v13, vcc
	v_mad_u64_u32 v[14:15], s[0:1], v11, v3, 0
	v_add_co_u32_e32 v3, vcc, v16, v14
	v_mad_u64_u32 v[12:13], s[0:1], v11, v5, 0
	v_addc_co_u32_e32 v3, vcc, v17, v15, vcc
	v_addc_co_u32_e32 v5, vcc, 0, v13, vcc
	v_add_co_u32_e32 v3, vcc, v3, v12
	v_addc_co_u32_e32 v5, vcc, 0, v5, vcc
	v_mul_lo_u32 v14, s41, v3
	v_mul_lo_u32 v15, s40, v5
	v_mad_u64_u32 v[12:13], s[0:1], s40, v3, 0
	v_add3_u32 v13, v13, v15, v14
	v_sub_u32_e32 v14, v11, v13
	v_mov_b32_e32 v15, s41
	v_sub_co_u32_e32 v9, vcc, v9, v12
	v_subb_co_u32_e64 v12, s[0:1], v14, v15, vcc
	v_subrev_co_u32_e64 v14, s[0:1], s40, v9
	v_subbrev_co_u32_e64 v12, s[0:1], 0, v12, s[0:1]
	v_cmp_le_u32_e64 s[0:1], s41, v12
	v_cndmask_b32_e64 v15, 0, -1, s[0:1]
	v_cmp_le_u32_e64 s[0:1], s40, v14
	v_cndmask_b32_e64 v14, 0, -1, s[0:1]
	v_cmp_eq_u32_e64 s[0:1], s41, v12
	v_cndmask_b32_e64 v12, v15, v14, s[0:1]
	v_add_co_u32_e64 v14, s[0:1], 2, v3
	v_subb_co_u32_e32 v11, vcc, v11, v13, vcc
	v_addc_co_u32_e64 v15, s[0:1], 0, v5, s[0:1]
	v_cmp_le_u32_e32 vcc, s41, v11
	v_add_co_u32_e64 v16, s[0:1], 1, v3
	v_cndmask_b32_e64 v13, 0, -1, vcc
	v_cmp_le_u32_e32 vcc, s40, v9
	v_addc_co_u32_e64 v17, s[0:1], 0, v5, s[0:1]
	v_cndmask_b32_e64 v9, 0, -1, vcc
	v_cmp_eq_u32_e32 vcc, s41, v11
	v_cmp_ne_u32_e64 s[0:1], 0, v12
	v_cndmask_b32_e32 v9, v13, v9, vcc
	v_cmp_ne_u32_e32 vcc, 0, v9
	v_cndmask_b32_e64 v9, v16, v14, s[0:1]
	v_cndmask_b32_e64 v12, v17, v15, s[0:1]
	v_cndmask_b32_e32 v3, v3, v9, vcc
	v_xor_b32_e32 v9, s39, v7
	v_xor_b32_e32 v7, s38, v7
	v_cndmask_b32_e32 v5, v5, v12, vcc
	v_xor_b32_e32 v3, v3, v7
	v_xor_b32_e32 v5, v5, v9
	v_sub_co_u32_e32 v12, vcc, v3, v7
	v_subb_co_u32_e32 v13, vcc, v5, v9, vcc
                                        ; implicit-def: $vgpr14_vgpr15
.LBB9_14:                               ;   in Loop: Header=BB9_3 Depth=1
	s_andn2_saveexec_b64 s[0:1], s[2:3]
	s_cbranch_execz .LBB9_16
; %bb.15:                               ;   in Loop: Header=BB9_3 Depth=1
	v_cvt_f32_u32_e32 v3, s12
	s_sub_i32 s2, 0, s12
	v_mov_b32_e32 v13, v2
	v_rcp_iflag_f32_e32 v3, v3
	v_mul_f32_e32 v3, 0x4f7ffffe, v3
	v_cvt_u32_f32_e32 v3, v3
	v_mul_lo_u32 v5, s2, v3
	v_mul_hi_u32 v5, v3, v5
	v_add_u32_e32 v3, v3, v5
	v_mul_hi_u32 v3, v14, v3
	v_mul_lo_u32 v5, v3, s12
	v_sub_u32_e32 v5, v14, v5
	v_add_u32_e32 v7, 1, v3
	v_subrev_u32_e32 v9, s12, v5
	v_cmp_le_u32_e32 vcc, s12, v5
	v_cndmask_b32_e32 v5, v5, v9, vcc
	v_cndmask_b32_e32 v3, v3, v7, vcc
	v_add_u32_e32 v7, 1, v3
	v_cmp_le_u32_e32 vcc, s12, v5
	v_cndmask_b32_e32 v12, v3, v7, vcc
.LBB9_16:                               ;   in Loop: Header=BB9_3 Depth=1
	s_or_b64 exec, exec, s[0:1]
	s_andn2_b64 vcc, exec, s[26:27]
	s_mov_b32 s56, 1
	s_mov_b32 s20, s52
	s_cbranch_vccz .LBB9_37
.LBB9_17:                               ;   in Loop: Header=BB9_3 Depth=1
	s_and_b64 vcc, exec, s[28:29]
	s_cbranch_vccz .LBB9_41
.LBB9_18:                               ;   Parent Loop BB9_3 Depth=1
                                        ; =>  This Inner Loop Header: Depth=2
	s_lshl_b64 s[2:3], s[20:21], 2
	s_add_u32 s38, s33, s2
	s_addc_u32 s39, s46, s3
	s_load_dword s56, s[38:39], 0x8
                                        ; implicit-def: $vgpr14_vgpr15
	s_waitcnt lgkmcnt(0)
	s_ashr_i32 s0, s56, 31
	v_or_b32_e32 v3, s0, v13
	v_cmp_ne_u64_e32 vcc, 0, v[2:3]
	s_and_saveexec_b64 s[40:41], vcc
	s_xor_b64 s[40:41], exec, s[40:41]
	s_cbranch_execz .LBB9_20
; %bb.19:                               ;   in Loop: Header=BB9_18 Depth=2
	s_add_u32 s44, s56, s0
	s_mov_b32 s42, s0
	s_mov_b32 s43, s0
	s_addc_u32 s45, s0, s0
	s_xor_b64 s[44:45], s[44:45], s[42:43]
	v_cvt_f32_u32_e32 v3, s44
	v_cvt_f32_u32_e32 v5, s45
	s_sub_u32 s0, 0, s44
	s_subb_u32 s1, 0, s45
	v_mac_f32_e32 v3, 0x4f800000, v5
	v_rcp_f32_e32 v3, v3
	v_mul_f32_e32 v3, 0x5f7ffffc, v3
	v_mul_f32_e32 v5, 0x2f800000, v3
	v_trunc_f32_e32 v5, v5
	v_mac_f32_e32 v3, 0xcf800000, v5
	v_cvt_u32_f32_e32 v5, v5
	v_cvt_u32_f32_e32 v3, v3
	v_mul_lo_u32 v7, s0, v5
	v_mul_hi_u32 v11, s0, v3
	v_mul_lo_u32 v9, s1, v3
	v_add_u32_e32 v7, v11, v7
	v_mul_lo_u32 v14, s0, v3
	v_add_u32_e32 v7, v7, v9
	v_mul_lo_u32 v11, v3, v7
	v_mul_hi_u32 v15, v3, v14
	v_mul_hi_u32 v9, v3, v7
	v_add_co_u32_e32 v11, vcc, v15, v11
	v_addc_co_u32_e32 v9, vcc, 0, v9, vcc
	v_mul_hi_u32 v16, v5, v14
	v_mul_lo_u32 v14, v5, v14
	v_add_co_u32_e32 v11, vcc, v11, v14
	v_mul_hi_u32 v15, v5, v7
	v_addc_co_u32_e32 v9, vcc, v9, v16, vcc
	v_addc_co_u32_e32 v11, vcc, 0, v15, vcc
	v_mul_lo_u32 v7, v5, v7
	v_add_co_u32_e32 v7, vcc, v9, v7
	v_addc_co_u32_e32 v9, vcc, 0, v11, vcc
	v_add_co_u32_e32 v3, vcc, v3, v7
	v_addc_co_u32_e32 v5, vcc, v5, v9, vcc
	v_mul_lo_u32 v7, s0, v5
	v_mul_hi_u32 v9, s0, v3
	v_add_u32_e32 v7, v9, v7
	v_mul_lo_u32 v9, s1, v3
	v_add_u32_e32 v7, v7, v9
	v_mul_lo_u32 v11, s0, v3
	v_mul_hi_u32 v14, v5, v11
	v_mul_lo_u32 v15, v5, v11
	v_mul_lo_u32 v17, v3, v7
	v_mul_hi_u32 v11, v3, v11
	v_mul_hi_u32 v16, v3, v7
	v_add_co_u32_e32 v11, vcc, v11, v17
	v_addc_co_u32_e32 v16, vcc, 0, v16, vcc
	v_add_co_u32_e32 v11, vcc, v11, v15
	v_mul_hi_u32 v9, v5, v7
	v_addc_co_u32_e32 v11, vcc, v16, v14, vcc
	v_addc_co_u32_e32 v9, vcc, 0, v9, vcc
	v_mul_lo_u32 v7, v5, v7
	v_add_co_u32_e32 v7, vcc, v11, v7
	v_addc_co_u32_e32 v9, vcc, 0, v9, vcc
	v_add_co_u32_e32 v3, vcc, v3, v7
	v_addc_co_u32_e32 v5, vcc, v5, v9, vcc
	v_ashrrev_i32_e32 v7, 31, v13
	v_add_co_u32_e32 v9, vcc, v12, v7
	v_xor_b32_e32 v9, v9, v7
	v_addc_co_u32_e32 v11, vcc, v13, v7, vcc
	v_mad_u64_u32 v[14:15], s[0:1], v9, v5, 0
	v_mul_hi_u32 v13, v9, v3
	v_xor_b32_e32 v11, v11, v7
	v_add_co_u32_e32 v13, vcc, v13, v14
	v_addc_co_u32_e32 v18, vcc, 0, v15, vcc
	v_mad_u64_u32 v[16:17], s[0:1], v11, v3, 0
	v_add_co_u32_e32 v3, vcc, v13, v16
	v_mad_u64_u32 v[14:15], s[0:1], v11, v5, 0
	v_addc_co_u32_e32 v3, vcc, v18, v17, vcc
	v_addc_co_u32_e32 v5, vcc, 0, v15, vcc
	v_add_co_u32_e32 v3, vcc, v3, v14
	v_addc_co_u32_e32 v5, vcc, 0, v5, vcc
	v_mul_lo_u32 v13, s45, v3
	v_mul_lo_u32 v16, s44, v5
	v_mad_u64_u32 v[14:15], s[0:1], s44, v3, 0
	v_add3_u32 v13, v15, v16, v13
	v_sub_u32_e32 v15, v11, v13
	v_mov_b32_e32 v16, s45
	v_sub_co_u32_e32 v9, vcc, v9, v14
	v_subb_co_u32_e64 v14, s[0:1], v15, v16, vcc
	v_subrev_co_u32_e64 v15, s[0:1], s44, v9
	v_subbrev_co_u32_e64 v14, s[0:1], 0, v14, s[0:1]
	v_cmp_le_u32_e64 s[0:1], s45, v14
	v_cndmask_b32_e64 v16, 0, -1, s[0:1]
	v_cmp_le_u32_e64 s[0:1], s44, v15
	v_cndmask_b32_e64 v15, 0, -1, s[0:1]
	v_cmp_eq_u32_e64 s[0:1], s45, v14
	v_cndmask_b32_e64 v14, v16, v15, s[0:1]
	v_add_co_u32_e64 v15, s[0:1], 2, v3
	v_subb_co_u32_e32 v11, vcc, v11, v13, vcc
	v_addc_co_u32_e64 v16, s[0:1], 0, v5, s[0:1]
	v_cmp_le_u32_e32 vcc, s45, v11
	v_add_co_u32_e64 v17, s[0:1], 1, v3
	v_cndmask_b32_e64 v13, 0, -1, vcc
	v_cmp_le_u32_e32 vcc, s44, v9
	v_addc_co_u32_e64 v18, s[0:1], 0, v5, s[0:1]
	v_cndmask_b32_e64 v9, 0, -1, vcc
	v_cmp_eq_u32_e32 vcc, s45, v11
	v_cmp_ne_u32_e64 s[0:1], 0, v14
	v_cndmask_b32_e32 v9, v13, v9, vcc
	v_cmp_ne_u32_e32 vcc, 0, v9
	v_cndmask_b32_e64 v9, v17, v15, s[0:1]
	v_cndmask_b32_e64 v14, v18, v16, s[0:1]
	v_cndmask_b32_e32 v3, v3, v9, vcc
	v_xor_b32_e32 v9, s43, v7
	v_xor_b32_e32 v7, s42, v7
	v_cndmask_b32_e32 v5, v5, v14, vcc
	v_xor_b32_e32 v3, v3, v7
	v_xor_b32_e32 v5, v5, v9
	v_sub_co_u32_e32 v14, vcc, v3, v7
	v_subb_co_u32_e32 v15, vcc, v5, v9, vcc
.LBB9_20:                               ;   in Loop: Header=BB9_18 Depth=2
	s_andn2_saveexec_b64 s[0:1], s[40:41]
	s_cbranch_execz .LBB9_22
; %bb.21:                               ;   in Loop: Header=BB9_18 Depth=2
	v_cvt_f32_u32_e32 v3, s56
	s_sub_i32 s40, 0, s56
	v_mov_b32_e32 v15, v2
	v_rcp_iflag_f32_e32 v3, v3
	v_mul_f32_e32 v3, 0x4f7ffffe, v3
	v_cvt_u32_f32_e32 v3, v3
	v_mul_lo_u32 v5, s40, v3
	v_mul_hi_u32 v5, v3, v5
	v_add_u32_e32 v3, v3, v5
	v_mul_hi_u32 v3, v12, v3
	v_mul_lo_u32 v5, v3, s56
	v_sub_u32_e32 v5, v12, v5
	v_add_u32_e32 v7, 1, v3
	v_subrev_u32_e32 v9, s56, v5
	v_cmp_le_u32_e32 vcc, s56, v5
	v_cndmask_b32_e32 v5, v5, v9, vcc
	v_cndmask_b32_e32 v3, v3, v7, vcc
	v_add_u32_e32 v7, 1, v3
	v_cmp_le_u32_e32 vcc, s56, v5
	v_cndmask_b32_e32 v14, v3, v7, vcc
.LBB9_22:                               ;   in Loop: Header=BB9_18 Depth=2
	s_or_b64 exec, exec, s[0:1]
	s_add_u32 s0, s50, s2
	s_addc_u32 s1, s51, s3
	s_add_i32 s2, s20, -1
	s_mov_b32 s3, s21
	s_lshl_b64 s[40:41], s[2:3], 2
	s_add_u32 s2, s33, s40
	s_addc_u32 s3, s46, s41
	s_load_dword s57, s[2:3], 0x8
	s_load_dword s58, s[38:39], 0x6c
	;; [unrolled: 1-line block ×3, first 2 shown]
                                        ; implicit-def: $vgpr16_vgpr17
	s_waitcnt lgkmcnt(0)
	s_ashr_i32 s0, s57, 31
	v_or_b32_e32 v3, s0, v15
	v_cmp_ne_u64_e32 vcc, 0, v[2:3]
	s_and_saveexec_b64 s[38:39], vcc
	s_xor_b64 s[38:39], exec, s[38:39]
	s_cbranch_execz .LBB9_24
; %bb.23:                               ;   in Loop: Header=BB9_18 Depth=2
	s_add_u32 s44, s57, s0
	s_mov_b32 s42, s0
	s_mov_b32 s43, s0
	s_addc_u32 s45, s0, s0
	s_xor_b64 s[44:45], s[44:45], s[42:43]
	v_cvt_f32_u32_e32 v3, s44
	v_cvt_f32_u32_e32 v5, s45
	s_sub_u32 s0, 0, s44
	s_subb_u32 s1, 0, s45
	v_mac_f32_e32 v3, 0x4f800000, v5
	v_rcp_f32_e32 v3, v3
	v_mul_f32_e32 v3, 0x5f7ffffc, v3
	v_mul_f32_e32 v5, 0x2f800000, v3
	v_trunc_f32_e32 v5, v5
	v_mac_f32_e32 v3, 0xcf800000, v5
	v_cvt_u32_f32_e32 v5, v5
	v_cvt_u32_f32_e32 v3, v3
	v_mul_lo_u32 v7, s0, v5
	v_mul_hi_u32 v11, s0, v3
	v_mul_lo_u32 v9, s1, v3
	v_add_u32_e32 v7, v11, v7
	v_mul_lo_u32 v13, s0, v3
	v_add_u32_e32 v7, v7, v9
	v_mul_lo_u32 v11, v3, v7
	v_mul_hi_u32 v16, v3, v13
	v_mul_hi_u32 v9, v3, v7
	v_add_co_u32_e32 v11, vcc, v16, v11
	v_addc_co_u32_e32 v9, vcc, 0, v9, vcc
	v_mul_hi_u32 v17, v5, v13
	v_mul_lo_u32 v13, v5, v13
	v_add_co_u32_e32 v11, vcc, v11, v13
	v_mul_hi_u32 v16, v5, v7
	v_addc_co_u32_e32 v9, vcc, v9, v17, vcc
	v_addc_co_u32_e32 v11, vcc, 0, v16, vcc
	v_mul_lo_u32 v7, v5, v7
	v_add_co_u32_e32 v7, vcc, v9, v7
	v_addc_co_u32_e32 v9, vcc, 0, v11, vcc
	v_add_co_u32_e32 v3, vcc, v3, v7
	v_addc_co_u32_e32 v5, vcc, v5, v9, vcc
	v_mul_lo_u32 v7, s0, v5
	v_mul_hi_u32 v9, s0, v3
	v_add_u32_e32 v7, v9, v7
	v_mul_lo_u32 v9, s1, v3
	v_add_u32_e32 v7, v7, v9
	v_mul_lo_u32 v11, s0, v3
	v_mul_hi_u32 v13, v5, v11
	v_mul_lo_u32 v16, v5, v11
	v_mul_lo_u32 v18, v3, v7
	v_mul_hi_u32 v11, v3, v11
	v_mul_hi_u32 v17, v3, v7
	v_add_co_u32_e32 v11, vcc, v11, v18
	v_addc_co_u32_e32 v17, vcc, 0, v17, vcc
	v_add_co_u32_e32 v11, vcc, v11, v16
	v_mul_hi_u32 v9, v5, v7
	v_addc_co_u32_e32 v11, vcc, v17, v13, vcc
	v_addc_co_u32_e32 v9, vcc, 0, v9, vcc
	v_mul_lo_u32 v7, v5, v7
	v_add_co_u32_e32 v7, vcc, v11, v7
	v_addc_co_u32_e32 v9, vcc, 0, v9, vcc
	v_add_co_u32_e32 v3, vcc, v3, v7
	v_addc_co_u32_e32 v5, vcc, v5, v9, vcc
	v_ashrrev_i32_e32 v7, 31, v15
	v_add_co_u32_e32 v9, vcc, v14, v7
	v_xor_b32_e32 v9, v9, v7
	v_addc_co_u32_e32 v11, vcc, v15, v7, vcc
	v_mad_u64_u32 v[16:17], s[0:1], v9, v5, 0
	v_mul_hi_u32 v13, v9, v3
	v_xor_b32_e32 v11, v11, v7
	v_add_co_u32_e32 v13, vcc, v13, v16
	v_addc_co_u32_e32 v15, vcc, 0, v17, vcc
	v_mad_u64_u32 v[18:19], s[0:1], v11, v3, 0
	v_add_co_u32_e32 v3, vcc, v13, v18
	v_mad_u64_u32 v[16:17], s[0:1], v11, v5, 0
	v_addc_co_u32_e32 v3, vcc, v15, v19, vcc
	v_addc_co_u32_e32 v5, vcc, 0, v17, vcc
	v_add_co_u32_e32 v3, vcc, v3, v16
	v_addc_co_u32_e32 v5, vcc, 0, v5, vcc
	v_mul_lo_u32 v13, s45, v3
	v_mul_lo_u32 v15, s44, v5
	v_mad_u64_u32 v[16:17], s[0:1], s44, v3, 0
	v_add3_u32 v13, v17, v15, v13
	v_sub_u32_e32 v15, v11, v13
	v_mov_b32_e32 v17, s45
	v_sub_co_u32_e32 v9, vcc, v9, v16
	v_subb_co_u32_e64 v15, s[0:1], v15, v17, vcc
	v_subrev_co_u32_e64 v16, s[0:1], s44, v9
	v_subbrev_co_u32_e64 v15, s[0:1], 0, v15, s[0:1]
	v_cmp_le_u32_e64 s[0:1], s45, v15
	v_cndmask_b32_e64 v17, 0, -1, s[0:1]
	v_cmp_le_u32_e64 s[0:1], s44, v16
	v_cndmask_b32_e64 v16, 0, -1, s[0:1]
	v_cmp_eq_u32_e64 s[0:1], s45, v15
	v_cndmask_b32_e64 v15, v17, v16, s[0:1]
	v_add_co_u32_e64 v16, s[0:1], 2, v3
	v_subb_co_u32_e32 v11, vcc, v11, v13, vcc
	v_addc_co_u32_e64 v17, s[0:1], 0, v5, s[0:1]
	v_cmp_le_u32_e32 vcc, s45, v11
	v_add_co_u32_e64 v18, s[0:1], 1, v3
	v_cndmask_b32_e64 v13, 0, -1, vcc
	v_cmp_le_u32_e32 vcc, s44, v9
	v_addc_co_u32_e64 v19, s[0:1], 0, v5, s[0:1]
	v_cndmask_b32_e64 v9, 0, -1, vcc
	v_cmp_eq_u32_e32 vcc, s45, v11
	v_cmp_ne_u32_e64 s[0:1], 0, v15
	v_cndmask_b32_e32 v9, v13, v9, vcc
	v_cmp_ne_u32_e32 vcc, 0, v9
	v_cndmask_b32_e64 v9, v18, v16, s[0:1]
	v_cndmask_b32_e64 v15, v19, v17, s[0:1]
	v_cndmask_b32_e32 v3, v3, v9, vcc
	v_xor_b32_e32 v9, s43, v7
	v_xor_b32_e32 v7, s42, v7
	v_cndmask_b32_e32 v5, v5, v15, vcc
	v_xor_b32_e32 v3, v3, v7
	v_xor_b32_e32 v5, v5, v9
	v_sub_co_u32_e32 v16, vcc, v3, v7
	v_subb_co_u32_e32 v17, vcc, v5, v9, vcc
.LBB9_24:                               ;   in Loop: Header=BB9_18 Depth=2
	s_andn2_saveexec_b64 s[0:1], s[38:39]
	s_cbranch_execz .LBB9_26
; %bb.25:                               ;   in Loop: Header=BB9_18 Depth=2
	v_cvt_f32_u32_e32 v3, s57
	s_sub_i32 s38, 0, s57
	v_mov_b32_e32 v17, v2
	v_rcp_iflag_f32_e32 v3, v3
	v_mul_f32_e32 v3, 0x4f7ffffe, v3
	v_cvt_u32_f32_e32 v3, v3
	v_mul_lo_u32 v5, s38, v3
	v_mul_hi_u32 v5, v3, v5
	v_add_u32_e32 v3, v3, v5
	v_mul_hi_u32 v3, v14, v3
	v_mul_lo_u32 v5, v3, s57
	v_sub_u32_e32 v5, v14, v5
	v_add_u32_e32 v7, 1, v3
	v_subrev_u32_e32 v9, s57, v5
	v_cmp_le_u32_e32 vcc, s57, v5
	v_cndmask_b32_e32 v5, v5, v9, vcc
	v_cndmask_b32_e32 v3, v3, v7, vcc
	v_add_u32_e32 v7, 1, v3
	v_cmp_le_u32_e32 vcc, s57, v5
	v_cndmask_b32_e32 v16, v3, v7, vcc
.LBB9_26:                               ;   in Loop: Header=BB9_18 Depth=2
	s_or_b64 exec, exec, s[0:1]
	s_add_u32 s0, s50, s40
	s_addc_u32 s1, s51, s41
	s_add_i32 s38, s20, -2
	s_mov_b32 s39, s21
	s_lshl_b64 s[38:39], s[38:39], 2
	s_add_u32 s40, s33, s38
	s_addc_u32 s41, s46, s39
	s_load_dword s60, s[40:41], 0x8
	s_load_dword s62, s[2:3], 0x6c
	;; [unrolled: 1-line block ×3, first 2 shown]
                                        ; implicit-def: $vgpr18_vgpr19
	s_waitcnt lgkmcnt(0)
	s_ashr_i32 s0, s60, 31
	v_or_b32_e32 v3, s0, v17
	v_cmp_ne_u64_e32 vcc, 0, v[2:3]
	s_and_saveexec_b64 s[2:3], vcc
	s_xor_b64 s[2:3], exec, s[2:3]
	s_cbranch_execz .LBB9_28
; %bb.27:                               ;   in Loop: Header=BB9_18 Depth=2
	s_add_u32 s44, s60, s0
	s_mov_b32 s42, s0
	s_mov_b32 s43, s0
	s_addc_u32 s45, s0, s0
	s_xor_b64 s[44:45], s[44:45], s[42:43]
	v_cvt_f32_u32_e32 v3, s44
	v_cvt_f32_u32_e32 v5, s45
	s_sub_u32 s0, 0, s44
	s_subb_u32 s1, 0, s45
	v_mac_f32_e32 v3, 0x4f800000, v5
	v_rcp_f32_e32 v3, v3
	v_mul_f32_e32 v3, 0x5f7ffffc, v3
	v_mul_f32_e32 v5, 0x2f800000, v3
	v_trunc_f32_e32 v5, v5
	v_mac_f32_e32 v3, 0xcf800000, v5
	v_cvt_u32_f32_e32 v5, v5
	v_cvt_u32_f32_e32 v3, v3
	v_mul_lo_u32 v7, s0, v5
	v_mul_hi_u32 v11, s0, v3
	v_mul_lo_u32 v9, s1, v3
	v_add_u32_e32 v7, v11, v7
	v_mul_lo_u32 v13, s0, v3
	v_add_u32_e32 v7, v7, v9
	v_mul_lo_u32 v11, v3, v7
	v_mul_hi_u32 v15, v3, v13
	v_mul_hi_u32 v9, v3, v7
	v_add_co_u32_e32 v11, vcc, v15, v11
	v_addc_co_u32_e32 v9, vcc, 0, v9, vcc
	v_mul_hi_u32 v18, v5, v13
	v_mul_lo_u32 v13, v5, v13
	v_add_co_u32_e32 v11, vcc, v11, v13
	v_mul_hi_u32 v15, v5, v7
	v_addc_co_u32_e32 v9, vcc, v9, v18, vcc
	v_addc_co_u32_e32 v11, vcc, 0, v15, vcc
	v_mul_lo_u32 v7, v5, v7
	v_add_co_u32_e32 v7, vcc, v9, v7
	v_addc_co_u32_e32 v9, vcc, 0, v11, vcc
	v_add_co_u32_e32 v3, vcc, v3, v7
	v_addc_co_u32_e32 v5, vcc, v5, v9, vcc
	v_mul_lo_u32 v7, s0, v5
	v_mul_hi_u32 v9, s0, v3
	v_add_u32_e32 v7, v9, v7
	v_mul_lo_u32 v9, s1, v3
	v_add_u32_e32 v7, v7, v9
	v_mul_lo_u32 v11, s0, v3
	v_mul_hi_u32 v13, v5, v11
	v_mul_lo_u32 v15, v5, v11
	v_mul_lo_u32 v19, v3, v7
	v_mul_hi_u32 v11, v3, v11
	v_mul_hi_u32 v18, v3, v7
	v_add_co_u32_e32 v11, vcc, v11, v19
	v_addc_co_u32_e32 v18, vcc, 0, v18, vcc
	v_add_co_u32_e32 v11, vcc, v11, v15
	v_mul_hi_u32 v9, v5, v7
	v_addc_co_u32_e32 v11, vcc, v18, v13, vcc
	v_addc_co_u32_e32 v9, vcc, 0, v9, vcc
	v_mul_lo_u32 v7, v5, v7
	v_add_co_u32_e32 v7, vcc, v11, v7
	v_addc_co_u32_e32 v9, vcc, 0, v9, vcc
	v_add_co_u32_e32 v3, vcc, v3, v7
	v_addc_co_u32_e32 v5, vcc, v5, v9, vcc
	v_ashrrev_i32_e32 v7, 31, v17
	v_add_co_u32_e32 v9, vcc, v16, v7
	v_xor_b32_e32 v9, v9, v7
	v_addc_co_u32_e32 v11, vcc, v17, v7, vcc
	v_mad_u64_u32 v[18:19], s[0:1], v9, v5, 0
	v_mul_hi_u32 v13, v9, v3
	v_xor_b32_e32 v11, v11, v7
	v_add_co_u32_e32 v13, vcc, v13, v18
	v_addc_co_u32_e32 v15, vcc, 0, v19, vcc
	v_mad_u64_u32 v[20:21], s[0:1], v11, v3, 0
	v_add_co_u32_e32 v3, vcc, v13, v20
	v_mad_u64_u32 v[18:19], s[0:1], v11, v5, 0
	v_addc_co_u32_e32 v3, vcc, v15, v21, vcc
	v_addc_co_u32_e32 v5, vcc, 0, v19, vcc
	v_add_co_u32_e32 v3, vcc, v3, v18
	v_addc_co_u32_e32 v5, vcc, 0, v5, vcc
	v_mul_lo_u32 v13, s45, v3
	v_mul_lo_u32 v15, s44, v5
	v_mad_u64_u32 v[18:19], s[0:1], s44, v3, 0
	v_add3_u32 v13, v19, v15, v13
	v_sub_u32_e32 v15, v11, v13
	v_mov_b32_e32 v17, s45
	v_sub_co_u32_e32 v9, vcc, v9, v18
	v_subb_co_u32_e64 v15, s[0:1], v15, v17, vcc
	v_subrev_co_u32_e64 v17, s[0:1], s44, v9
	v_subbrev_co_u32_e64 v15, s[0:1], 0, v15, s[0:1]
	v_cmp_le_u32_e64 s[0:1], s45, v15
	v_cndmask_b32_e64 v18, 0, -1, s[0:1]
	v_cmp_le_u32_e64 s[0:1], s44, v17
	v_cndmask_b32_e64 v17, 0, -1, s[0:1]
	v_cmp_eq_u32_e64 s[0:1], s45, v15
	v_cndmask_b32_e64 v15, v18, v17, s[0:1]
	v_add_co_u32_e64 v17, s[0:1], 2, v3
	v_subb_co_u32_e32 v11, vcc, v11, v13, vcc
	v_addc_co_u32_e64 v18, s[0:1], 0, v5, s[0:1]
	v_cmp_le_u32_e32 vcc, s45, v11
	v_add_co_u32_e64 v19, s[0:1], 1, v3
	v_cndmask_b32_e64 v13, 0, -1, vcc
	v_cmp_le_u32_e32 vcc, s44, v9
	v_addc_co_u32_e64 v20, s[0:1], 0, v5, s[0:1]
	v_cndmask_b32_e64 v9, 0, -1, vcc
	v_cmp_eq_u32_e32 vcc, s45, v11
	v_cmp_ne_u32_e64 s[0:1], 0, v15
	v_cndmask_b32_e32 v9, v13, v9, vcc
	v_cmp_ne_u32_e32 vcc, 0, v9
	v_cndmask_b32_e64 v9, v19, v17, s[0:1]
	v_cndmask_b32_e64 v15, v20, v18, s[0:1]
	v_cndmask_b32_e32 v3, v3, v9, vcc
	v_xor_b32_e32 v9, s43, v7
	v_xor_b32_e32 v7, s42, v7
	v_cndmask_b32_e32 v5, v5, v15, vcc
	v_xor_b32_e32 v3, v3, v7
	v_xor_b32_e32 v5, v5, v9
	v_sub_co_u32_e32 v18, vcc, v3, v7
	v_subb_co_u32_e32 v19, vcc, v5, v9, vcc
.LBB9_28:                               ;   in Loop: Header=BB9_18 Depth=2
	s_andn2_saveexec_b64 s[0:1], s[2:3]
	s_cbranch_execz .LBB9_30
; %bb.29:                               ;   in Loop: Header=BB9_18 Depth=2
	v_cvt_f32_u32_e32 v3, s60
	s_sub_i32 s2, 0, s60
	v_mov_b32_e32 v19, v2
	v_rcp_iflag_f32_e32 v3, v3
	v_mul_f32_e32 v3, 0x4f7ffffe, v3
	v_cvt_u32_f32_e32 v3, v3
	v_mul_lo_u32 v5, s2, v3
	v_mul_hi_u32 v5, v3, v5
	v_add_u32_e32 v3, v3, v5
	v_mul_hi_u32 v3, v16, v3
	v_mul_lo_u32 v5, v3, s60
	v_sub_u32_e32 v5, v16, v5
	v_add_u32_e32 v7, 1, v3
	v_subrev_u32_e32 v9, s60, v5
	v_cmp_le_u32_e32 vcc, s60, v5
	v_cndmask_b32_e32 v5, v5, v9, vcc
	v_cndmask_b32_e32 v3, v3, v7, vcc
	v_add_u32_e32 v7, 1, v3
	v_cmp_le_u32_e32 vcc, s60, v5
	v_cndmask_b32_e32 v18, v3, v7, vcc
.LBB9_30:                               ;   in Loop: Header=BB9_18 Depth=2
	s_or_b64 exec, exec, s[0:1]
	s_add_u32 s0, s50, s38
	s_addc_u32 s1, s51, s39
	s_add_i32 s2, s20, -3
	s_mov_b32 s3, s21
	s_lshl_b64 s[2:3], s[2:3], 2
	s_add_u32 s38, s33, s2
	s_addc_u32 s39, s46, s3
	s_load_dword s63, s[38:39], 0x8
	s_load_dword s64, s[40:41], 0x6c
	;; [unrolled: 1-line block ×3, first 2 shown]
                                        ; implicit-def: $vgpr20_vgpr21
	s_waitcnt lgkmcnt(0)
	s_ashr_i32 s0, s63, 31
	v_or_b32_e32 v3, s0, v19
	v_cmp_ne_u64_e32 vcc, 0, v[2:3]
	s_and_saveexec_b64 s[40:41], vcc
	s_xor_b64 s[40:41], exec, s[40:41]
	s_cbranch_execz .LBB9_32
; %bb.31:                               ;   in Loop: Header=BB9_18 Depth=2
	s_add_u32 s44, s63, s0
	s_mov_b32 s42, s0
	s_mov_b32 s43, s0
	s_addc_u32 s45, s0, s0
	s_xor_b64 s[44:45], s[44:45], s[42:43]
	v_cvt_f32_u32_e32 v3, s44
	v_cvt_f32_u32_e32 v5, s45
	s_sub_u32 s0, 0, s44
	s_subb_u32 s1, 0, s45
	v_mac_f32_e32 v3, 0x4f800000, v5
	v_rcp_f32_e32 v3, v3
	v_mul_f32_e32 v3, 0x5f7ffffc, v3
	v_mul_f32_e32 v5, 0x2f800000, v3
	v_trunc_f32_e32 v5, v5
	v_mac_f32_e32 v3, 0xcf800000, v5
	v_cvt_u32_f32_e32 v5, v5
	v_cvt_u32_f32_e32 v3, v3
	v_mul_lo_u32 v7, s0, v5
	v_mul_hi_u32 v11, s0, v3
	v_mul_lo_u32 v9, s1, v3
	v_add_u32_e32 v7, v11, v7
	v_mul_lo_u32 v13, s0, v3
	v_add_u32_e32 v7, v7, v9
	v_mul_lo_u32 v11, v3, v7
	v_mul_hi_u32 v15, v3, v13
	v_mul_hi_u32 v9, v3, v7
	v_add_co_u32_e32 v11, vcc, v15, v11
	v_addc_co_u32_e32 v9, vcc, 0, v9, vcc
	v_mul_hi_u32 v17, v5, v13
	v_mul_lo_u32 v13, v5, v13
	v_add_co_u32_e32 v11, vcc, v11, v13
	v_mul_hi_u32 v15, v5, v7
	v_addc_co_u32_e32 v9, vcc, v9, v17, vcc
	v_addc_co_u32_e32 v11, vcc, 0, v15, vcc
	v_mul_lo_u32 v7, v5, v7
	v_add_co_u32_e32 v7, vcc, v9, v7
	v_addc_co_u32_e32 v9, vcc, 0, v11, vcc
	v_add_co_u32_e32 v3, vcc, v3, v7
	v_addc_co_u32_e32 v5, vcc, v5, v9, vcc
	v_mul_lo_u32 v7, s0, v5
	v_mul_hi_u32 v9, s0, v3
	v_add_u32_e32 v7, v9, v7
	v_mul_lo_u32 v9, s1, v3
	v_add_u32_e32 v7, v7, v9
	v_mul_lo_u32 v11, s0, v3
	v_mul_hi_u32 v13, v5, v11
	v_mul_lo_u32 v15, v5, v11
	v_mul_lo_u32 v20, v3, v7
	v_mul_hi_u32 v11, v3, v11
	v_mul_hi_u32 v17, v3, v7
	v_add_co_u32_e32 v11, vcc, v11, v20
	v_addc_co_u32_e32 v17, vcc, 0, v17, vcc
	v_add_co_u32_e32 v11, vcc, v11, v15
	v_mul_hi_u32 v9, v5, v7
	v_addc_co_u32_e32 v11, vcc, v17, v13, vcc
	v_addc_co_u32_e32 v9, vcc, 0, v9, vcc
	v_mul_lo_u32 v7, v5, v7
	v_add_co_u32_e32 v7, vcc, v11, v7
	v_addc_co_u32_e32 v9, vcc, 0, v9, vcc
	v_add_co_u32_e32 v3, vcc, v3, v7
	v_addc_co_u32_e32 v5, vcc, v5, v9, vcc
	v_ashrrev_i32_e32 v7, 31, v19
	v_add_co_u32_e32 v9, vcc, v18, v7
	v_xor_b32_e32 v9, v9, v7
	v_addc_co_u32_e32 v11, vcc, v19, v7, vcc
	v_mad_u64_u32 v[20:21], s[0:1], v9, v5, 0
	v_mul_hi_u32 v13, v9, v3
	v_xor_b32_e32 v11, v11, v7
	v_add_co_u32_e32 v13, vcc, v13, v20
	v_addc_co_u32_e32 v15, vcc, 0, v21, vcc
	v_mad_u64_u32 v[24:25], s[0:1], v11, v3, 0
	v_add_co_u32_e32 v3, vcc, v13, v24
	v_mad_u64_u32 v[20:21], s[0:1], v11, v5, 0
	v_addc_co_u32_e32 v3, vcc, v15, v25, vcc
	v_addc_co_u32_e32 v5, vcc, 0, v21, vcc
	v_add_co_u32_e32 v3, vcc, v3, v20
	v_addc_co_u32_e32 v5, vcc, 0, v5, vcc
	v_mul_lo_u32 v13, s45, v3
	v_mul_lo_u32 v15, s44, v5
	v_mad_u64_u32 v[20:21], s[0:1], s44, v3, 0
	v_add3_u32 v13, v21, v15, v13
	v_sub_u32_e32 v15, v11, v13
	v_mov_b32_e32 v17, s45
	v_sub_co_u32_e32 v9, vcc, v9, v20
	v_subb_co_u32_e64 v15, s[0:1], v15, v17, vcc
	v_subrev_co_u32_e64 v17, s[0:1], s44, v9
	v_subbrev_co_u32_e64 v15, s[0:1], 0, v15, s[0:1]
	v_cmp_le_u32_e64 s[0:1], s45, v15
	v_cndmask_b32_e64 v19, 0, -1, s[0:1]
	v_cmp_le_u32_e64 s[0:1], s44, v17
	v_cndmask_b32_e64 v17, 0, -1, s[0:1]
	v_cmp_eq_u32_e64 s[0:1], s45, v15
	v_cndmask_b32_e64 v15, v19, v17, s[0:1]
	v_add_co_u32_e64 v17, s[0:1], 2, v3
	v_subb_co_u32_e32 v11, vcc, v11, v13, vcc
	v_addc_co_u32_e64 v19, s[0:1], 0, v5, s[0:1]
	v_cmp_le_u32_e32 vcc, s45, v11
	v_add_co_u32_e64 v20, s[0:1], 1, v3
	v_cndmask_b32_e64 v13, 0, -1, vcc
	v_cmp_le_u32_e32 vcc, s44, v9
	v_addc_co_u32_e64 v21, s[0:1], 0, v5, s[0:1]
	v_cndmask_b32_e64 v9, 0, -1, vcc
	v_cmp_eq_u32_e32 vcc, s45, v11
	v_cmp_ne_u32_e64 s[0:1], 0, v15
	v_cndmask_b32_e32 v9, v13, v9, vcc
	v_cmp_ne_u32_e32 vcc, 0, v9
	v_cndmask_b32_e64 v9, v20, v17, s[0:1]
	v_cndmask_b32_e64 v15, v21, v19, s[0:1]
	v_cndmask_b32_e32 v3, v3, v9, vcc
	v_xor_b32_e32 v9, s43, v7
	v_xor_b32_e32 v7, s42, v7
	v_cndmask_b32_e32 v5, v5, v15, vcc
	v_xor_b32_e32 v3, v3, v7
	v_xor_b32_e32 v5, v5, v9
	v_sub_co_u32_e32 v20, vcc, v3, v7
	v_subb_co_u32_e32 v21, vcc, v5, v9, vcc
.LBB9_32:                               ;   in Loop: Header=BB9_18 Depth=2
	s_andn2_saveexec_b64 s[0:1], s[40:41]
	s_cbranch_execz .LBB9_34
; %bb.33:                               ;   in Loop: Header=BB9_18 Depth=2
	v_cvt_f32_u32_e32 v3, s63
	s_sub_i32 s40, 0, s63
	v_mov_b32_e32 v21, v2
	v_rcp_iflag_f32_e32 v3, v3
	v_mul_f32_e32 v3, 0x4f7ffffe, v3
	v_cvt_u32_f32_e32 v3, v3
	v_mul_lo_u32 v5, s40, v3
	v_mul_hi_u32 v5, v3, v5
	v_add_u32_e32 v3, v3, v5
	v_mul_hi_u32 v3, v18, v3
	v_mul_lo_u32 v5, v3, s63
	v_sub_u32_e32 v5, v18, v5
	v_add_u32_e32 v7, 1, v3
	v_subrev_u32_e32 v9, s63, v5
	v_cmp_le_u32_e32 vcc, s63, v5
	v_cndmask_b32_e32 v5, v5, v9, vcc
	v_cndmask_b32_e32 v3, v3, v7, vcc
	v_add_u32_e32 v7, 1, v3
	v_cmp_le_u32_e32 vcc, s63, v5
	v_cndmask_b32_e32 v20, v3, v7, vcc
.LBB9_34:                               ;   in Loop: Header=BB9_18 Depth=2
	s_or_b64 exec, exec, s[0:1]
	s_add_u32 s0, s50, s2
	v_mul_lo_u32 v3, v14, s56
	v_mul_lo_u32 v7, v16, s57
	s_load_dword s2, s[38:39], 0x6c
	s_addc_u32 s1, s51, s3
	s_load_dword s0, s[0:1], 0x0
	v_sub_u32_e32 v3, v12, v3
	v_sub_u32_e32 v7, v14, v7
	v_mul_lo_u32 v5, s58, v3
	v_mul_lo_u32 v3, s59, v3
	;; [unrolled: 1-line block ×4, first 2 shown]
	v_add3_u32 v5, v5, v10, v9
	v_add3_u32 v3, v3, v8, v7
	v_mul_lo_u32 v7, v18, s60
	v_mul_lo_u32 v9, v20, s63
	v_sub_u32_e32 v7, v16, v7
	v_sub_u32_e32 v9, v18, v9
	v_mul_lo_u32 v8, s64, v7
	s_waitcnt lgkmcnt(0)
	v_mul_lo_u32 v10, s2, v9
	v_mul_lo_u32 v7, s65, v7
	v_add3_u32 v10, v8, v5, v10
	v_mul_lo_u32 v5, s0, v9
	s_add_i32 s20, s20, -4
	s_cmp_eq_u32 s20, -1
	v_add3_u32 v8, v7, v3, v5
	s_cbranch_scc1 .LBB9_41
; %bb.35:                               ;   in Loop: Header=BB9_18 Depth=2
	v_pk_mov_b32 v[12:13], v[20:21], v[20:21] op_sel:[0,1]
	s_branch .LBB9_18
.LBB9_36:                               ;   in Loop: Header=BB9_37 Depth=2
	s_or_b64 exec, exec, s[0:1]
	s_load_dword s38, s[38:39], 0x6c
	s_add_u32 s0, s50, s2
	s_addc_u32 s1, s51, s3
	s_load_dword s2, s[0:1], 0x0
	v_mul_lo_u32 v3, v12, s57
	v_sub_u32_e32 v3, v14, v3
	s_waitcnt lgkmcnt(0)
	v_mad_u64_u32 v[10:11], s[0:1], s38, v3, v[10:11]
	s_add_i32 s20, s20, -1
	s_xor_b32 s0, s55, s56
	s_add_i32 s56, s56, 1
	s_cmp_lg_u32 s0, 2
	v_mad_u64_u32 v[8:9], s[0:1], s2, v3, v[8:9]
	s_cbranch_scc0 .LBB9_17
.LBB9_37:                               ;   Parent Loop BB9_3 Depth=1
                                        ; =>  This Inner Loop Header: Depth=2
	s_lshl_b64 s[2:3], s[20:21], 2
	s_add_u32 s38, s33, s2
	s_addc_u32 s39, s46, s3
	s_load_dword s57, s[38:39], 0x8
	v_pk_mov_b32 v[14:15], v[12:13], v[12:13] op_sel:[0,1]
                                        ; implicit-def: $vgpr12_vgpr13
	s_waitcnt lgkmcnt(0)
	s_ashr_i32 s0, s57, 31
	v_or_b32_e32 v3, s0, v15
	v_cmp_ne_u64_e32 vcc, 0, v[2:3]
	s_and_saveexec_b64 s[40:41], vcc
	s_xor_b64 s[40:41], exec, s[40:41]
	s_cbranch_execz .LBB9_39
; %bb.38:                               ;   in Loop: Header=BB9_37 Depth=2
	s_add_u32 s44, s57, s0
	s_mov_b32 s42, s0
	s_mov_b32 s43, s0
	s_addc_u32 s45, s0, s0
	s_xor_b64 s[44:45], s[44:45], s[42:43]
	v_cvt_f32_u32_e32 v3, s44
	v_cvt_f32_u32_e32 v5, s45
	s_sub_u32 s0, 0, s44
	s_subb_u32 s1, 0, s45
	v_mac_f32_e32 v3, 0x4f800000, v5
	v_rcp_f32_e32 v3, v3
	v_mul_f32_e32 v3, 0x5f7ffffc, v3
	v_mul_f32_e32 v5, 0x2f800000, v3
	v_trunc_f32_e32 v5, v5
	v_mac_f32_e32 v3, 0xcf800000, v5
	v_cvt_u32_f32_e32 v5, v5
	v_cvt_u32_f32_e32 v3, v3
	v_mul_lo_u32 v7, s0, v5
	v_mul_hi_u32 v11, s0, v3
	v_mul_lo_u32 v9, s1, v3
	v_add_u32_e32 v7, v11, v7
	v_mul_lo_u32 v12, s0, v3
	v_add_u32_e32 v7, v7, v9
	v_mul_lo_u32 v11, v3, v7
	v_mul_hi_u32 v13, v3, v12
	v_mul_hi_u32 v9, v3, v7
	v_add_co_u32_e32 v11, vcc, v13, v11
	v_addc_co_u32_e32 v9, vcc, 0, v9, vcc
	v_mul_hi_u32 v16, v5, v12
	v_mul_lo_u32 v12, v5, v12
	v_add_co_u32_e32 v11, vcc, v11, v12
	v_mul_hi_u32 v13, v5, v7
	v_addc_co_u32_e32 v9, vcc, v9, v16, vcc
	v_addc_co_u32_e32 v11, vcc, 0, v13, vcc
	v_mul_lo_u32 v7, v5, v7
	v_add_co_u32_e32 v7, vcc, v9, v7
	v_addc_co_u32_e32 v9, vcc, 0, v11, vcc
	v_add_co_u32_e32 v3, vcc, v3, v7
	v_addc_co_u32_e32 v5, vcc, v5, v9, vcc
	v_mul_lo_u32 v7, s0, v5
	v_mul_hi_u32 v9, s0, v3
	v_add_u32_e32 v7, v9, v7
	v_mul_lo_u32 v9, s1, v3
	v_add_u32_e32 v7, v7, v9
	v_mul_lo_u32 v11, s0, v3
	v_mul_hi_u32 v12, v5, v11
	v_mul_lo_u32 v13, v5, v11
	v_mul_lo_u32 v17, v3, v7
	v_mul_hi_u32 v11, v3, v11
	v_mul_hi_u32 v16, v3, v7
	v_add_co_u32_e32 v11, vcc, v11, v17
	v_addc_co_u32_e32 v16, vcc, 0, v16, vcc
	v_add_co_u32_e32 v11, vcc, v11, v13
	v_mul_hi_u32 v9, v5, v7
	v_addc_co_u32_e32 v11, vcc, v16, v12, vcc
	v_addc_co_u32_e32 v9, vcc, 0, v9, vcc
	v_mul_lo_u32 v7, v5, v7
	v_add_co_u32_e32 v7, vcc, v11, v7
	v_addc_co_u32_e32 v9, vcc, 0, v9, vcc
	v_add_co_u32_e32 v3, vcc, v3, v7
	v_addc_co_u32_e32 v5, vcc, v5, v9, vcc
	v_ashrrev_i32_e32 v7, 31, v15
	v_add_co_u32_e32 v9, vcc, v14, v7
	v_xor_b32_e32 v9, v9, v7
	v_addc_co_u32_e32 v11, vcc, v15, v7, vcc
	v_mad_u64_u32 v[12:13], s[0:1], v9, v5, 0
	v_mul_hi_u32 v15, v9, v3
	v_xor_b32_e32 v11, v11, v7
	v_add_co_u32_e32 v15, vcc, v15, v12
	v_addc_co_u32_e32 v18, vcc, 0, v13, vcc
	v_mad_u64_u32 v[16:17], s[0:1], v11, v3, 0
	v_add_co_u32_e32 v3, vcc, v15, v16
	v_mad_u64_u32 v[12:13], s[0:1], v11, v5, 0
	v_addc_co_u32_e32 v3, vcc, v18, v17, vcc
	v_addc_co_u32_e32 v5, vcc, 0, v13, vcc
	v_add_co_u32_e32 v3, vcc, v3, v12
	v_addc_co_u32_e32 v5, vcc, 0, v5, vcc
	v_mul_lo_u32 v15, s45, v3
	v_mul_lo_u32 v16, s44, v5
	v_mad_u64_u32 v[12:13], s[0:1], s44, v3, 0
	v_add3_u32 v13, v13, v16, v15
	v_sub_u32_e32 v15, v11, v13
	v_mov_b32_e32 v16, s45
	v_sub_co_u32_e32 v9, vcc, v9, v12
	v_subb_co_u32_e64 v12, s[0:1], v15, v16, vcc
	v_subrev_co_u32_e64 v15, s[0:1], s44, v9
	v_subbrev_co_u32_e64 v12, s[0:1], 0, v12, s[0:1]
	v_cmp_le_u32_e64 s[0:1], s45, v12
	v_cndmask_b32_e64 v16, 0, -1, s[0:1]
	v_cmp_le_u32_e64 s[0:1], s44, v15
	v_cndmask_b32_e64 v15, 0, -1, s[0:1]
	v_cmp_eq_u32_e64 s[0:1], s45, v12
	v_cndmask_b32_e64 v12, v16, v15, s[0:1]
	v_add_co_u32_e64 v15, s[0:1], 2, v3
	v_subb_co_u32_e32 v11, vcc, v11, v13, vcc
	v_addc_co_u32_e64 v16, s[0:1], 0, v5, s[0:1]
	v_cmp_le_u32_e32 vcc, s45, v11
	v_add_co_u32_e64 v17, s[0:1], 1, v3
	v_cndmask_b32_e64 v13, 0, -1, vcc
	v_cmp_le_u32_e32 vcc, s44, v9
	v_addc_co_u32_e64 v18, s[0:1], 0, v5, s[0:1]
	v_cndmask_b32_e64 v9, 0, -1, vcc
	v_cmp_eq_u32_e32 vcc, s45, v11
	v_cmp_ne_u32_e64 s[0:1], 0, v12
	v_cndmask_b32_e32 v9, v13, v9, vcc
	v_cmp_ne_u32_e32 vcc, 0, v9
	v_cndmask_b32_e64 v9, v17, v15, s[0:1]
	v_cndmask_b32_e64 v12, v18, v16, s[0:1]
	v_cndmask_b32_e32 v3, v3, v9, vcc
	v_xor_b32_e32 v9, s43, v7
	v_xor_b32_e32 v7, s42, v7
	v_cndmask_b32_e32 v5, v5, v12, vcc
	v_xor_b32_e32 v3, v3, v7
	v_xor_b32_e32 v5, v5, v9
	v_sub_co_u32_e32 v12, vcc, v3, v7
	v_subb_co_u32_e32 v13, vcc, v5, v9, vcc
.LBB9_39:                               ;   in Loop: Header=BB9_37 Depth=2
	s_andn2_saveexec_b64 s[0:1], s[40:41]
	s_cbranch_execz .LBB9_36
; %bb.40:                               ;   in Loop: Header=BB9_37 Depth=2
	v_cvt_f32_u32_e32 v3, s57
	s_sub_i32 s40, 0, s57
	v_mov_b32_e32 v13, v2
	v_rcp_iflag_f32_e32 v3, v3
	v_mul_f32_e32 v3, 0x4f7ffffe, v3
	v_cvt_u32_f32_e32 v3, v3
	v_mul_lo_u32 v5, s40, v3
	v_mul_hi_u32 v5, v3, v5
	v_add_u32_e32 v3, v3, v5
	v_mul_hi_u32 v3, v14, v3
	v_mul_lo_u32 v5, v3, s57
	v_sub_u32_e32 v5, v14, v5
	v_add_u32_e32 v7, 1, v3
	v_subrev_u32_e32 v9, s57, v5
	v_cmp_le_u32_e32 vcc, s57, v5
	v_cndmask_b32_e32 v5, v5, v9, vcc
	v_cndmask_b32_e32 v3, v3, v7, vcc
	v_add_u32_e32 v7, 1, v3
	v_cmp_le_u32_e32 vcc, s57, v5
	v_cndmask_b32_e32 v12, v3, v7, vcc
	s_branch .LBB9_36
.LBB9_41:                               ;   in Loop: Header=BB9_3 Depth=1
	v_mov_b32_e32 v3, v4
	v_sub_u32_e32 v4, v4, v6
	v_ashrrev_i32_e32 v5, 31, v4
	v_cmp_ge_i64_e32 vcc, s[8:9], v[4:5]
                                        ; implicit-def: $vgpr7
                                        ; implicit-def: $vgpr11
	s_and_saveexec_b64 s[0:1], vcc
	s_xor_b64 s[0:1], exec, s[0:1]
	s_cbranch_execnz .LBB9_44
; %bb.42:                               ;   in Loop: Header=BB9_3 Depth=1
	s_andn2_saveexec_b64 s[0:1], s[0:1]
	s_cbranch_execnz .LBB9_49
.LBB9_43:                               ;   in Loop: Header=BB9_3 Depth=1
	s_or_b64 exec, exec, s[0:1]
	v_cmp_gt_i32_e32 vcc, s13, v3
	s_and_saveexec_b64 s[0:1], vcc
	s_cbranch_execz .LBB9_2
	s_branch .LBB9_50
.LBB9_44:                               ;   in Loop: Header=BB9_3 Depth=1
	v_cmp_gt_i32_e32 vcc, s13, v3
	v_mov_b32_e32 v7, 0
	v_mov_b32_e32 v9, 0
	s_and_saveexec_b64 s[2:3], vcc
	s_cbranch_execz .LBB9_48
; %bb.45:                               ;   in Loop: Header=BB9_3 Depth=1
	v_ashrrev_i32_e32 v11, 31, v10
	v_lshlrev_b64 v[4:5], 2, v[10:11]
	v_mov_b32_e32 v7, s7
	v_add_co_u32_e32 v4, vcc, s6, v4
	v_addc_co_u32_e32 v5, vcc, v7, v5, vcc
	global_load_dword v7, v[4:5], off
	v_add_u32_e32 v9, 1, v3
	v_cmp_gt_i32_e32 vcc, s13, v9
	v_mov_b32_e32 v9, 0
	s_and_saveexec_b64 s[38:39], vcc
	s_xor_b64 s[38:39], exec, s[38:39]
	s_cbranch_execz .LBB9_47
; %bb.46:                               ;   in Loop: Header=BB9_3 Depth=1
	v_mov_b32_e32 v9, s35
	v_add_co_u32_e32 v4, vcc, s34, v4
	v_addc_co_u32_e32 v5, vcc, v5, v9, vcc
	global_load_dword v9, v[4:5], off
.LBB9_47:                               ;   in Loop: Header=BB9_3 Depth=1
	s_or_b64 exec, exec, s[38:39]
.LBB9_48:                               ;   in Loop: Header=BB9_3 Depth=1
	s_or_b64 exec, exec, s[2:3]
	v_sub_u32_e32 v4, v3, v6
	v_add_u32_e32 v12, 1, v4
	v_ashrrev_i32_e32 v5, 31, v4
	v_ashrrev_i32_e32 v13, 31, v12
	v_cmp_ge_i64_e32 vcc, s[22:23], v[4:5]
	s_waitcnt vmcnt(0)
	v_cndmask_b32_e32 v11, 0, v7, vcc
	v_cmp_ge_i64_e32 vcc, s[24:25], v[12:13]
	v_cndmask_b32_e32 v7, 0, v9, vcc
	s_andn2_saveexec_b64 s[0:1], s[0:1]
	s_cbranch_execz .LBB9_43
.LBB9_49:                               ;   in Loop: Header=BB9_3 Depth=1
	v_mov_b32_e32 v11, 0
	v_mov_b32_e32 v7, 0
	s_or_b64 exec, exec, s[0:1]
	v_cmp_gt_i32_e32 vcc, s13, v3
	s_and_saveexec_b64 s[0:1], vcc
	s_cbranch_execz .LBB9_2
.LBB9_50:                               ;   in Loop: Header=BB9_3 Depth=1
	v_ashrrev_i32_e32 v9, 31, v8
	v_lshlrev_b64 v[4:5], 2, v[8:9]
	v_mov_b32_e32 v6, s5
	v_add_co_u32_e32 v4, vcc, s4, v4
	v_addc_co_u32_e32 v5, vcc, v6, v5, vcc
	v_add_u32_e32 v3, 1, v3
	v_cmp_gt_i32_e32 vcc, s13, v3
	global_store_dword v[4:5], v11, off
	s_and_saveexec_b64 s[2:3], vcc
	s_xor_b64 s[2:3], exec, s[2:3]
	s_cbranch_execz .LBB9_2
; %bb.51:                               ;   in Loop: Header=BB9_3 Depth=1
	v_mov_b32_e32 v3, s37
	v_add_co_u32_e32 v4, vcc, s36, v4
	v_addc_co_u32_e32 v5, vcc, v5, v3, vcc
	global_store_dword v[4:5], v7, off
	s_branch .LBB9_2
.LBB9_52:
	s_endpgm
	.section	.rodata,"a",@progbits
	.p2align	6, 0x0
	.amdhsa_kernel _ZN2at6native16triu_tril_kernelIiiLb0ELi2ELb0EEEvNS_4cuda6detail10TensorInfoIT_T0_EENS4_IKS5_S6_EEllS6_
		.amdhsa_group_segment_fixed_size 0
		.amdhsa_private_segment_fixed_size 0
		.amdhsa_kernarg_size 712
		.amdhsa_user_sgpr_count 6
		.amdhsa_user_sgpr_private_segment_buffer 1
		.amdhsa_user_sgpr_dispatch_ptr 0
		.amdhsa_user_sgpr_queue_ptr 0
		.amdhsa_user_sgpr_kernarg_segment_ptr 1
		.amdhsa_user_sgpr_dispatch_id 0
		.amdhsa_user_sgpr_flat_scratch_init 0
		.amdhsa_user_sgpr_kernarg_preload_length 0
		.amdhsa_user_sgpr_kernarg_preload_offset 0
		.amdhsa_user_sgpr_private_segment_size 0
		.amdhsa_uses_dynamic_stack 0
		.amdhsa_system_sgpr_private_segment_wavefront_offset 0
		.amdhsa_system_sgpr_workgroup_id_x 1
		.amdhsa_system_sgpr_workgroup_id_y 0
		.amdhsa_system_sgpr_workgroup_id_z 0
		.amdhsa_system_sgpr_workgroup_info 0
		.amdhsa_system_vgpr_workitem_id 0
		.amdhsa_next_free_vgpr 26
		.amdhsa_next_free_sgpr 66
		.amdhsa_accum_offset 28
		.amdhsa_reserve_vcc 1
		.amdhsa_reserve_flat_scratch 0
		.amdhsa_float_round_mode_32 0
		.amdhsa_float_round_mode_16_64 0
		.amdhsa_float_denorm_mode_32 3
		.amdhsa_float_denorm_mode_16_64 3
		.amdhsa_dx10_clamp 1
		.amdhsa_ieee_mode 1
		.amdhsa_fp16_overflow 0
		.amdhsa_tg_split 0
		.amdhsa_exception_fp_ieee_invalid_op 0
		.amdhsa_exception_fp_denorm_src 0
		.amdhsa_exception_fp_ieee_div_zero 0
		.amdhsa_exception_fp_ieee_overflow 0
		.amdhsa_exception_fp_ieee_underflow 0
		.amdhsa_exception_fp_ieee_inexact 0
		.amdhsa_exception_int_div_zero 0
	.end_amdhsa_kernel
	.section	.text._ZN2at6native16triu_tril_kernelIiiLb0ELi2ELb0EEEvNS_4cuda6detail10TensorInfoIT_T0_EENS4_IKS5_S6_EEllS6_,"axG",@progbits,_ZN2at6native16triu_tril_kernelIiiLb0ELi2ELb0EEEvNS_4cuda6detail10TensorInfoIT_T0_EENS4_IKS5_S6_EEllS6_,comdat
.Lfunc_end9:
	.size	_ZN2at6native16triu_tril_kernelIiiLb0ELi2ELb0EEEvNS_4cuda6detail10TensorInfoIT_T0_EENS4_IKS5_S6_EEllS6_, .Lfunc_end9-_ZN2at6native16triu_tril_kernelIiiLb0ELi2ELb0EEEvNS_4cuda6detail10TensorInfoIT_T0_EENS4_IKS5_S6_EEllS6_
                                        ; -- End function
	.section	.AMDGPU.csdata,"",@progbits
; Kernel info:
; codeLenInByte = 7652
; NumSgprs: 70
; NumVgprs: 26
; NumAgprs: 0
; TotalNumVgprs: 26
; ScratchSize: 0
; MemoryBound: 0
; FloatMode: 240
; IeeeMode: 1
; LDSByteSize: 0 bytes/workgroup (compile time only)
; SGPRBlocks: 8
; VGPRBlocks: 3
; NumSGPRsForWavesPerEU: 70
; NumVGPRsForWavesPerEU: 26
; AccumOffset: 28
; Occupancy: 8
; WaveLimiterHint : 0
; COMPUTE_PGM_RSRC2:SCRATCH_EN: 0
; COMPUTE_PGM_RSRC2:USER_SGPR: 6
; COMPUTE_PGM_RSRC2:TRAP_HANDLER: 0
; COMPUTE_PGM_RSRC2:TGID_X_EN: 1
; COMPUTE_PGM_RSRC2:TGID_Y_EN: 0
; COMPUTE_PGM_RSRC2:TGID_Z_EN: 0
; COMPUTE_PGM_RSRC2:TIDIG_COMP_CNT: 0
; COMPUTE_PGM_RSRC3_GFX90A:ACCUM_OFFSET: 6
; COMPUTE_PGM_RSRC3_GFX90A:TG_SPLIT: 0
	.section	.text._ZN2at6native16triu_tril_kernelIilLb0ELi2ELb1EEEvNS_4cuda6detail10TensorInfoIT_T0_EENS4_IKS5_S6_EEllS6_,"axG",@progbits,_ZN2at6native16triu_tril_kernelIilLb0ELi2ELb1EEEvNS_4cuda6detail10TensorInfoIT_T0_EENS4_IKS5_S6_EEllS6_,comdat
	.protected	_ZN2at6native16triu_tril_kernelIilLb0ELi2ELb1EEEvNS_4cuda6detail10TensorInfoIT_T0_EENS4_IKS5_S6_EEllS6_ ; -- Begin function _ZN2at6native16triu_tril_kernelIilLb0ELi2ELb1EEEvNS_4cuda6detail10TensorInfoIT_T0_EENS4_IKS5_S6_EEllS6_
	.globl	_ZN2at6native16triu_tril_kernelIilLb0ELi2ELb1EEEvNS_4cuda6detail10TensorInfoIT_T0_EENS4_IKS5_S6_EEllS6_
	.p2align	8
	.type	_ZN2at6native16triu_tril_kernelIilLb0ELi2ELb1EEEvNS_4cuda6detail10TensorInfoIT_T0_EENS4_IKS5_S6_EEllS6_,@function
_ZN2at6native16triu_tril_kernelIilLb0ELi2ELb1EEEvNS_4cuda6detail10TensorInfoIT_T0_EENS4_IKS5_S6_EEllS6_: ; @_ZN2at6native16triu_tril_kernelIilLb0ELi2ELb1EEEvNS_4cuda6detail10TensorInfoIT_T0_EENS4_IKS5_S6_EEllS6_
; %bb.0:
	s_load_dword s2, s[4:5], 0x364
	s_load_dwordx4 s[8:11], s[4:5], 0x340
	s_add_u32 s0, s4, 0x358
	v_mov_b32_e32 v2, 0
	s_addc_u32 s1, s5, 0
	s_waitcnt lgkmcnt(0)
	s_and_b32 s12, s2, 0xffff
	v_mov_b32_e32 v1, v2
	v_mov_b32_e32 v3, s6
	v_mad_u64_u32 v[0:1], s[2:3], s12, v3, v[0:1]
	v_lshlrev_b64 v[0:1], 1, v[0:1]
	v_cmp_gt_i64_e32 vcc, s[10:11], v[0:1]
	s_and_saveexec_b64 s[2:3], vcc
	s_cbranch_execz .LBB10_23
; %bb.1:
	s_load_dword s13, s[0:1], 0x0
	s_load_dword s18, s[4:5], 0x338
	s_load_dwordx2 s[2:3], s[4:5], 0x350
	s_load_dwordx2 s[6:7], s[4:5], 0x0
	s_mov_b32 s48, 0
	s_waitcnt lgkmcnt(0)
	s_mul_i32 s20, s13, s12
	s_ashr_i32 s19, s18, 31
	s_add_u32 s24, s4, 0x1a8
	s_addc_u32 s25, s5, 0
	s_lshl_b64 s[0:1], s[18:19], 3
	s_add_u32 s16, s0, -16
	s_addc_u32 s17, s1, -1
	s_add_u32 s14, s24, s16
	s_addc_u32 s15, s25, s17
	v_cmp_gt_i64_e64 s[12:13], s[18:19], 2
	s_add_u32 s19, s0, -8
	s_addc_u32 s21, s1, -1
	s_add_u32 s26, s4, 0xd0
	s_addc_u32 s27, s5, 0
	s_add_u32 s4, s26, s19
	v_cvt_f32_u32_e32 v3, s2
	s_addc_u32 s5, s27, s21
	s_add_u32 s16, s26, s16
	s_addc_u32 s17, s27, s17
	s_add_i32 s0, s18, -3
	s_ashr_i32 s1, s0, 31
	v_rcp_iflag_f32_e32 v3, v3
	s_add_u32 s18, s24, s19
	s_addc_u32 s19, s25, s21
	s_lshl_b32 s33, s20, 1
	s_lshl_b64 s[22:23], s[0:1], 3
	s_add_u32 s20, s26, s22
	s_load_dwordx2 s[14:15], s[14:15], 0x0
	s_addc_u32 s21, s27, s23
	v_mul_f32_e32 v3, 0x4f7ffffe, v3
	s_add_u32 s22, s24, s22
	v_cvt_u32_f32_e32 v14, v3
	s_addc_u32 s23, s25, s23
	s_add_u32 s24, s0, 1
	s_addc_u32 s25, s1, 0
	s_mov_b64 s[26:27], 0
	s_branch .LBB10_3
.LBB10_2:                               ;   in Loop: Header=BB10_3 Depth=1
	s_or_b64 exec, exec, s[28:29]
	v_mov_b32_e32 v3, s48
	v_add_co_u32_e32 v0, vcc, s33, v0
	v_addc_co_u32_e32 v1, vcc, v1, v3, vcc
	v_cmp_le_i64_e32 vcc, s[10:11], v[0:1]
	s_or_b64 s[26:27], vcc, s[26:27]
	s_andn2_b64 exec, exec, s[26:27]
	s_cbranch_execz .LBB10_23
.LBB10_3:                               ; =>This Loop Header: Depth=1
                                        ;     Child Loop BB10_19 Depth 2
	v_or_b32_e32 v3, s3, v1
	v_cmp_ne_u64_e32 vcc, 0, v[2:3]
                                        ; implicit-def: $vgpr6_vgpr7
	s_and_saveexec_b64 s[0:1], vcc
	s_xor_b64 s[28:29], exec, s[0:1]
	s_cbranch_execz .LBB10_5
; %bb.4:                                ;   in Loop: Header=BB10_3 Depth=1
	s_ashr_i32 s30, s3, 31
	s_add_u32 s0, s2, s30
	s_mov_b32 s31, s30
	s_addc_u32 s1, s3, s30
	s_xor_b64 s[34:35], s[0:1], s[30:31]
	v_cvt_f32_u32_e32 v3, s34
	v_cvt_f32_u32_e32 v4, s35
	s_sub_u32 s0, 0, s34
	s_subb_u32 s1, 0, s35
	v_mac_f32_e32 v3, 0x4f800000, v4
	v_rcp_f32_e32 v3, v3
	v_mul_f32_e32 v3, 0x5f7ffffc, v3
	v_mul_f32_e32 v4, 0x2f800000, v3
	v_trunc_f32_e32 v4, v4
	v_mac_f32_e32 v3, 0xcf800000, v4
	v_cvt_u32_f32_e32 v4, v4
	v_cvt_u32_f32_e32 v3, v3
	v_mul_lo_u32 v5, s0, v4
	v_mul_hi_u32 v7, s0, v3
	v_mul_lo_u32 v6, s1, v3
	v_add_u32_e32 v5, v7, v5
	v_mul_lo_u32 v8, s0, v3
	v_add_u32_e32 v5, v5, v6
	v_mul_lo_u32 v7, v3, v5
	v_mul_hi_u32 v9, v3, v8
	v_mul_hi_u32 v6, v3, v5
	v_add_co_u32_e32 v7, vcc, v9, v7
	v_addc_co_u32_e32 v6, vcc, 0, v6, vcc
	v_mul_hi_u32 v10, v4, v8
	v_mul_lo_u32 v8, v4, v8
	v_add_co_u32_e32 v7, vcc, v7, v8
	v_mul_hi_u32 v9, v4, v5
	v_addc_co_u32_e32 v6, vcc, v6, v10, vcc
	v_addc_co_u32_e32 v7, vcc, 0, v9, vcc
	v_mul_lo_u32 v5, v4, v5
	v_add_co_u32_e32 v5, vcc, v6, v5
	v_addc_co_u32_e32 v6, vcc, 0, v7, vcc
	v_add_co_u32_e32 v3, vcc, v3, v5
	v_addc_co_u32_e32 v4, vcc, v4, v6, vcc
	v_mul_lo_u32 v5, s0, v4
	v_mul_hi_u32 v6, s0, v3
	v_add_u32_e32 v5, v6, v5
	v_mul_lo_u32 v6, s1, v3
	v_add_u32_e32 v5, v5, v6
	v_mul_lo_u32 v7, s0, v3
	v_mul_hi_u32 v8, v4, v7
	v_mul_lo_u32 v9, v4, v7
	v_mul_lo_u32 v11, v3, v5
	v_mul_hi_u32 v7, v3, v7
	v_mul_hi_u32 v10, v3, v5
	v_add_co_u32_e32 v7, vcc, v7, v11
	v_addc_co_u32_e32 v10, vcc, 0, v10, vcc
	v_add_co_u32_e32 v7, vcc, v7, v9
	v_mul_hi_u32 v6, v4, v5
	v_addc_co_u32_e32 v7, vcc, v10, v8, vcc
	v_addc_co_u32_e32 v6, vcc, 0, v6, vcc
	v_mul_lo_u32 v5, v4, v5
	v_add_co_u32_e32 v5, vcc, v7, v5
	v_addc_co_u32_e32 v6, vcc, 0, v6, vcc
	v_add_co_u32_e32 v3, vcc, v3, v5
	v_addc_co_u32_e32 v6, vcc, v4, v6, vcc
	v_ashrrev_i32_e32 v8, 31, v1
	v_add_co_u32_e32 v4, vcc, v0, v8
	v_addc_co_u32_e32 v5, vcc, v1, v8, vcc
	v_xor_b32_e32 v10, v4, v8
	v_xor_b32_e32 v9, v5, v8
	v_mad_u64_u32 v[4:5], s[0:1], v10, v6, 0
	v_mul_hi_u32 v7, v10, v3
	v_add_co_u32_e32 v11, vcc, v7, v4
	v_addc_co_u32_e32 v12, vcc, 0, v5, vcc
	v_mad_u64_u32 v[4:5], s[0:1], v9, v6, 0
	v_mad_u64_u32 v[6:7], s[0:1], v9, v3, 0
	v_add_co_u32_e32 v3, vcc, v11, v6
	v_addc_co_u32_e32 v3, vcc, v12, v7, vcc
	v_addc_co_u32_e32 v5, vcc, 0, v5, vcc
	v_add_co_u32_e32 v3, vcc, v3, v4
	v_addc_co_u32_e32 v6, vcc, 0, v5, vcc
	v_mul_lo_u32 v7, s35, v3
	v_mul_lo_u32 v11, s34, v6
	v_mad_u64_u32 v[4:5], s[0:1], s34, v3, 0
	v_add3_u32 v5, v5, v11, v7
	v_sub_u32_e32 v7, v9, v5
	v_mov_b32_e32 v11, s35
	v_sub_co_u32_e32 v4, vcc, v10, v4
	v_subb_co_u32_e64 v7, s[0:1], v7, v11, vcc
	v_subrev_co_u32_e64 v10, s[0:1], s34, v4
	v_subbrev_co_u32_e64 v7, s[0:1], 0, v7, s[0:1]
	v_cmp_le_u32_e64 s[0:1], s35, v7
	v_cndmask_b32_e64 v11, 0, -1, s[0:1]
	v_cmp_le_u32_e64 s[0:1], s34, v10
	v_cndmask_b32_e64 v10, 0, -1, s[0:1]
	v_cmp_eq_u32_e64 s[0:1], s35, v7
	v_cndmask_b32_e64 v7, v11, v10, s[0:1]
	v_add_co_u32_e64 v10, s[0:1], 2, v3
	v_subb_co_u32_e32 v5, vcc, v9, v5, vcc
	v_addc_co_u32_e64 v11, s[0:1], 0, v6, s[0:1]
	v_cmp_le_u32_e32 vcc, s35, v5
	v_add_co_u32_e64 v12, s[0:1], 1, v3
	v_cndmask_b32_e64 v9, 0, -1, vcc
	v_cmp_le_u32_e32 vcc, s34, v4
	v_addc_co_u32_e64 v13, s[0:1], 0, v6, s[0:1]
	v_cndmask_b32_e64 v4, 0, -1, vcc
	v_cmp_eq_u32_e32 vcc, s35, v5
	v_cmp_ne_u32_e64 s[0:1], 0, v7
	v_cndmask_b32_e32 v4, v9, v4, vcc
	v_cmp_ne_u32_e32 vcc, 0, v4
	v_cndmask_b32_e64 v5, v12, v10, s[0:1]
	v_cndmask_b32_e64 v7, v13, v11, s[0:1]
	v_cndmask_b32_e32 v3, v3, v5, vcc
	v_xor_b32_e32 v5, s30, v8
	v_cndmask_b32_e32 v4, v6, v7, vcc
	v_xor_b32_e32 v3, v3, v5
	v_xor_b32_e32 v4, v4, v5
	v_sub_co_u32_e32 v6, vcc, v3, v5
	v_subb_co_u32_e32 v7, vcc, v4, v5, vcc
.LBB10_5:                               ;   in Loop: Header=BB10_3 Depth=1
	s_andn2_saveexec_b64 s[0:1], s[28:29]
	s_cbranch_execz .LBB10_7
; %bb.6:                                ;   in Loop: Header=BB10_3 Depth=1
	s_sub_i32 s28, 0, s2
	v_mul_lo_u32 v3, s28, v14
	v_mul_hi_u32 v3, v14, v3
	v_add_u32_e32 v3, v14, v3
	v_mul_hi_u32 v3, v0, v3
	v_mul_lo_u32 v4, v3, s2
	v_sub_u32_e32 v4, v0, v4
	v_subrev_u32_e32 v5, s2, v4
	v_cmp_le_u32_e32 vcc, s2, v4
	v_cndmask_b32_e32 v4, v4, v5, vcc
	v_add_u32_e32 v5, 1, v3
	v_cndmask_b32_e32 v3, v3, v5, vcc
	v_add_u32_e32 v5, 1, v3
	v_cmp_le_u32_e32 vcc, s2, v4
	v_cndmask_b32_e32 v6, v3, v5, vcc
	v_mov_b32_e32 v7, v2
.LBB10_7:                               ;   in Loop: Header=BB10_3 Depth=1
	s_or_b64 exec, exec, s[0:1]
	s_waitcnt lgkmcnt(0)
	v_or_b32_e32 v3, s15, v7
	v_cmp_ne_u64_e32 vcc, 0, v[2:3]
                                        ; implicit-def: $vgpr8_vgpr9
	s_and_saveexec_b64 s[0:1], vcc
	s_xor_b64 s[28:29], exec, s[0:1]
	s_cbranch_execz .LBB10_9
; %bb.8:                                ;   in Loop: Header=BB10_3 Depth=1
	s_ashr_i32 s30, s15, 31
	s_add_u32 s0, s14, s30
	s_mov_b32 s31, s30
	s_addc_u32 s1, s15, s30
	s_xor_b64 s[34:35], s[0:1], s[30:31]
	v_cvt_f32_u32_e32 v3, s34
	v_cvt_f32_u32_e32 v4, s35
	s_sub_u32 s0, 0, s34
	s_subb_u32 s1, 0, s35
	v_mac_f32_e32 v3, 0x4f800000, v4
	v_rcp_f32_e32 v3, v3
	v_mul_f32_e32 v3, 0x5f7ffffc, v3
	v_mul_f32_e32 v4, 0x2f800000, v3
	v_trunc_f32_e32 v4, v4
	v_mac_f32_e32 v3, 0xcf800000, v4
	v_cvt_u32_f32_e32 v4, v4
	v_cvt_u32_f32_e32 v3, v3
	v_mul_lo_u32 v5, s0, v4
	v_mul_hi_u32 v9, s0, v3
	v_mul_lo_u32 v8, s1, v3
	v_add_u32_e32 v5, v9, v5
	v_mul_lo_u32 v10, s0, v3
	v_add_u32_e32 v5, v5, v8
	v_mul_lo_u32 v9, v3, v5
	v_mul_hi_u32 v11, v3, v10
	v_mul_hi_u32 v8, v3, v5
	v_add_co_u32_e32 v9, vcc, v11, v9
	v_addc_co_u32_e32 v8, vcc, 0, v8, vcc
	v_mul_hi_u32 v12, v4, v10
	v_mul_lo_u32 v10, v4, v10
	v_add_co_u32_e32 v9, vcc, v9, v10
	v_mul_hi_u32 v11, v4, v5
	v_addc_co_u32_e32 v8, vcc, v8, v12, vcc
	v_addc_co_u32_e32 v9, vcc, 0, v11, vcc
	v_mul_lo_u32 v5, v4, v5
	v_add_co_u32_e32 v5, vcc, v8, v5
	v_addc_co_u32_e32 v8, vcc, 0, v9, vcc
	v_add_co_u32_e32 v3, vcc, v3, v5
	v_addc_co_u32_e32 v4, vcc, v4, v8, vcc
	v_mul_lo_u32 v5, s0, v4
	v_mul_hi_u32 v8, s0, v3
	v_add_u32_e32 v5, v8, v5
	v_mul_lo_u32 v8, s1, v3
	v_add_u32_e32 v5, v5, v8
	v_mul_lo_u32 v9, s0, v3
	v_mul_hi_u32 v10, v4, v9
	v_mul_lo_u32 v11, v4, v9
	v_mul_lo_u32 v13, v3, v5
	v_mul_hi_u32 v9, v3, v9
	v_mul_hi_u32 v12, v3, v5
	v_add_co_u32_e32 v9, vcc, v9, v13
	v_addc_co_u32_e32 v12, vcc, 0, v12, vcc
	v_add_co_u32_e32 v9, vcc, v9, v11
	v_mul_hi_u32 v8, v4, v5
	v_addc_co_u32_e32 v9, vcc, v12, v10, vcc
	v_addc_co_u32_e32 v8, vcc, 0, v8, vcc
	v_mul_lo_u32 v5, v4, v5
	v_add_co_u32_e32 v5, vcc, v9, v5
	v_addc_co_u32_e32 v8, vcc, 0, v8, vcc
	v_add_co_u32_e32 v3, vcc, v3, v5
	v_addc_co_u32_e32 v8, vcc, v4, v8, vcc
	v_ashrrev_i32_e32 v10, 31, v7
	v_add_co_u32_e32 v4, vcc, v6, v10
	v_addc_co_u32_e32 v5, vcc, v7, v10, vcc
	v_xor_b32_e32 v12, v4, v10
	v_xor_b32_e32 v11, v5, v10
	v_mad_u64_u32 v[4:5], s[0:1], v12, v8, 0
	v_mul_hi_u32 v9, v12, v3
	v_add_co_u32_e32 v13, vcc, v9, v4
	v_addc_co_u32_e32 v15, vcc, 0, v5, vcc
	v_mad_u64_u32 v[4:5], s[0:1], v11, v8, 0
	v_mad_u64_u32 v[8:9], s[0:1], v11, v3, 0
	v_add_co_u32_e32 v3, vcc, v13, v8
	v_addc_co_u32_e32 v3, vcc, v15, v9, vcc
	v_addc_co_u32_e32 v5, vcc, 0, v5, vcc
	v_add_co_u32_e32 v3, vcc, v3, v4
	v_addc_co_u32_e32 v8, vcc, 0, v5, vcc
	v_mul_lo_u32 v9, s35, v3
	v_mul_lo_u32 v13, s34, v8
	v_mad_u64_u32 v[4:5], s[0:1], s34, v3, 0
	v_add3_u32 v5, v5, v13, v9
	v_sub_u32_e32 v9, v11, v5
	v_mov_b32_e32 v13, s35
	v_sub_co_u32_e32 v4, vcc, v12, v4
	v_subb_co_u32_e64 v9, s[0:1], v9, v13, vcc
	v_subrev_co_u32_e64 v12, s[0:1], s34, v4
	v_subbrev_co_u32_e64 v9, s[0:1], 0, v9, s[0:1]
	v_cmp_le_u32_e64 s[0:1], s35, v9
	v_cndmask_b32_e64 v13, 0, -1, s[0:1]
	v_cmp_le_u32_e64 s[0:1], s34, v12
	v_cndmask_b32_e64 v12, 0, -1, s[0:1]
	v_cmp_eq_u32_e64 s[0:1], s35, v9
	v_cndmask_b32_e64 v9, v13, v12, s[0:1]
	v_add_co_u32_e64 v12, s[0:1], 2, v3
	v_subb_co_u32_e32 v5, vcc, v11, v5, vcc
	v_addc_co_u32_e64 v13, s[0:1], 0, v8, s[0:1]
	v_cmp_le_u32_e32 vcc, s35, v5
	v_add_co_u32_e64 v15, s[0:1], 1, v3
	v_cndmask_b32_e64 v11, 0, -1, vcc
	v_cmp_le_u32_e32 vcc, s34, v4
	v_addc_co_u32_e64 v16, s[0:1], 0, v8, s[0:1]
	v_cndmask_b32_e64 v4, 0, -1, vcc
	v_cmp_eq_u32_e32 vcc, s35, v5
	v_cmp_ne_u32_e64 s[0:1], 0, v9
	v_cndmask_b32_e32 v4, v11, v4, vcc
	v_cmp_ne_u32_e32 vcc, 0, v4
	v_cndmask_b32_e64 v5, v15, v12, s[0:1]
	v_cndmask_b32_e64 v9, v16, v13, s[0:1]
	v_cndmask_b32_e32 v3, v3, v5, vcc
	v_xor_b32_e32 v5, s30, v10
	v_cndmask_b32_e32 v4, v8, v9, vcc
	v_xor_b32_e32 v3, v3, v5
	v_xor_b32_e32 v4, v4, v5
	v_sub_co_u32_e32 v8, vcc, v3, v5
	v_subb_co_u32_e32 v9, vcc, v4, v5, vcc
.LBB10_9:                               ;   in Loop: Header=BB10_3 Depth=1
	s_andn2_saveexec_b64 s[0:1], s[28:29]
	s_cbranch_execz .LBB10_11
; %bb.10:                               ;   in Loop: Header=BB10_3 Depth=1
	v_cvt_f32_u32_e32 v3, s14
	s_sub_i32 s28, 0, s14
	v_mov_b32_e32 v9, v2
	v_rcp_iflag_f32_e32 v3, v3
	v_mul_f32_e32 v3, 0x4f7ffffe, v3
	v_cvt_u32_f32_e32 v3, v3
	v_mul_lo_u32 v4, s28, v3
	v_mul_hi_u32 v4, v3, v4
	v_add_u32_e32 v3, v3, v4
	v_mul_hi_u32 v3, v6, v3
	v_mul_lo_u32 v4, v3, s14
	v_sub_u32_e32 v4, v6, v4
	v_add_u32_e32 v5, 1, v3
	v_subrev_u32_e32 v8, s14, v4
	v_cmp_le_u32_e32 vcc, s14, v4
	v_cndmask_b32_e32 v4, v4, v8, vcc
	v_cndmask_b32_e32 v3, v3, v5, vcc
	v_add_u32_e32 v5, 1, v3
	v_cmp_le_u32_e32 vcc, s14, v4
	v_cndmask_b32_e32 v8, v3, v5, vcc
.LBB10_11:                              ;   in Loop: Header=BB10_3 Depth=1
	s_or_b64 exec, exec, s[0:1]
	v_mul_lo_u32 v3, v7, s2
	v_mul_lo_u32 v10, v6, s3
	v_mad_u64_u32 v[4:5], s[0:1], v6, s2, 0
	v_add3_u32 v3, v5, v10, v3
	v_sub_co_u32_e32 v4, vcc, v0, v4
	v_subb_co_u32_e32 v5, vcc, v1, v3, vcc
	v_mul_lo_u32 v3, v9, s14
	v_mul_lo_u32 v12, v8, s15
	v_mad_u64_u32 v[10:11], s[0:1], v8, s14, 0
	v_add3_u32 v3, v11, v12, v3
	v_sub_co_u32_e32 v15, vcc, v6, v10
	v_subb_co_u32_e32 v16, vcc, v7, v3, vcc
	v_sub_co_u32_e32 v6, vcc, v4, v15
	v_subb_co_u32_e32 v7, vcc, v5, v16, vcc
	v_add_co_u32_e32 v10, vcc, 2, v6
	v_addc_co_u32_e32 v11, vcc, 0, v7, vcc
	v_cmp_lt_i64_e32 vcc, s[8:9], v[10:11]
	s_and_saveexec_b64 s[28:29], vcc
	s_cbranch_execz .LBB10_2
; %bb.12:                               ;   in Loop: Header=BB10_3 Depth=1
	s_load_dwordx2 s[30:31], s[4:5], 0x0
	s_load_dwordx2 s[0:1], s[16:17], 0x0
	s_and_b64 vcc, exec, s[12:13]
	s_mov_b64 s[36:37], s[22:23]
	s_mov_b64 s[38:39], s[20:21]
	s_waitcnt lgkmcnt(0)
	v_mul_lo_u32 v3, s31, v4
	v_mul_lo_u32 v12, s30, v5
	v_mad_u64_u32 v[10:11], s[34:35], s30, v4, 0
	v_add3_u32 v11, v11, v12, v3
	v_mad_u64_u32 v[10:11], s[34:35], s0, v15, v[10:11]
	v_mul_lo_u32 v3, s0, v16
	v_mul_lo_u32 v12, s1, v15
	v_add3_u32 v11, v12, v11, v3
	s_mov_b64 s[34:35], s[24:25]
	s_cbranch_vccnz .LBB10_19
.LBB10_13:                              ;   in Loop: Header=BB10_3 Depth=1
	s_load_dwordx2 s[0:1], s[18:19], 0x0
	s_waitcnt lgkmcnt(0)
	v_cmp_gt_i64_e32 vcc, s[0:1], v[4:5]
	s_and_b64 exec, exec, vcc
	s_cbranch_execz .LBB10_2
; %bb.14:                               ;   in Loop: Header=BB10_3 Depth=1
	v_lshlrev_b64 v[8:9], 2, v[10:11]
	v_mov_b32_e32 v3, s7
	v_add_co_u32_e32 v8, vcc, s6, v8
	v_addc_co_u32_e32 v9, vcc, v3, v9, vcc
	v_cmp_lt_i64_e32 vcc, s[8:9], v[6:7]
	s_and_saveexec_b64 s[34:35], vcc
	s_cbranch_execz .LBB10_16
; %bb.15:                               ;   in Loop: Header=BB10_3 Depth=1
	global_store_dword v[8:9], v2, off
.LBB10_16:                              ;   in Loop: Header=BB10_3 Depth=1
	s_or_b64 exec, exec, s[34:35]
	v_add_co_u32_e32 v4, vcc, 1, v4
	v_addc_co_u32_e32 v5, vcc, 0, v5, vcc
	v_cmp_gt_i64_e32 vcc, s[0:1], v[4:5]
	v_sub_co_u32_e64 v4, s[0:1], v4, v15
	v_subb_co_u32_e64 v5, s[0:1], v5, v16, s[0:1]
	v_cmp_lt_i64_e64 s[0:1], s[8:9], v[4:5]
	s_and_b64 s[0:1], vcc, s[0:1]
	s_and_b64 exec, exec, s[0:1]
	s_cbranch_execz .LBB10_2
; %bb.17:                               ;   in Loop: Header=BB10_3 Depth=1
	s_lshl_b64 s[0:1], s[30:31], 2
	v_mov_b32_e32 v3, s1
	v_add_co_u32_e32 v4, vcc, s0, v8
	v_addc_co_u32_e32 v5, vcc, v9, v3, vcc
	global_store_dword v[4:5], v2, off
	s_branch .LBB10_2
.LBB10_18:                              ;   in Loop: Header=BB10_19 Depth=2
	s_or_b64 exec, exec, s[0:1]
	v_mad_u64_u32 v[18:19], s[0:1], v12, s40, 0
	s_load_dwordx2 s[0:1], s[38:39], 0x0
	s_add_u32 s38, s38, -8
	s_addc_u32 s39, s39, -1
	v_mul_lo_u32 v3, v13, s40
	v_mul_lo_u32 v17, v12, s41
	s_add_u32 s36, s36, -8
	v_add3_u32 v3, v19, v17, v3
	v_sub_co_u32_e32 v8, vcc, v8, v18
	s_addc_u32 s37, s37, -1
	v_subb_co_u32_e32 v3, vcc, v9, v3, vcc
	s_add_u32 s34, s34, -1
	s_waitcnt lgkmcnt(0)
	v_mul_lo_u32 v3, s0, v3
	v_mul_lo_u32 v9, s1, v8
	v_mad_u64_u32 v[10:11], s[0:1], s0, v8, v[10:11]
	s_addc_u32 s35, s35, -1
	v_cmp_lt_i64_e64 s[0:1], s[34:35], 1
	v_add3_u32 v11, v9, v11, v3
	s_and_b64 vcc, exec, s[0:1]
	v_pk_mov_b32 v[8:9], v[12:13], v[12:13] op_sel:[0,1]
	s_cbranch_vccnz .LBB10_13
.LBB10_19:                              ;   Parent Loop BB10_3 Depth=1
                                        ; =>  This Inner Loop Header: Depth=2
	s_load_dwordx2 s[40:41], s[36:37], 0x0
                                        ; implicit-def: $vgpr12_vgpr13
	s_waitcnt lgkmcnt(0)
	v_or_b32_e32 v3, s41, v9
	v_cmp_ne_u64_e32 vcc, 0, v[2:3]
	s_and_saveexec_b64 s[0:1], vcc
	s_xor_b64 s[42:43], exec, s[0:1]
	s_cbranch_execz .LBB10_21
; %bb.20:                               ;   in Loop: Header=BB10_19 Depth=2
	s_ashr_i32 s44, s41, 31
	s_add_u32 s0, s40, s44
	s_mov_b32 s45, s44
	s_addc_u32 s1, s41, s44
	s_xor_b64 s[46:47], s[0:1], s[44:45]
	v_cvt_f32_u32_e32 v3, s46
	v_cvt_f32_u32_e32 v12, s47
	s_sub_u32 s0, 0, s46
	s_subb_u32 s1, 0, s47
	v_mac_f32_e32 v3, 0x4f800000, v12
	v_rcp_f32_e32 v3, v3
	v_mul_f32_e32 v3, 0x5f7ffffc, v3
	v_mul_f32_e32 v12, 0x2f800000, v3
	v_trunc_f32_e32 v12, v12
	v_mac_f32_e32 v3, 0xcf800000, v12
	v_cvt_u32_f32_e32 v12, v12
	v_cvt_u32_f32_e32 v3, v3
	v_mul_lo_u32 v13, s0, v12
	v_mul_hi_u32 v18, s0, v3
	v_mul_lo_u32 v17, s1, v3
	v_add_u32_e32 v13, v18, v13
	v_mul_lo_u32 v19, s0, v3
	v_add_u32_e32 v13, v13, v17
	v_mul_lo_u32 v18, v3, v13
	v_mul_hi_u32 v20, v3, v19
	v_mul_hi_u32 v17, v3, v13
	v_add_co_u32_e32 v18, vcc, v20, v18
	v_addc_co_u32_e32 v17, vcc, 0, v17, vcc
	v_mul_hi_u32 v21, v12, v19
	v_mul_lo_u32 v19, v12, v19
	v_add_co_u32_e32 v18, vcc, v18, v19
	v_mul_hi_u32 v20, v12, v13
	v_addc_co_u32_e32 v17, vcc, v17, v21, vcc
	v_addc_co_u32_e32 v18, vcc, 0, v20, vcc
	v_mul_lo_u32 v13, v12, v13
	v_add_co_u32_e32 v13, vcc, v17, v13
	v_addc_co_u32_e32 v17, vcc, 0, v18, vcc
	v_add_co_u32_e32 v3, vcc, v3, v13
	v_addc_co_u32_e32 v12, vcc, v12, v17, vcc
	v_mul_lo_u32 v13, s0, v12
	v_mul_hi_u32 v17, s0, v3
	v_add_u32_e32 v13, v17, v13
	v_mul_lo_u32 v17, s1, v3
	v_add_u32_e32 v13, v13, v17
	v_mul_lo_u32 v18, s0, v3
	v_mul_hi_u32 v19, v12, v18
	v_mul_lo_u32 v20, v12, v18
	v_mul_lo_u32 v22, v3, v13
	v_mul_hi_u32 v18, v3, v18
	v_mul_hi_u32 v21, v3, v13
	v_add_co_u32_e32 v18, vcc, v18, v22
	v_addc_co_u32_e32 v21, vcc, 0, v21, vcc
	v_add_co_u32_e32 v18, vcc, v18, v20
	v_mul_hi_u32 v17, v12, v13
	v_addc_co_u32_e32 v18, vcc, v21, v19, vcc
	v_addc_co_u32_e32 v17, vcc, 0, v17, vcc
	v_mul_lo_u32 v13, v12, v13
	v_add_co_u32_e32 v13, vcc, v18, v13
	v_addc_co_u32_e32 v17, vcc, 0, v17, vcc
	v_add_co_u32_e32 v3, vcc, v3, v13
	v_addc_co_u32_e32 v17, vcc, v12, v17, vcc
	v_ashrrev_i32_e32 v20, 31, v9
	v_add_co_u32_e32 v12, vcc, v8, v20
	v_addc_co_u32_e32 v13, vcc, v9, v20, vcc
	v_xor_b32_e32 v22, v12, v20
	v_xor_b32_e32 v21, v13, v20
	v_mad_u64_u32 v[12:13], s[0:1], v22, v17, 0
	v_mul_hi_u32 v18, v22, v3
	v_add_co_u32_e32 v23, vcc, v18, v12
	v_addc_co_u32_e32 v24, vcc, 0, v13, vcc
	v_mad_u64_u32 v[18:19], s[0:1], v21, v3, 0
	v_add_co_u32_e32 v3, vcc, v23, v18
	v_mad_u64_u32 v[12:13], s[0:1], v21, v17, 0
	v_addc_co_u32_e32 v3, vcc, v24, v19, vcc
	v_addc_co_u32_e32 v13, vcc, 0, v13, vcc
	v_add_co_u32_e32 v3, vcc, v3, v12
	v_addc_co_u32_e32 v17, vcc, 0, v13, vcc
	v_mul_lo_u32 v18, s47, v3
	v_mul_lo_u32 v19, s46, v17
	v_mad_u64_u32 v[12:13], s[0:1], s46, v3, 0
	v_add3_u32 v13, v13, v19, v18
	v_sub_u32_e32 v18, v21, v13
	v_mov_b32_e32 v19, s47
	v_sub_co_u32_e32 v12, vcc, v22, v12
	v_subb_co_u32_e64 v18, s[0:1], v18, v19, vcc
	v_subrev_co_u32_e64 v19, s[0:1], s46, v12
	v_subbrev_co_u32_e64 v18, s[0:1], 0, v18, s[0:1]
	v_cmp_le_u32_e64 s[0:1], s47, v18
	v_cndmask_b32_e64 v22, 0, -1, s[0:1]
	v_cmp_le_u32_e64 s[0:1], s46, v19
	v_cndmask_b32_e64 v19, 0, -1, s[0:1]
	v_cmp_eq_u32_e64 s[0:1], s47, v18
	v_cndmask_b32_e64 v18, v22, v19, s[0:1]
	v_add_co_u32_e64 v19, s[0:1], 2, v3
	v_subb_co_u32_e32 v13, vcc, v21, v13, vcc
	v_addc_co_u32_e64 v22, s[0:1], 0, v17, s[0:1]
	v_cmp_le_u32_e32 vcc, s47, v13
	v_add_co_u32_e64 v23, s[0:1], 1, v3
	v_cndmask_b32_e64 v21, 0, -1, vcc
	v_cmp_le_u32_e32 vcc, s46, v12
	v_addc_co_u32_e64 v24, s[0:1], 0, v17, s[0:1]
	v_cndmask_b32_e64 v12, 0, -1, vcc
	v_cmp_eq_u32_e32 vcc, s47, v13
	v_cmp_ne_u32_e64 s[0:1], 0, v18
	v_cndmask_b32_e32 v12, v21, v12, vcc
	v_cmp_ne_u32_e32 vcc, 0, v12
	v_cndmask_b32_e64 v13, v23, v19, s[0:1]
	v_cndmask_b32_e64 v18, v24, v22, s[0:1]
	v_cndmask_b32_e32 v3, v3, v13, vcc
	v_xor_b32_e32 v13, s44, v20
	v_cndmask_b32_e32 v12, v17, v18, vcc
	v_xor_b32_e32 v3, v3, v13
	v_xor_b32_e32 v17, v12, v13
	v_sub_co_u32_e32 v12, vcc, v3, v13
	v_subb_co_u32_e32 v13, vcc, v17, v13, vcc
.LBB10_21:                              ;   in Loop: Header=BB10_19 Depth=2
	s_andn2_saveexec_b64 s[0:1], s[42:43]
	s_cbranch_execz .LBB10_18
; %bb.22:                               ;   in Loop: Header=BB10_19 Depth=2
	v_cvt_f32_u32_e32 v3, s40
	s_sub_i32 s42, 0, s40
	v_rcp_iflag_f32_e32 v3, v3
	v_mul_f32_e32 v3, 0x4f7ffffe, v3
	v_cvt_u32_f32_e32 v3, v3
	v_mul_lo_u32 v12, s42, v3
	v_mul_hi_u32 v12, v3, v12
	v_add_u32_e32 v3, v3, v12
	v_mul_hi_u32 v3, v8, v3
	v_mul_lo_u32 v12, v3, s40
	v_sub_u32_e32 v12, v8, v12
	v_add_u32_e32 v13, 1, v3
	v_subrev_u32_e32 v17, s40, v12
	v_cmp_le_u32_e32 vcc, s40, v12
	v_cndmask_b32_e32 v12, v12, v17, vcc
	v_cndmask_b32_e32 v3, v3, v13, vcc
	v_add_u32_e32 v13, 1, v3
	v_cmp_le_u32_e32 vcc, s40, v12
	v_cndmask_b32_e32 v12, v3, v13, vcc
	v_mov_b32_e32 v13, v2
	s_branch .LBB10_18
.LBB10_23:
	s_endpgm
	.section	.rodata,"a",@progbits
	.p2align	6, 0x0
	.amdhsa_kernel _ZN2at6native16triu_tril_kernelIilLb0ELi2ELb1EEEvNS_4cuda6detail10TensorInfoIT_T0_EENS4_IKS5_S6_EEllS6_
		.amdhsa_group_segment_fixed_size 0
		.amdhsa_private_segment_fixed_size 0
		.amdhsa_kernarg_size 1112
		.amdhsa_user_sgpr_count 6
		.amdhsa_user_sgpr_private_segment_buffer 1
		.amdhsa_user_sgpr_dispatch_ptr 0
		.amdhsa_user_sgpr_queue_ptr 0
		.amdhsa_user_sgpr_kernarg_segment_ptr 1
		.amdhsa_user_sgpr_dispatch_id 0
		.amdhsa_user_sgpr_flat_scratch_init 0
		.amdhsa_user_sgpr_kernarg_preload_length 0
		.amdhsa_user_sgpr_kernarg_preload_offset 0
		.amdhsa_user_sgpr_private_segment_size 0
		.amdhsa_uses_dynamic_stack 0
		.amdhsa_system_sgpr_private_segment_wavefront_offset 0
		.amdhsa_system_sgpr_workgroup_id_x 1
		.amdhsa_system_sgpr_workgroup_id_y 0
		.amdhsa_system_sgpr_workgroup_id_z 0
		.amdhsa_system_sgpr_workgroup_info 0
		.amdhsa_system_vgpr_workitem_id 0
		.amdhsa_next_free_vgpr 25
		.amdhsa_next_free_sgpr 49
		.amdhsa_accum_offset 28
		.amdhsa_reserve_vcc 1
		.amdhsa_reserve_flat_scratch 0
		.amdhsa_float_round_mode_32 0
		.amdhsa_float_round_mode_16_64 0
		.amdhsa_float_denorm_mode_32 3
		.amdhsa_float_denorm_mode_16_64 3
		.amdhsa_dx10_clamp 1
		.amdhsa_ieee_mode 1
		.amdhsa_fp16_overflow 0
		.amdhsa_tg_split 0
		.amdhsa_exception_fp_ieee_invalid_op 0
		.amdhsa_exception_fp_denorm_src 0
		.amdhsa_exception_fp_ieee_div_zero 0
		.amdhsa_exception_fp_ieee_overflow 0
		.amdhsa_exception_fp_ieee_underflow 0
		.amdhsa_exception_fp_ieee_inexact 0
		.amdhsa_exception_int_div_zero 0
	.end_amdhsa_kernel
	.section	.text._ZN2at6native16triu_tril_kernelIilLb0ELi2ELb1EEEvNS_4cuda6detail10TensorInfoIT_T0_EENS4_IKS5_S6_EEllS6_,"axG",@progbits,_ZN2at6native16triu_tril_kernelIilLb0ELi2ELb1EEEvNS_4cuda6detail10TensorInfoIT_T0_EENS4_IKS5_S6_EEllS6_,comdat
.Lfunc_end10:
	.size	_ZN2at6native16triu_tril_kernelIilLb0ELi2ELb1EEEvNS_4cuda6detail10TensorInfoIT_T0_EENS4_IKS5_S6_EEllS6_, .Lfunc_end10-_ZN2at6native16triu_tril_kernelIilLb0ELi2ELb1EEEvNS_4cuda6detail10TensorInfoIT_T0_EENS4_IKS5_S6_EEllS6_
                                        ; -- End function
	.section	.AMDGPU.csdata,"",@progbits
; Kernel info:
; codeLenInByte = 3212
; NumSgprs: 53
; NumVgprs: 25
; NumAgprs: 0
; TotalNumVgprs: 25
; ScratchSize: 0
; MemoryBound: 0
; FloatMode: 240
; IeeeMode: 1
; LDSByteSize: 0 bytes/workgroup (compile time only)
; SGPRBlocks: 6
; VGPRBlocks: 3
; NumSGPRsForWavesPerEU: 53
; NumVGPRsForWavesPerEU: 25
; AccumOffset: 28
; Occupancy: 8
; WaveLimiterHint : 0
; COMPUTE_PGM_RSRC2:SCRATCH_EN: 0
; COMPUTE_PGM_RSRC2:USER_SGPR: 6
; COMPUTE_PGM_RSRC2:TRAP_HANDLER: 0
; COMPUTE_PGM_RSRC2:TGID_X_EN: 1
; COMPUTE_PGM_RSRC2:TGID_Y_EN: 0
; COMPUTE_PGM_RSRC2:TGID_Z_EN: 0
; COMPUTE_PGM_RSRC2:TIDIG_COMP_CNT: 0
; COMPUTE_PGM_RSRC3_GFX90A:ACCUM_OFFSET: 6
; COMPUTE_PGM_RSRC3_GFX90A:TG_SPLIT: 0
	.section	.text._ZN2at6native16triu_tril_kernelIilLb0ELi2ELb0EEEvNS_4cuda6detail10TensorInfoIT_T0_EENS4_IKS5_S6_EEllS6_,"axG",@progbits,_ZN2at6native16triu_tril_kernelIilLb0ELi2ELb0EEEvNS_4cuda6detail10TensorInfoIT_T0_EENS4_IKS5_S6_EEllS6_,comdat
	.protected	_ZN2at6native16triu_tril_kernelIilLb0ELi2ELb0EEEvNS_4cuda6detail10TensorInfoIT_T0_EENS4_IKS5_S6_EEllS6_ ; -- Begin function _ZN2at6native16triu_tril_kernelIilLb0ELi2ELb0EEEvNS_4cuda6detail10TensorInfoIT_T0_EENS4_IKS5_S6_EEllS6_
	.globl	_ZN2at6native16triu_tril_kernelIilLb0ELi2ELb0EEEvNS_4cuda6detail10TensorInfoIT_T0_EENS4_IKS5_S6_EEllS6_
	.p2align	8
	.type	_ZN2at6native16triu_tril_kernelIilLb0ELi2ELb0EEEvNS_4cuda6detail10TensorInfoIT_T0_EENS4_IKS5_S6_EEllS6_,@function
_ZN2at6native16triu_tril_kernelIilLb0ELi2ELb0EEEvNS_4cuda6detail10TensorInfoIT_T0_EENS4_IKS5_S6_EEllS6_: ; @_ZN2at6native16triu_tril_kernelIilLb0ELi2ELb0EEEvNS_4cuda6detail10TensorInfoIT_T0_EENS4_IKS5_S6_EEllS6_
; %bb.0:
	s_load_dword s2, s[4:5], 0x364
	s_load_dwordx4 s[8:11], s[4:5], 0x340
	s_add_u32 s0, s4, 0x358
	v_mov_b32_e32 v2, 0
	s_addc_u32 s1, s5, 0
	s_waitcnt lgkmcnt(0)
	s_and_b32 s7, s2, 0xffff
	v_mov_b32_e32 v1, v2
	v_mov_b32_e32 v3, s6
	v_mad_u64_u32 v[0:1], s[2:3], s7, v3, v[0:1]
	v_lshlrev_b64 v[0:1], 1, v[0:1]
	v_cmp_gt_i64_e32 vcc, s[10:11], v[0:1]
	s_and_saveexec_b64 s[2:3], vcc
	s_cbranch_execz .LBB11_26
; %bb.1:
	s_load_dword s6, s[0:1], 0x0
	s_load_dwordx2 s[2:3], s[4:5], 0x350
	s_load_dword s26, s[4:5], 0x338
	s_add_u32 s12, s4, 0x1a0
	s_addc_u32 s13, s5, 0
	s_waitcnt lgkmcnt(0)
	s_mul_i32 s28, s6, s7
	v_cvt_f32_u32_e32 v3, s2
	s_ashr_i32 s27, s26, 31
	s_add_u32 s30, s4, 0x1a8
	s_addc_u32 s31, s5, 0
	s_lshl_b64 s[0:1], s[26:27], 3
	s_add_u32 s22, s0, -16
	s_addc_u32 s23, s1, -1
	s_add_u32 s0, s30, s22
	s_addc_u32 s1, s31, s23
	s_add_u32 s20, s12, s22
	s_addc_u32 s21, s13, s23
	v_cmp_gt_i64_e64 s[24:25], s[26:27], 2
	s_add_u32 s27, s4, 0xd0
	s_addc_u32 s34, s5, 0
	s_load_dwordx4 s[12:15], s[0:1], 0x0
	s_load_dwordx4 s[16:19], s[20:21], 0xd0
	s_add_u32 s0, s27, s22
	s_addc_u32 s1, s34, s23
	s_load_dwordx2 s[6:7], s[4:5], 0x1a0
	s_load_dwordx4 s[20:23], s[0:1], 0x0
	v_rcp_iflag_f32_e32 v3, v3
	s_load_dwordx2 s[4:5], s[4:5], 0x0
	s_add_i32 s0, s26, -3
	s_ashr_i32 s1, s0, 31
	s_lshl_b32 s33, s28, 1
	s_lshl_b64 s[28:29], s[0:1], 3
	s_add_u32 s26, s27, s28
	s_addc_u32 s27, s34, s29
	v_mul_f32_e32 v3, 0x4f7ffffe, v3
	s_add_u32 s28, s30, s28
	v_cvt_u32_f32_e32 v14, v3
	s_addc_u32 s29, s31, s29
	s_add_u32 s30, s0, 1
	s_mov_b32 s50, 0
	s_addc_u32 s31, s1, 0
	s_mov_b64 s[34:35], 0
	s_branch .LBB11_3
.LBB11_2:                               ;   in Loop: Header=BB11_3 Depth=1
	s_or_b64 exec, exec, s[0:1]
	v_mov_b32_e32 v3, s50
	v_add_co_u32_e32 v0, vcc, s33, v0
	v_addc_co_u32_e32 v1, vcc, v1, v3, vcc
	v_cmp_le_i64_e32 vcc, s[10:11], v[0:1]
	s_or_b64 s[34:35], vcc, s[34:35]
	s_andn2_b64 exec, exec, s[34:35]
	s_cbranch_execz .LBB11_26
.LBB11_3:                               ; =>This Loop Header: Depth=1
                                        ;     Child Loop BB11_22 Depth 2
	v_or_b32_e32 v3, s3, v1
	v_cmp_ne_u64_e32 vcc, 0, v[2:3]
                                        ; implicit-def: $vgpr6_vgpr7
	s_and_saveexec_b64 s[0:1], vcc
	s_xor_b64 s[36:37], exec, s[0:1]
	s_cbranch_execz .LBB11_5
; %bb.4:                                ;   in Loop: Header=BB11_3 Depth=1
	s_ashr_i32 s38, s3, 31
	s_add_u32 s0, s2, s38
	s_mov_b32 s39, s38
	s_addc_u32 s1, s3, s38
	s_xor_b64 s[40:41], s[0:1], s[38:39]
	v_cvt_f32_u32_e32 v3, s40
	v_cvt_f32_u32_e32 v4, s41
	s_sub_u32 s0, 0, s40
	s_subb_u32 s1, 0, s41
	v_mac_f32_e32 v3, 0x4f800000, v4
	v_rcp_f32_e32 v3, v3
	v_mul_f32_e32 v3, 0x5f7ffffc, v3
	v_mul_f32_e32 v4, 0x2f800000, v3
	v_trunc_f32_e32 v4, v4
	v_mac_f32_e32 v3, 0xcf800000, v4
	v_cvt_u32_f32_e32 v4, v4
	v_cvt_u32_f32_e32 v3, v3
	v_mul_lo_u32 v5, s0, v4
	v_mul_hi_u32 v7, s0, v3
	v_mul_lo_u32 v6, s1, v3
	v_add_u32_e32 v5, v7, v5
	v_mul_lo_u32 v8, s0, v3
	v_add_u32_e32 v5, v5, v6
	v_mul_lo_u32 v7, v3, v5
	v_mul_hi_u32 v9, v3, v8
	v_mul_hi_u32 v6, v3, v5
	v_add_co_u32_e32 v7, vcc, v9, v7
	v_addc_co_u32_e32 v6, vcc, 0, v6, vcc
	v_mul_hi_u32 v10, v4, v8
	v_mul_lo_u32 v8, v4, v8
	v_add_co_u32_e32 v7, vcc, v7, v8
	v_mul_hi_u32 v9, v4, v5
	v_addc_co_u32_e32 v6, vcc, v6, v10, vcc
	v_addc_co_u32_e32 v7, vcc, 0, v9, vcc
	v_mul_lo_u32 v5, v4, v5
	v_add_co_u32_e32 v5, vcc, v6, v5
	v_addc_co_u32_e32 v6, vcc, 0, v7, vcc
	v_add_co_u32_e32 v3, vcc, v3, v5
	v_addc_co_u32_e32 v4, vcc, v4, v6, vcc
	v_mul_lo_u32 v5, s0, v4
	v_mul_hi_u32 v6, s0, v3
	v_add_u32_e32 v5, v6, v5
	v_mul_lo_u32 v6, s1, v3
	v_add_u32_e32 v5, v5, v6
	v_mul_lo_u32 v7, s0, v3
	v_mul_hi_u32 v8, v4, v7
	v_mul_lo_u32 v9, v4, v7
	v_mul_lo_u32 v11, v3, v5
	v_mul_hi_u32 v7, v3, v7
	v_mul_hi_u32 v10, v3, v5
	v_add_co_u32_e32 v7, vcc, v7, v11
	v_addc_co_u32_e32 v10, vcc, 0, v10, vcc
	v_add_co_u32_e32 v7, vcc, v7, v9
	v_mul_hi_u32 v6, v4, v5
	v_addc_co_u32_e32 v7, vcc, v10, v8, vcc
	v_addc_co_u32_e32 v6, vcc, 0, v6, vcc
	v_mul_lo_u32 v5, v4, v5
	v_add_co_u32_e32 v5, vcc, v7, v5
	v_addc_co_u32_e32 v6, vcc, 0, v6, vcc
	v_add_co_u32_e32 v3, vcc, v3, v5
	v_addc_co_u32_e32 v6, vcc, v4, v6, vcc
	v_ashrrev_i32_e32 v8, 31, v1
	v_add_co_u32_e32 v4, vcc, v0, v8
	v_addc_co_u32_e32 v5, vcc, v1, v8, vcc
	v_xor_b32_e32 v10, v4, v8
	v_xor_b32_e32 v9, v5, v8
	v_mad_u64_u32 v[4:5], s[0:1], v10, v6, 0
	v_mul_hi_u32 v7, v10, v3
	v_add_co_u32_e32 v11, vcc, v7, v4
	v_addc_co_u32_e32 v12, vcc, 0, v5, vcc
	v_mad_u64_u32 v[4:5], s[0:1], v9, v6, 0
	v_mad_u64_u32 v[6:7], s[0:1], v9, v3, 0
	v_add_co_u32_e32 v3, vcc, v11, v6
	v_addc_co_u32_e32 v3, vcc, v12, v7, vcc
	v_addc_co_u32_e32 v5, vcc, 0, v5, vcc
	v_add_co_u32_e32 v3, vcc, v3, v4
	v_addc_co_u32_e32 v6, vcc, 0, v5, vcc
	v_mul_lo_u32 v7, s41, v3
	v_mul_lo_u32 v11, s40, v6
	v_mad_u64_u32 v[4:5], s[0:1], s40, v3, 0
	v_add3_u32 v5, v5, v11, v7
	v_sub_u32_e32 v7, v9, v5
	v_mov_b32_e32 v11, s41
	v_sub_co_u32_e32 v4, vcc, v10, v4
	v_subb_co_u32_e64 v7, s[0:1], v7, v11, vcc
	v_subrev_co_u32_e64 v10, s[0:1], s40, v4
	v_subbrev_co_u32_e64 v7, s[0:1], 0, v7, s[0:1]
	v_cmp_le_u32_e64 s[0:1], s41, v7
	v_cndmask_b32_e64 v11, 0, -1, s[0:1]
	v_cmp_le_u32_e64 s[0:1], s40, v10
	v_cndmask_b32_e64 v10, 0, -1, s[0:1]
	v_cmp_eq_u32_e64 s[0:1], s41, v7
	v_cndmask_b32_e64 v7, v11, v10, s[0:1]
	v_add_co_u32_e64 v10, s[0:1], 2, v3
	v_subb_co_u32_e32 v5, vcc, v9, v5, vcc
	v_addc_co_u32_e64 v11, s[0:1], 0, v6, s[0:1]
	v_cmp_le_u32_e32 vcc, s41, v5
	v_add_co_u32_e64 v12, s[0:1], 1, v3
	v_cndmask_b32_e64 v9, 0, -1, vcc
	v_cmp_le_u32_e32 vcc, s40, v4
	v_addc_co_u32_e64 v13, s[0:1], 0, v6, s[0:1]
	v_cndmask_b32_e64 v4, 0, -1, vcc
	v_cmp_eq_u32_e32 vcc, s41, v5
	v_cmp_ne_u32_e64 s[0:1], 0, v7
	v_cndmask_b32_e32 v4, v9, v4, vcc
	v_cmp_ne_u32_e32 vcc, 0, v4
	v_cndmask_b32_e64 v5, v12, v10, s[0:1]
	v_cndmask_b32_e64 v7, v13, v11, s[0:1]
	v_cndmask_b32_e32 v3, v3, v5, vcc
	v_xor_b32_e32 v5, s38, v8
	v_cndmask_b32_e32 v4, v6, v7, vcc
	v_xor_b32_e32 v3, v3, v5
	v_xor_b32_e32 v4, v4, v5
	v_sub_co_u32_e32 v6, vcc, v3, v5
	v_subb_co_u32_e32 v7, vcc, v4, v5, vcc
.LBB11_5:                               ;   in Loop: Header=BB11_3 Depth=1
	s_andn2_saveexec_b64 s[0:1], s[36:37]
	s_cbranch_execz .LBB11_7
; %bb.6:                                ;   in Loop: Header=BB11_3 Depth=1
	s_sub_i32 s36, 0, s2
	v_mul_lo_u32 v3, s36, v14
	v_mul_hi_u32 v3, v14, v3
	v_add_u32_e32 v3, v14, v3
	v_mul_hi_u32 v3, v0, v3
	v_mul_lo_u32 v4, v3, s2
	v_sub_u32_e32 v4, v0, v4
	v_subrev_u32_e32 v5, s2, v4
	v_cmp_le_u32_e32 vcc, s2, v4
	v_cndmask_b32_e32 v4, v4, v5, vcc
	v_add_u32_e32 v5, 1, v3
	v_cndmask_b32_e32 v3, v3, v5, vcc
	v_add_u32_e32 v5, 1, v3
	v_cmp_le_u32_e32 vcc, s2, v4
	v_cndmask_b32_e32 v6, v3, v5, vcc
	v_mov_b32_e32 v7, v2
.LBB11_7:                               ;   in Loop: Header=BB11_3 Depth=1
	s_or_b64 exec, exec, s[0:1]
	s_waitcnt lgkmcnt(0)
	v_or_b32_e32 v3, s13, v7
	v_cmp_ne_u64_e32 vcc, 0, v[2:3]
                                        ; implicit-def: $vgpr10_vgpr11
	s_and_saveexec_b64 s[0:1], vcc
	s_xor_b64 s[36:37], exec, s[0:1]
	s_cbranch_execz .LBB11_9
; %bb.8:                                ;   in Loop: Header=BB11_3 Depth=1
	s_ashr_i32 s38, s13, 31
	s_add_u32 s0, s12, s38
	s_mov_b32 s39, s38
	s_addc_u32 s1, s13, s38
	s_xor_b64 s[40:41], s[0:1], s[38:39]
	v_cvt_f32_u32_e32 v3, s40
	v_cvt_f32_u32_e32 v4, s41
	s_sub_u32 s0, 0, s40
	s_subb_u32 s1, 0, s41
	v_mac_f32_e32 v3, 0x4f800000, v4
	v_rcp_f32_e32 v3, v3
	v_mul_f32_e32 v3, 0x5f7ffffc, v3
	v_mul_f32_e32 v4, 0x2f800000, v3
	v_trunc_f32_e32 v4, v4
	v_mac_f32_e32 v3, 0xcf800000, v4
	v_cvt_u32_f32_e32 v4, v4
	v_cvt_u32_f32_e32 v3, v3
	v_mul_lo_u32 v5, s0, v4
	v_mul_hi_u32 v9, s0, v3
	v_mul_lo_u32 v8, s1, v3
	v_add_u32_e32 v5, v9, v5
	v_mul_lo_u32 v10, s0, v3
	v_add_u32_e32 v5, v5, v8
	v_mul_lo_u32 v9, v3, v5
	v_mul_hi_u32 v11, v3, v10
	v_mul_hi_u32 v8, v3, v5
	v_add_co_u32_e32 v9, vcc, v11, v9
	v_addc_co_u32_e32 v8, vcc, 0, v8, vcc
	v_mul_hi_u32 v12, v4, v10
	v_mul_lo_u32 v10, v4, v10
	v_add_co_u32_e32 v9, vcc, v9, v10
	v_mul_hi_u32 v11, v4, v5
	v_addc_co_u32_e32 v8, vcc, v8, v12, vcc
	v_addc_co_u32_e32 v9, vcc, 0, v11, vcc
	v_mul_lo_u32 v5, v4, v5
	v_add_co_u32_e32 v5, vcc, v8, v5
	v_addc_co_u32_e32 v8, vcc, 0, v9, vcc
	v_add_co_u32_e32 v3, vcc, v3, v5
	v_addc_co_u32_e32 v4, vcc, v4, v8, vcc
	v_mul_lo_u32 v5, s0, v4
	v_mul_hi_u32 v8, s0, v3
	v_add_u32_e32 v5, v8, v5
	v_mul_lo_u32 v8, s1, v3
	v_add_u32_e32 v5, v5, v8
	v_mul_lo_u32 v9, s0, v3
	v_mul_hi_u32 v10, v4, v9
	v_mul_lo_u32 v11, v4, v9
	v_mul_lo_u32 v13, v3, v5
	v_mul_hi_u32 v9, v3, v9
	v_mul_hi_u32 v12, v3, v5
	v_add_co_u32_e32 v9, vcc, v9, v13
	v_addc_co_u32_e32 v12, vcc, 0, v12, vcc
	v_add_co_u32_e32 v9, vcc, v9, v11
	v_mul_hi_u32 v8, v4, v5
	v_addc_co_u32_e32 v9, vcc, v12, v10, vcc
	v_addc_co_u32_e32 v8, vcc, 0, v8, vcc
	v_mul_lo_u32 v5, v4, v5
	v_add_co_u32_e32 v5, vcc, v9, v5
	v_addc_co_u32_e32 v8, vcc, 0, v8, vcc
	v_add_co_u32_e32 v3, vcc, v3, v5
	v_addc_co_u32_e32 v8, vcc, v4, v8, vcc
	v_ashrrev_i32_e32 v10, 31, v7
	v_add_co_u32_e32 v4, vcc, v6, v10
	v_addc_co_u32_e32 v5, vcc, v7, v10, vcc
	v_xor_b32_e32 v12, v4, v10
	v_xor_b32_e32 v11, v5, v10
	v_mad_u64_u32 v[4:5], s[0:1], v12, v8, 0
	v_mul_hi_u32 v9, v12, v3
	v_add_co_u32_e32 v13, vcc, v9, v4
	v_addc_co_u32_e32 v15, vcc, 0, v5, vcc
	v_mad_u64_u32 v[4:5], s[0:1], v11, v8, 0
	v_mad_u64_u32 v[8:9], s[0:1], v11, v3, 0
	v_add_co_u32_e32 v3, vcc, v13, v8
	v_addc_co_u32_e32 v3, vcc, v15, v9, vcc
	v_addc_co_u32_e32 v5, vcc, 0, v5, vcc
	v_add_co_u32_e32 v3, vcc, v3, v4
	v_addc_co_u32_e32 v8, vcc, 0, v5, vcc
	v_mul_lo_u32 v9, s41, v3
	v_mul_lo_u32 v13, s40, v8
	v_mad_u64_u32 v[4:5], s[0:1], s40, v3, 0
	v_add3_u32 v5, v5, v13, v9
	v_sub_u32_e32 v9, v11, v5
	v_mov_b32_e32 v13, s41
	v_sub_co_u32_e32 v4, vcc, v12, v4
	v_subb_co_u32_e64 v9, s[0:1], v9, v13, vcc
	v_subrev_co_u32_e64 v12, s[0:1], s40, v4
	v_subbrev_co_u32_e64 v9, s[0:1], 0, v9, s[0:1]
	v_cmp_le_u32_e64 s[0:1], s41, v9
	v_cndmask_b32_e64 v13, 0, -1, s[0:1]
	v_cmp_le_u32_e64 s[0:1], s40, v12
	v_cndmask_b32_e64 v12, 0, -1, s[0:1]
	v_cmp_eq_u32_e64 s[0:1], s41, v9
	v_cndmask_b32_e64 v9, v13, v12, s[0:1]
	v_add_co_u32_e64 v12, s[0:1], 2, v3
	v_subb_co_u32_e32 v5, vcc, v11, v5, vcc
	v_addc_co_u32_e64 v13, s[0:1], 0, v8, s[0:1]
	v_cmp_le_u32_e32 vcc, s41, v5
	v_add_co_u32_e64 v15, s[0:1], 1, v3
	v_cndmask_b32_e64 v11, 0, -1, vcc
	v_cmp_le_u32_e32 vcc, s40, v4
	v_addc_co_u32_e64 v16, s[0:1], 0, v8, s[0:1]
	v_cndmask_b32_e64 v4, 0, -1, vcc
	v_cmp_eq_u32_e32 vcc, s41, v5
	v_cmp_ne_u32_e64 s[0:1], 0, v9
	v_cndmask_b32_e32 v4, v11, v4, vcc
	v_cmp_ne_u32_e32 vcc, 0, v4
	v_cndmask_b32_e64 v5, v15, v12, s[0:1]
	v_cndmask_b32_e64 v9, v16, v13, s[0:1]
	v_cndmask_b32_e32 v3, v3, v5, vcc
	v_xor_b32_e32 v5, s38, v10
	v_cndmask_b32_e32 v4, v8, v9, vcc
	v_xor_b32_e32 v3, v3, v5
	v_xor_b32_e32 v4, v4, v5
	v_sub_co_u32_e32 v10, vcc, v3, v5
	v_subb_co_u32_e32 v11, vcc, v4, v5, vcc
.LBB11_9:                               ;   in Loop: Header=BB11_3 Depth=1
	s_andn2_saveexec_b64 s[0:1], s[36:37]
	s_cbranch_execz .LBB11_11
; %bb.10:                               ;   in Loop: Header=BB11_3 Depth=1
	v_cvt_f32_u32_e32 v3, s12
	s_sub_i32 s36, 0, s12
	v_mov_b32_e32 v11, v2
	v_rcp_iflag_f32_e32 v3, v3
	v_mul_f32_e32 v3, 0x4f7ffffe, v3
	v_cvt_u32_f32_e32 v3, v3
	v_mul_lo_u32 v4, s36, v3
	v_mul_hi_u32 v4, v3, v4
	v_add_u32_e32 v3, v3, v4
	v_mul_hi_u32 v3, v6, v3
	v_mul_lo_u32 v4, v3, s12
	v_sub_u32_e32 v4, v6, v4
	v_add_u32_e32 v5, 1, v3
	v_subrev_u32_e32 v8, s12, v4
	v_cmp_le_u32_e32 vcc, s12, v4
	v_cndmask_b32_e32 v4, v4, v8, vcc
	v_cndmask_b32_e32 v3, v3, v5, vcc
	v_add_u32_e32 v5, 1, v3
	v_cmp_le_u32_e32 vcc, s12, v4
	v_cndmask_b32_e32 v10, v3, v5, vcc
.LBB11_11:                              ;   in Loop: Header=BB11_3 Depth=1
	s_or_b64 exec, exec, s[0:1]
	v_mul_lo_u32 v3, v7, s2
	v_mul_lo_u32 v8, v6, s3
	v_mad_u64_u32 v[4:5], s[0:1], v6, s2, 0
	v_add3_u32 v3, v5, v8, v3
	v_sub_co_u32_e32 v4, vcc, v0, v4
	v_subb_co_u32_e32 v5, vcc, v1, v3, vcc
	v_mul_lo_u32 v3, v11, s12
	v_mul_lo_u32 v12, v10, s13
	v_mad_u64_u32 v[8:9], s[0:1], v10, s12, 0
	v_add3_u32 v3, v9, v12, v3
	v_sub_co_u32_e32 v15, vcc, v6, v8
	v_subb_co_u32_e32 v16, vcc, v7, v3, vcc
	v_mul_lo_u32 v3, s19, v4
	v_mul_lo_u32 v8, s18, v5
	v_mad_u64_u32 v[6:7], s[0:1], s18, v4, 0
	v_add3_u32 v7, v7, v8, v3
	v_mul_lo_u32 v3, s23, v4
	v_mul_lo_u32 v8, s22, v5
	v_mad_u64_u32 v[12:13], s[0:1], s22, v4, 0
	v_add3_u32 v13, v13, v8, v3
	v_mad_u64_u32 v[8:9], s[0:1], s16, v15, v[6:7]
	v_mul_lo_u32 v3, s16, v16
	v_mul_lo_u32 v6, s17, v15
	v_add3_u32 v9, v6, v9, v3
	v_mad_u64_u32 v[6:7], s[0:1], s20, v15, v[12:13]
	v_mul_lo_u32 v3, s20, v16
	v_mul_lo_u32 v12, s21, v15
	v_add3_u32 v7, v12, v7, v3
	s_and_b64 vcc, exec, s[24:25]
	s_mov_b64 s[36:37], s[30:31]
	s_mov_b64 s[38:39], s[28:29]
	;; [unrolled: 1-line block ×3, first 2 shown]
	s_cbranch_vccnz .LBB11_22
.LBB11_12:                              ;   in Loop: Header=BB11_3 Depth=1
	v_sub_co_u32_e32 v10, vcc, v4, v15
	v_subb_co_u32_e32 v11, vcc, v5, v16, vcc
	v_cmp_ge_i64_e32 vcc, s[8:9], v[10:11]
	v_mov_b32_e32 v12, 0
	v_mov_b32_e32 v3, 0
	s_and_saveexec_b64 s[0:1], vcc
	s_cbranch_execz .LBB11_18
; %bb.13:                               ;   in Loop: Header=BB11_3 Depth=1
	v_cmp_gt_i64_e32 vcc, s[14:15], v[4:5]
	v_mov_b32_e32 v3, 0
	v_mov_b32_e32 v12, 0
	s_and_saveexec_b64 s[36:37], vcc
	s_cbranch_execz .LBB11_17
; %bb.14:                               ;   in Loop: Header=BB11_3 Depth=1
	v_lshlrev_b64 v[8:9], 2, v[8:9]
	v_mov_b32_e32 v3, s7
	v_add_co_u32_e32 v8, vcc, s6, v8
	v_addc_co_u32_e32 v9, vcc, v3, v9, vcc
	global_load_dword v3, v[8:9], off
	v_add_co_u32_e32 v12, vcc, 1, v4
	v_addc_co_u32_e32 v13, vcc, 0, v5, vcc
	v_cmp_gt_i64_e32 vcc, s[14:15], v[12:13]
	v_mov_b32_e32 v12, 0
	s_and_saveexec_b64 s[38:39], vcc
	s_xor_b64 s[38:39], exec, s[38:39]
	s_cbranch_execz .LBB11_16
; %bb.15:                               ;   in Loop: Header=BB11_3 Depth=1
	s_lshl_b64 s[40:41], s[18:19], 2
	v_mov_b32_e32 v12, s41
	v_add_co_u32_e32 v8, vcc, s40, v8
	v_addc_co_u32_e32 v9, vcc, v9, v12, vcc
	global_load_dword v12, v[8:9], off
.LBB11_16:                              ;   in Loop: Header=BB11_3 Depth=1
	s_or_b64 exec, exec, s[38:39]
.LBB11_17:                              ;   in Loop: Header=BB11_3 Depth=1
	s_or_b64 exec, exec, s[36:37]
	v_add_co_u32_e32 v8, vcc, 1, v10
	v_addc_co_u32_e32 v9, vcc, 0, v11, vcc
	v_cmp_ge_i64_e32 vcc, s[8:9], v[8:9]
	s_waitcnt vmcnt(0)
	v_cndmask_b32_e32 v12, 0, v12, vcc
.LBB11_18:                              ;   in Loop: Header=BB11_3 Depth=1
	s_or_b64 exec, exec, s[0:1]
	v_cmp_gt_i64_e32 vcc, s[14:15], v[4:5]
	s_and_saveexec_b64 s[0:1], vcc
	s_cbranch_execz .LBB11_2
; %bb.19:                               ;   in Loop: Header=BB11_3 Depth=1
	v_lshlrev_b64 v[6:7], 2, v[6:7]
	v_mov_b32_e32 v8, s5
	v_add_co_u32_e32 v6, vcc, s4, v6
	v_addc_co_u32_e32 v7, vcc, v8, v7, vcc
	v_add_co_u32_e32 v4, vcc, 1, v4
	v_addc_co_u32_e32 v5, vcc, 0, v5, vcc
	v_cmp_gt_i64_e32 vcc, s[14:15], v[4:5]
	global_store_dword v[6:7], v3, off
	s_and_saveexec_b64 s[36:37], vcc
	s_xor_b64 s[36:37], exec, s[36:37]
	s_cbranch_execz .LBB11_2
; %bb.20:                               ;   in Loop: Header=BB11_3 Depth=1
	s_lshl_b64 s[36:37], s[22:23], 2
	v_mov_b32_e32 v3, s37
	v_add_co_u32_e32 v4, vcc, s36, v6
	v_addc_co_u32_e32 v5, vcc, v7, v3, vcc
	global_store_dword v[4:5], v12, off
	s_branch .LBB11_2
.LBB11_21:                              ;   in Loop: Header=BB11_22 Depth=2
	s_or_b64 exec, exec, s[0:1]
	v_mad_u64_u32 v[18:19], s[0:1], v12, s42, 0
	v_mul_lo_u32 v3, v13, s42
	v_mul_lo_u32 v17, v12, s43
	s_load_dwordx2 s[0:1], s[38:39], 0xc8
	s_load_dwordx2 s[42:43], s[40:41], 0x0
	s_add_u32 s40, s40, -8
	s_addc_u32 s41, s41, -1
	s_add_u32 s38, s38, -8
	v_add3_u32 v3, v19, v17, v3
	v_sub_co_u32_e32 v10, vcc, v10, v18
	s_addc_u32 s39, s39, -1
	v_subb_co_u32_e32 v3, vcc, v11, v3, vcc
	s_add_u32 s36, s36, -1
	s_waitcnt lgkmcnt(0)
	v_mul_lo_u32 v11, s0, v3
	v_mul_lo_u32 v17, s1, v10
	v_mad_u64_u32 v[8:9], s[0:1], s0, v10, v[8:9]
	v_mad_u64_u32 v[6:7], s[0:1], s42, v10, v[6:7]
	s_addc_u32 s37, s37, -1
	v_add3_u32 v9, v17, v9, v11
	v_mul_lo_u32 v3, s42, v3
	v_mul_lo_u32 v11, s43, v10
	v_cmp_lt_i64_e64 s[0:1], s[36:37], 1
	v_add3_u32 v7, v11, v7, v3
	s_and_b64 vcc, exec, s[0:1]
	v_pk_mov_b32 v[10:11], v[12:13], v[12:13] op_sel:[0,1]
	s_cbranch_vccnz .LBB11_12
.LBB11_22:                              ;   Parent Loop BB11_3 Depth=1
                                        ; =>  This Inner Loop Header: Depth=2
	s_load_dwordx2 s[42:43], s[38:39], 0x0
                                        ; implicit-def: $vgpr12_vgpr13
	s_waitcnt lgkmcnt(0)
	v_or_b32_e32 v3, s43, v11
	v_cmp_ne_u64_e32 vcc, 0, v[2:3]
	s_and_saveexec_b64 s[0:1], vcc
	s_xor_b64 s[44:45], exec, s[0:1]
	s_cbranch_execz .LBB11_24
; %bb.23:                               ;   in Loop: Header=BB11_22 Depth=2
	s_ashr_i32 s46, s43, 31
	s_add_u32 s0, s42, s46
	s_mov_b32 s47, s46
	s_addc_u32 s1, s43, s46
	s_xor_b64 s[48:49], s[0:1], s[46:47]
	v_cvt_f32_u32_e32 v3, s48
	v_cvt_f32_u32_e32 v12, s49
	s_sub_u32 s0, 0, s48
	s_subb_u32 s1, 0, s49
	v_mac_f32_e32 v3, 0x4f800000, v12
	v_rcp_f32_e32 v3, v3
	v_mul_f32_e32 v3, 0x5f7ffffc, v3
	v_mul_f32_e32 v12, 0x2f800000, v3
	v_trunc_f32_e32 v12, v12
	v_mac_f32_e32 v3, 0xcf800000, v12
	v_cvt_u32_f32_e32 v12, v12
	v_cvt_u32_f32_e32 v3, v3
	v_mul_lo_u32 v13, s0, v12
	v_mul_hi_u32 v18, s0, v3
	v_mul_lo_u32 v17, s1, v3
	v_add_u32_e32 v13, v18, v13
	v_mul_lo_u32 v19, s0, v3
	v_add_u32_e32 v13, v13, v17
	v_mul_lo_u32 v18, v3, v13
	v_mul_hi_u32 v20, v3, v19
	v_mul_hi_u32 v17, v3, v13
	v_add_co_u32_e32 v18, vcc, v20, v18
	v_addc_co_u32_e32 v17, vcc, 0, v17, vcc
	v_mul_hi_u32 v21, v12, v19
	v_mul_lo_u32 v19, v12, v19
	v_add_co_u32_e32 v18, vcc, v18, v19
	v_mul_hi_u32 v20, v12, v13
	v_addc_co_u32_e32 v17, vcc, v17, v21, vcc
	v_addc_co_u32_e32 v18, vcc, 0, v20, vcc
	v_mul_lo_u32 v13, v12, v13
	v_add_co_u32_e32 v13, vcc, v17, v13
	v_addc_co_u32_e32 v17, vcc, 0, v18, vcc
	v_add_co_u32_e32 v3, vcc, v3, v13
	v_addc_co_u32_e32 v12, vcc, v12, v17, vcc
	v_mul_lo_u32 v13, s0, v12
	v_mul_hi_u32 v17, s0, v3
	v_add_u32_e32 v13, v17, v13
	v_mul_lo_u32 v17, s1, v3
	v_add_u32_e32 v13, v13, v17
	v_mul_lo_u32 v18, s0, v3
	v_mul_hi_u32 v19, v12, v18
	v_mul_lo_u32 v20, v12, v18
	v_mul_lo_u32 v22, v3, v13
	v_mul_hi_u32 v18, v3, v18
	v_mul_hi_u32 v21, v3, v13
	v_add_co_u32_e32 v18, vcc, v18, v22
	v_addc_co_u32_e32 v21, vcc, 0, v21, vcc
	v_add_co_u32_e32 v18, vcc, v18, v20
	v_mul_hi_u32 v17, v12, v13
	v_addc_co_u32_e32 v18, vcc, v21, v19, vcc
	v_addc_co_u32_e32 v17, vcc, 0, v17, vcc
	v_mul_lo_u32 v13, v12, v13
	v_add_co_u32_e32 v13, vcc, v18, v13
	v_addc_co_u32_e32 v17, vcc, 0, v17, vcc
	v_add_co_u32_e32 v3, vcc, v3, v13
	v_addc_co_u32_e32 v17, vcc, v12, v17, vcc
	v_ashrrev_i32_e32 v20, 31, v11
	v_add_co_u32_e32 v12, vcc, v10, v20
	v_addc_co_u32_e32 v13, vcc, v11, v20, vcc
	v_xor_b32_e32 v22, v12, v20
	v_xor_b32_e32 v21, v13, v20
	v_mad_u64_u32 v[12:13], s[0:1], v22, v17, 0
	v_mul_hi_u32 v18, v22, v3
	v_add_co_u32_e32 v23, vcc, v18, v12
	v_addc_co_u32_e32 v24, vcc, 0, v13, vcc
	v_mad_u64_u32 v[18:19], s[0:1], v21, v3, 0
	v_add_co_u32_e32 v3, vcc, v23, v18
	v_mad_u64_u32 v[12:13], s[0:1], v21, v17, 0
	v_addc_co_u32_e32 v3, vcc, v24, v19, vcc
	v_addc_co_u32_e32 v13, vcc, 0, v13, vcc
	v_add_co_u32_e32 v3, vcc, v3, v12
	v_addc_co_u32_e32 v17, vcc, 0, v13, vcc
	v_mul_lo_u32 v18, s49, v3
	v_mul_lo_u32 v19, s48, v17
	v_mad_u64_u32 v[12:13], s[0:1], s48, v3, 0
	v_add3_u32 v13, v13, v19, v18
	v_sub_u32_e32 v18, v21, v13
	v_mov_b32_e32 v19, s49
	v_sub_co_u32_e32 v12, vcc, v22, v12
	v_subb_co_u32_e64 v18, s[0:1], v18, v19, vcc
	v_subrev_co_u32_e64 v19, s[0:1], s48, v12
	v_subbrev_co_u32_e64 v18, s[0:1], 0, v18, s[0:1]
	v_cmp_le_u32_e64 s[0:1], s49, v18
	v_cndmask_b32_e64 v22, 0, -1, s[0:1]
	v_cmp_le_u32_e64 s[0:1], s48, v19
	v_cndmask_b32_e64 v19, 0, -1, s[0:1]
	v_cmp_eq_u32_e64 s[0:1], s49, v18
	v_cndmask_b32_e64 v18, v22, v19, s[0:1]
	v_add_co_u32_e64 v19, s[0:1], 2, v3
	v_subb_co_u32_e32 v13, vcc, v21, v13, vcc
	v_addc_co_u32_e64 v22, s[0:1], 0, v17, s[0:1]
	v_cmp_le_u32_e32 vcc, s49, v13
	v_add_co_u32_e64 v23, s[0:1], 1, v3
	v_cndmask_b32_e64 v21, 0, -1, vcc
	v_cmp_le_u32_e32 vcc, s48, v12
	v_addc_co_u32_e64 v24, s[0:1], 0, v17, s[0:1]
	v_cndmask_b32_e64 v12, 0, -1, vcc
	v_cmp_eq_u32_e32 vcc, s49, v13
	v_cmp_ne_u32_e64 s[0:1], 0, v18
	v_cndmask_b32_e32 v12, v21, v12, vcc
	v_cmp_ne_u32_e32 vcc, 0, v12
	v_cndmask_b32_e64 v13, v23, v19, s[0:1]
	v_cndmask_b32_e64 v18, v24, v22, s[0:1]
	v_cndmask_b32_e32 v3, v3, v13, vcc
	v_xor_b32_e32 v13, s46, v20
	v_cndmask_b32_e32 v12, v17, v18, vcc
	v_xor_b32_e32 v3, v3, v13
	v_xor_b32_e32 v17, v12, v13
	v_sub_co_u32_e32 v12, vcc, v3, v13
	v_subb_co_u32_e32 v13, vcc, v17, v13, vcc
.LBB11_24:                              ;   in Loop: Header=BB11_22 Depth=2
	s_andn2_saveexec_b64 s[0:1], s[44:45]
	s_cbranch_execz .LBB11_21
; %bb.25:                               ;   in Loop: Header=BB11_22 Depth=2
	v_cvt_f32_u32_e32 v3, s42
	s_sub_i32 s44, 0, s42
	v_rcp_iflag_f32_e32 v3, v3
	v_mul_f32_e32 v3, 0x4f7ffffe, v3
	v_cvt_u32_f32_e32 v3, v3
	v_mul_lo_u32 v12, s44, v3
	v_mul_hi_u32 v12, v3, v12
	v_add_u32_e32 v3, v3, v12
	v_mul_hi_u32 v3, v10, v3
	v_mul_lo_u32 v12, v3, s42
	v_sub_u32_e32 v12, v10, v12
	v_add_u32_e32 v13, 1, v3
	v_subrev_u32_e32 v17, s42, v12
	v_cmp_le_u32_e32 vcc, s42, v12
	v_cndmask_b32_e32 v12, v12, v17, vcc
	v_cndmask_b32_e32 v3, v3, v13, vcc
	v_add_u32_e32 v13, 1, v3
	v_cmp_le_u32_e32 vcc, s42, v12
	v_cndmask_b32_e32 v12, v3, v13, vcc
	v_mov_b32_e32 v13, v2
	s_branch .LBB11_21
.LBB11_26:
	s_endpgm
	.section	.rodata,"a",@progbits
	.p2align	6, 0x0
	.amdhsa_kernel _ZN2at6native16triu_tril_kernelIilLb0ELi2ELb0EEEvNS_4cuda6detail10TensorInfoIT_T0_EENS4_IKS5_S6_EEllS6_
		.amdhsa_group_segment_fixed_size 0
		.amdhsa_private_segment_fixed_size 0
		.amdhsa_kernarg_size 1112
		.amdhsa_user_sgpr_count 6
		.amdhsa_user_sgpr_private_segment_buffer 1
		.amdhsa_user_sgpr_dispatch_ptr 0
		.amdhsa_user_sgpr_queue_ptr 0
		.amdhsa_user_sgpr_kernarg_segment_ptr 1
		.amdhsa_user_sgpr_dispatch_id 0
		.amdhsa_user_sgpr_flat_scratch_init 0
		.amdhsa_user_sgpr_kernarg_preload_length 0
		.amdhsa_user_sgpr_kernarg_preload_offset 0
		.amdhsa_user_sgpr_private_segment_size 0
		.amdhsa_uses_dynamic_stack 0
		.amdhsa_system_sgpr_private_segment_wavefront_offset 0
		.amdhsa_system_sgpr_workgroup_id_x 1
		.amdhsa_system_sgpr_workgroup_id_y 0
		.amdhsa_system_sgpr_workgroup_id_z 0
		.amdhsa_system_sgpr_workgroup_info 0
		.amdhsa_system_vgpr_workitem_id 0
		.amdhsa_next_free_vgpr 25
		.amdhsa_next_free_sgpr 51
		.amdhsa_accum_offset 28
		.amdhsa_reserve_vcc 1
		.amdhsa_reserve_flat_scratch 0
		.amdhsa_float_round_mode_32 0
		.amdhsa_float_round_mode_16_64 0
		.amdhsa_float_denorm_mode_32 3
		.amdhsa_float_denorm_mode_16_64 3
		.amdhsa_dx10_clamp 1
		.amdhsa_ieee_mode 1
		.amdhsa_fp16_overflow 0
		.amdhsa_tg_split 0
		.amdhsa_exception_fp_ieee_invalid_op 0
		.amdhsa_exception_fp_denorm_src 0
		.amdhsa_exception_fp_ieee_div_zero 0
		.amdhsa_exception_fp_ieee_overflow 0
		.amdhsa_exception_fp_ieee_underflow 0
		.amdhsa_exception_fp_ieee_inexact 0
		.amdhsa_exception_int_div_zero 0
	.end_amdhsa_kernel
	.section	.text._ZN2at6native16triu_tril_kernelIilLb0ELi2ELb0EEEvNS_4cuda6detail10TensorInfoIT_T0_EENS4_IKS5_S6_EEllS6_,"axG",@progbits,_ZN2at6native16triu_tril_kernelIilLb0ELi2ELb0EEEvNS_4cuda6detail10TensorInfoIT_T0_EENS4_IKS5_S6_EEllS6_,comdat
.Lfunc_end11:
	.size	_ZN2at6native16triu_tril_kernelIilLb0ELi2ELb0EEEvNS_4cuda6detail10TensorInfoIT_T0_EENS4_IKS5_S6_EEllS6_, .Lfunc_end11-_ZN2at6native16triu_tril_kernelIilLb0ELi2ELb0EEEvNS_4cuda6detail10TensorInfoIT_T0_EENS4_IKS5_S6_EEllS6_
                                        ; -- End function
	.section	.AMDGPU.csdata,"",@progbits
; Kernel info:
; codeLenInByte = 3396
; NumSgprs: 55
; NumVgprs: 25
; NumAgprs: 0
; TotalNumVgprs: 25
; ScratchSize: 0
; MemoryBound: 0
; FloatMode: 240
; IeeeMode: 1
; LDSByteSize: 0 bytes/workgroup (compile time only)
; SGPRBlocks: 6
; VGPRBlocks: 3
; NumSGPRsForWavesPerEU: 55
; NumVGPRsForWavesPerEU: 25
; AccumOffset: 28
; Occupancy: 8
; WaveLimiterHint : 0
; COMPUTE_PGM_RSRC2:SCRATCH_EN: 0
; COMPUTE_PGM_RSRC2:USER_SGPR: 6
; COMPUTE_PGM_RSRC2:TRAP_HANDLER: 0
; COMPUTE_PGM_RSRC2:TGID_X_EN: 1
; COMPUTE_PGM_RSRC2:TGID_Y_EN: 0
; COMPUTE_PGM_RSRC2:TGID_Z_EN: 0
; COMPUTE_PGM_RSRC2:TIDIG_COMP_CNT: 0
; COMPUTE_PGM_RSRC3_GFX90A:ACCUM_OFFSET: 6
; COMPUTE_PGM_RSRC3_GFX90A:TG_SPLIT: 0
	.section	.text._ZN2at6native16triu_tril_kernelIliLb0ELi2ELb1EEEvNS_4cuda6detail10TensorInfoIT_T0_EENS4_IKS5_S6_EEllS6_,"axG",@progbits,_ZN2at6native16triu_tril_kernelIliLb0ELi2ELb1EEEvNS_4cuda6detail10TensorInfoIT_T0_EENS4_IKS5_S6_EEllS6_,comdat
	.protected	_ZN2at6native16triu_tril_kernelIliLb0ELi2ELb1EEEvNS_4cuda6detail10TensorInfoIT_T0_EENS4_IKS5_S6_EEllS6_ ; -- Begin function _ZN2at6native16triu_tril_kernelIliLb0ELi2ELb1EEEvNS_4cuda6detail10TensorInfoIT_T0_EENS4_IKS5_S6_EEllS6_
	.globl	_ZN2at6native16triu_tril_kernelIliLb0ELi2ELb1EEEvNS_4cuda6detail10TensorInfoIT_T0_EENS4_IKS5_S6_EEllS6_
	.p2align	8
	.type	_ZN2at6native16triu_tril_kernelIliLb0ELi2ELb1EEEvNS_4cuda6detail10TensorInfoIT_T0_EENS4_IKS5_S6_EEllS6_,@function
_ZN2at6native16triu_tril_kernelIliLb0ELi2ELb1EEEvNS_4cuda6detail10TensorInfoIT_T0_EENS4_IKS5_S6_EEllS6_: ; @_ZN2at6native16triu_tril_kernelIliLb0ELi2ELb1EEEvNS_4cuda6detail10TensorInfoIT_T0_EENS4_IKS5_S6_EEllS6_
; %bb.0:
	s_load_dword s2, s[4:5], 0x1d4
	s_load_dwordx4 s[8:11], s[4:5], 0x1b0
	s_add_u32 s0, s4, 0x1c8
	v_mov_b32_e32 v2, 0
	s_addc_u32 s1, s5, 0
	s_waitcnt lgkmcnt(0)
	s_and_b32 s7, s2, 0xffff
	v_mov_b32_e32 v1, v2
	v_mov_b32_e32 v3, s6
	v_mad_u64_u32 v[0:1], s[2:3], s7, v3, v[0:1]
	v_lshlrev_b64 v[0:1], 1, v[0:1]
	v_cmp_gt_i64_e32 vcc, s[10:11], v[0:1]
	s_and_saveexec_b64 s[2:3], vcc
	s_cbranch_execz .LBB12_63
; %bb.1:
	s_load_dword s33, s[4:5], 0x1c0
	s_load_dword s14, s[4:5], 0x1a8
	;; [unrolled: 1-line block ×3, first 2 shown]
	s_load_dwordx2 s[2:3], s[4:5], 0x0
	s_mov_b64 s[22:23], 0
	s_waitcnt lgkmcnt(0)
	s_ashr_i32 s38, s33, 31
	s_ashr_i32 s15, s14, 31
	s_add_u32 s39, s4, 0xe0
	s_addc_u32 s40, s5, 0
	s_add_i32 s0, s14, -2
	s_ashr_i32 s1, s0, 31
	s_lshl_b64 s[12:13], s[0:1], 2
	s_add_u32 s16, s39, s12
	s_addc_u32 s17, s40, s13
	s_load_dword s41, s[16:17], 0x0
	s_lshl_b64 s[16:17], s[14:15], 2
	s_mul_i32 s1, s6, s7
	v_cmp_gt_i64_e64 s[6:7], s[14:15], 2
	v_cvt_f32_u32_e32 v3, s33
	s_waitcnt lgkmcnt(0)
	s_ashr_i32 s42, s41, 31
	s_add_u32 s15, s16, -4
	s_addc_u32 s16, s17, -1
	s_add_u32 s43, s4, 0x6c
	s_addc_u32 s44, s5, 0
	s_add_u32 s4, s43, s15
	v_rcp_iflag_f32_e32 v3, v3
	s_addc_u32 s5, s44, s16
	s_add_u32 s12, s43, s12
	s_addc_u32 s13, s44, s13
	s_add_i32 s45, s14, -3
	s_add_u32 s14, s39, s15
	v_mul_f32_e32 v3, 0x4f7ffffe, v3
	s_addc_u32 s15, s40, s16
	s_lshl_b32 s46, s1, 1
	s_and_b32 s48, s0, 7
	v_cvt_u32_f32_e32 v26, v3
	s_cmp_lg_u32 s48, 0
	s_mov_b32 s17, 0
	s_cselect_b64 s[18:19], -1, 0
	s_cmp_gt_u32 s45, 6
	s_mov_b32 s47, s17
	s_cselect_b64 s[20:21], -1, 0
	s_branch .LBB12_3
.LBB12_2:                               ;   in Loop: Header=BB12_3 Depth=1
	s_or_b64 exec, exec, s[24:25]
	v_mov_b32_e32 v3, s47
	v_add_co_u32_e32 v0, vcc, s46, v0
	v_addc_co_u32_e32 v1, vcc, v1, v3, vcc
	v_cmp_le_i64_e32 vcc, s[10:11], v[0:1]
	s_or_b64 s[22:23], vcc, s[22:23]
	s_andn2_b64 exec, exec, s[22:23]
	s_cbranch_execz .LBB12_63
.LBB12_3:                               ; =>This Loop Header: Depth=1
                                        ;     Child Loop BB12_16 Depth 2
                                        ;     Child Loop BB12_23 Depth 2
	v_or_b32_e32 v3, s38, v1
	v_cmp_ne_u64_e32 vcc, 0, v[2:3]
                                        ; implicit-def: $vgpr4_vgpr5
	s_and_saveexec_b64 s[0:1], vcc
	s_xor_b64 s[24:25], exec, s[0:1]
	s_cbranch_execz .LBB12_5
; %bb.4:                                ;   in Loop: Header=BB12_3 Depth=1
	s_add_u32 s0, s33, s38
	s_mov_b32 s26, s38
	s_mov_b32 s27, s38
	s_addc_u32 s1, s38, s38
	s_xor_b64 s[28:29], s[0:1], s[26:27]
	v_cvt_f32_u32_e32 v3, s28
	v_cvt_f32_u32_e32 v4, s29
	s_sub_u32 s0, 0, s28
	s_subb_u32 s1, 0, s29
	v_mac_f32_e32 v3, 0x4f800000, v4
	v_rcp_f32_e32 v3, v3
	v_mul_f32_e32 v3, 0x5f7ffffc, v3
	v_mul_f32_e32 v4, 0x2f800000, v3
	v_trunc_f32_e32 v4, v4
	v_mac_f32_e32 v3, 0xcf800000, v4
	v_cvt_u32_f32_e32 v4, v4
	v_cvt_u32_f32_e32 v3, v3
	v_mul_lo_u32 v5, s0, v4
	v_mul_hi_u32 v7, s0, v3
	v_mul_lo_u32 v6, s1, v3
	v_add_u32_e32 v5, v7, v5
	v_mul_lo_u32 v8, s0, v3
	v_add_u32_e32 v5, v5, v6
	v_mul_lo_u32 v7, v3, v5
	v_mul_hi_u32 v9, v3, v8
	v_mul_hi_u32 v6, v3, v5
	v_add_co_u32_e32 v7, vcc, v9, v7
	v_addc_co_u32_e32 v6, vcc, 0, v6, vcc
	v_mul_hi_u32 v10, v4, v8
	v_mul_lo_u32 v8, v4, v8
	v_add_co_u32_e32 v7, vcc, v7, v8
	v_mul_hi_u32 v9, v4, v5
	v_addc_co_u32_e32 v6, vcc, v6, v10, vcc
	v_addc_co_u32_e32 v7, vcc, 0, v9, vcc
	v_mul_lo_u32 v5, v4, v5
	v_add_co_u32_e32 v5, vcc, v6, v5
	v_addc_co_u32_e32 v6, vcc, 0, v7, vcc
	v_add_co_u32_e32 v3, vcc, v3, v5
	v_addc_co_u32_e32 v4, vcc, v4, v6, vcc
	v_mul_lo_u32 v5, s0, v4
	v_mul_hi_u32 v6, s0, v3
	v_add_u32_e32 v5, v6, v5
	v_mul_lo_u32 v6, s1, v3
	v_add_u32_e32 v5, v5, v6
	v_mul_lo_u32 v7, s0, v3
	v_mul_hi_u32 v8, v4, v7
	v_mul_lo_u32 v9, v4, v7
	v_mul_lo_u32 v11, v3, v5
	v_mul_hi_u32 v7, v3, v7
	v_mul_hi_u32 v10, v3, v5
	v_add_co_u32_e32 v7, vcc, v7, v11
	v_addc_co_u32_e32 v10, vcc, 0, v10, vcc
	v_add_co_u32_e32 v7, vcc, v7, v9
	v_mul_hi_u32 v6, v4, v5
	v_addc_co_u32_e32 v7, vcc, v10, v8, vcc
	v_addc_co_u32_e32 v6, vcc, 0, v6, vcc
	v_mul_lo_u32 v5, v4, v5
	v_add_co_u32_e32 v5, vcc, v7, v5
	v_addc_co_u32_e32 v6, vcc, 0, v6, vcc
	v_add_co_u32_e32 v3, vcc, v3, v5
	v_addc_co_u32_e32 v6, vcc, v4, v6, vcc
	v_ashrrev_i32_e32 v8, 31, v1
	v_add_co_u32_e32 v4, vcc, v0, v8
	v_addc_co_u32_e32 v5, vcc, v1, v8, vcc
	v_xor_b32_e32 v10, v4, v8
	v_xor_b32_e32 v9, v5, v8
	v_mad_u64_u32 v[4:5], s[0:1], v10, v6, 0
	v_mul_hi_u32 v7, v10, v3
	v_add_co_u32_e32 v11, vcc, v7, v4
	v_addc_co_u32_e32 v12, vcc, 0, v5, vcc
	v_mad_u64_u32 v[4:5], s[0:1], v9, v6, 0
	v_mad_u64_u32 v[6:7], s[0:1], v9, v3, 0
	v_add_co_u32_e32 v3, vcc, v11, v6
	v_addc_co_u32_e32 v3, vcc, v12, v7, vcc
	v_addc_co_u32_e32 v5, vcc, 0, v5, vcc
	v_add_co_u32_e32 v3, vcc, v3, v4
	v_addc_co_u32_e32 v6, vcc, 0, v5, vcc
	v_mul_lo_u32 v7, s29, v3
	v_mul_lo_u32 v11, s28, v6
	v_mad_u64_u32 v[4:5], s[0:1], s28, v3, 0
	v_add3_u32 v5, v5, v11, v7
	v_sub_u32_e32 v7, v9, v5
	v_mov_b32_e32 v11, s29
	v_sub_co_u32_e32 v4, vcc, v10, v4
	v_subb_co_u32_e64 v7, s[0:1], v7, v11, vcc
	v_subrev_co_u32_e64 v10, s[0:1], s28, v4
	v_subbrev_co_u32_e64 v7, s[0:1], 0, v7, s[0:1]
	v_cmp_le_u32_e64 s[0:1], s29, v7
	v_cndmask_b32_e64 v11, 0, -1, s[0:1]
	v_cmp_le_u32_e64 s[0:1], s28, v10
	v_cndmask_b32_e64 v10, 0, -1, s[0:1]
	v_cmp_eq_u32_e64 s[0:1], s29, v7
	v_cndmask_b32_e64 v7, v11, v10, s[0:1]
	v_add_co_u32_e64 v10, s[0:1], 2, v3
	v_subb_co_u32_e32 v5, vcc, v9, v5, vcc
	v_addc_co_u32_e64 v11, s[0:1], 0, v6, s[0:1]
	v_cmp_le_u32_e32 vcc, s29, v5
	v_add_co_u32_e64 v12, s[0:1], 1, v3
	v_cndmask_b32_e64 v9, 0, -1, vcc
	v_cmp_le_u32_e32 vcc, s28, v4
	v_addc_co_u32_e64 v13, s[0:1], 0, v6, s[0:1]
	v_cndmask_b32_e64 v4, 0, -1, vcc
	v_cmp_eq_u32_e32 vcc, s29, v5
	v_cmp_ne_u32_e64 s[0:1], 0, v7
	v_cndmask_b32_e32 v4, v9, v4, vcc
	v_cndmask_b32_e64 v7, v13, v11, s[0:1]
	v_cmp_ne_u32_e32 vcc, 0, v4
	v_cndmask_b32_e64 v5, v12, v10, s[0:1]
	v_cndmask_b32_e32 v4, v6, v7, vcc
	v_cndmask_b32_e32 v3, v3, v5, vcc
	v_xor_b32_e32 v6, s26, v8
	v_xor_b32_e32 v5, s27, v8
	;; [unrolled: 1-line block ×4, first 2 shown]
	v_sub_co_u32_e32 v4, vcc, v3, v6
	v_subb_co_u32_e32 v5, vcc, v7, v5, vcc
.LBB12_5:                               ;   in Loop: Header=BB12_3 Depth=1
	s_andn2_saveexec_b64 s[0:1], s[24:25]
	s_cbranch_execz .LBB12_7
; %bb.6:                                ;   in Loop: Header=BB12_3 Depth=1
	s_sub_i32 s16, 0, s33
	v_mul_lo_u32 v3, s16, v26
	v_mul_hi_u32 v3, v26, v3
	v_add_u32_e32 v3, v26, v3
	v_mul_hi_u32 v3, v0, v3
	v_mul_lo_u32 v4, v3, s33
	v_sub_u32_e32 v4, v0, v4
	v_subrev_u32_e32 v5, s33, v4
	v_cmp_le_u32_e32 vcc, s33, v4
	v_cndmask_b32_e32 v4, v4, v5, vcc
	v_add_u32_e32 v5, 1, v3
	v_cndmask_b32_e32 v3, v3, v5, vcc
	v_add_u32_e32 v5, 1, v3
	v_cmp_le_u32_e32 vcc, s33, v4
	v_cndmask_b32_e32 v4, v3, v5, vcc
	v_mov_b32_e32 v5, v2
.LBB12_7:                               ;   in Loop: Header=BB12_3 Depth=1
	s_or_b64 exec, exec, s[0:1]
	v_or_b32_e32 v3, s42, v5
	v_cmp_ne_u64_e32 vcc, 0, v[2:3]
                                        ; implicit-def: $vgpr8_vgpr9
	s_and_saveexec_b64 s[0:1], vcc
	s_xor_b64 s[24:25], exec, s[0:1]
	s_cbranch_execz .LBB12_9
; %bb.8:                                ;   in Loop: Header=BB12_3 Depth=1
	s_add_u32 s0, s41, s42
	s_mov_b32 s26, s42
	s_mov_b32 s27, s42
	s_addc_u32 s1, s42, s42
	s_xor_b64 s[28:29], s[0:1], s[26:27]
	v_cvt_f32_u32_e32 v3, s28
	v_cvt_f32_u32_e32 v6, s29
	s_sub_u32 s0, 0, s28
	s_subb_u32 s1, 0, s29
	v_mac_f32_e32 v3, 0x4f800000, v6
	v_rcp_f32_e32 v3, v3
	v_mul_f32_e32 v3, 0x5f7ffffc, v3
	v_mul_f32_e32 v6, 0x2f800000, v3
	v_trunc_f32_e32 v6, v6
	v_mac_f32_e32 v3, 0xcf800000, v6
	v_cvt_u32_f32_e32 v6, v6
	v_cvt_u32_f32_e32 v3, v3
	v_mul_lo_u32 v7, s0, v6
	v_mul_hi_u32 v9, s0, v3
	v_mul_lo_u32 v8, s1, v3
	v_add_u32_e32 v7, v9, v7
	v_mul_lo_u32 v10, s0, v3
	v_add_u32_e32 v7, v7, v8
	v_mul_lo_u32 v9, v3, v7
	v_mul_hi_u32 v11, v3, v10
	v_mul_hi_u32 v8, v3, v7
	v_add_co_u32_e32 v9, vcc, v11, v9
	v_addc_co_u32_e32 v8, vcc, 0, v8, vcc
	v_mul_hi_u32 v12, v6, v10
	v_mul_lo_u32 v10, v6, v10
	v_add_co_u32_e32 v9, vcc, v9, v10
	v_mul_hi_u32 v11, v6, v7
	v_addc_co_u32_e32 v8, vcc, v8, v12, vcc
	v_addc_co_u32_e32 v9, vcc, 0, v11, vcc
	v_mul_lo_u32 v7, v6, v7
	v_add_co_u32_e32 v7, vcc, v8, v7
	v_addc_co_u32_e32 v8, vcc, 0, v9, vcc
	v_add_co_u32_e32 v3, vcc, v3, v7
	v_addc_co_u32_e32 v6, vcc, v6, v8, vcc
	v_mul_lo_u32 v7, s0, v6
	v_mul_hi_u32 v8, s0, v3
	v_add_u32_e32 v7, v8, v7
	v_mul_lo_u32 v8, s1, v3
	v_add_u32_e32 v7, v7, v8
	v_mul_lo_u32 v9, s0, v3
	v_mul_hi_u32 v10, v6, v9
	v_mul_lo_u32 v11, v6, v9
	v_mul_lo_u32 v13, v3, v7
	v_mul_hi_u32 v9, v3, v9
	v_mul_hi_u32 v12, v3, v7
	v_add_co_u32_e32 v9, vcc, v9, v13
	v_addc_co_u32_e32 v12, vcc, 0, v12, vcc
	v_add_co_u32_e32 v9, vcc, v9, v11
	v_mul_hi_u32 v8, v6, v7
	v_addc_co_u32_e32 v9, vcc, v12, v10, vcc
	v_addc_co_u32_e32 v8, vcc, 0, v8, vcc
	v_mul_lo_u32 v7, v6, v7
	v_add_co_u32_e32 v7, vcc, v9, v7
	v_addc_co_u32_e32 v8, vcc, 0, v8, vcc
	v_add_co_u32_e32 v3, vcc, v3, v7
	v_addc_co_u32_e32 v8, vcc, v6, v8, vcc
	v_ashrrev_i32_e32 v10, 31, v5
	v_add_co_u32_e32 v6, vcc, v4, v10
	v_xor_b32_e32 v11, v6, v10
	v_addc_co_u32_e32 v5, vcc, v5, v10, vcc
	v_mad_u64_u32 v[6:7], s[0:1], v11, v8, 0
	v_mul_hi_u32 v9, v11, v3
	v_xor_b32_e32 v5, v5, v10
	v_add_co_u32_e32 v12, vcc, v9, v6
	v_addc_co_u32_e32 v13, vcc, 0, v7, vcc
	v_mad_u64_u32 v[6:7], s[0:1], v5, v8, 0
	v_mad_u64_u32 v[8:9], s[0:1], v5, v3, 0
	v_add_co_u32_e32 v3, vcc, v12, v8
	v_addc_co_u32_e32 v3, vcc, v13, v9, vcc
	v_addc_co_u32_e32 v7, vcc, 0, v7, vcc
	v_add_co_u32_e32 v3, vcc, v3, v6
	v_addc_co_u32_e32 v8, vcc, 0, v7, vcc
	v_mul_lo_u32 v9, s29, v3
	v_mul_lo_u32 v12, s28, v8
	v_mad_u64_u32 v[6:7], s[0:1], s28, v3, 0
	v_add3_u32 v7, v7, v12, v9
	v_sub_u32_e32 v9, v5, v7
	v_mov_b32_e32 v12, s29
	v_sub_co_u32_e32 v6, vcc, v11, v6
	v_subb_co_u32_e64 v9, s[0:1], v9, v12, vcc
	v_subrev_co_u32_e64 v11, s[0:1], s28, v6
	v_subbrev_co_u32_e64 v9, s[0:1], 0, v9, s[0:1]
	v_cmp_le_u32_e64 s[0:1], s29, v9
	v_cndmask_b32_e64 v12, 0, -1, s[0:1]
	v_cmp_le_u32_e64 s[0:1], s28, v11
	v_cndmask_b32_e64 v11, 0, -1, s[0:1]
	v_cmp_eq_u32_e64 s[0:1], s29, v9
	v_cndmask_b32_e64 v9, v12, v11, s[0:1]
	v_add_co_u32_e64 v11, s[0:1], 2, v3
	v_subb_co_u32_e32 v5, vcc, v5, v7, vcc
	v_addc_co_u32_e64 v12, s[0:1], 0, v8, s[0:1]
	v_cmp_le_u32_e32 vcc, s29, v5
	v_add_co_u32_e64 v13, s[0:1], 1, v3
	v_cndmask_b32_e64 v7, 0, -1, vcc
	v_cmp_le_u32_e32 vcc, s28, v6
	v_addc_co_u32_e64 v14, s[0:1], 0, v8, s[0:1]
	v_cndmask_b32_e64 v6, 0, -1, vcc
	v_cmp_eq_u32_e32 vcc, s29, v5
	v_cmp_ne_u32_e64 s[0:1], 0, v9
	v_cndmask_b32_e32 v5, v7, v6, vcc
	v_cmp_ne_u32_e32 vcc, 0, v5
	v_cndmask_b32_e64 v6, v13, v11, s[0:1]
	v_cndmask_b32_e64 v9, v14, v12, s[0:1]
	v_cndmask_b32_e32 v3, v3, v6, vcc
	v_xor_b32_e32 v7, s26, v10
	v_cndmask_b32_e32 v5, v8, v9, vcc
	v_xor_b32_e32 v6, s27, v10
	v_xor_b32_e32 v3, v3, v7
	;; [unrolled: 1-line block ×3, first 2 shown]
	v_sub_co_u32_e32 v8, vcc, v3, v7
	v_subb_co_u32_e32 v9, vcc, v5, v6, vcc
.LBB12_9:                               ;   in Loop: Header=BB12_3 Depth=1
	s_andn2_saveexec_b64 s[0:1], s[24:25]
	s_cbranch_execz .LBB12_11
; %bb.10:                               ;   in Loop: Header=BB12_3 Depth=1
	v_cvt_f32_u32_e32 v3, s41
	s_sub_i32 s16, 0, s41
	v_mov_b32_e32 v9, v2
	v_rcp_iflag_f32_e32 v3, v3
	v_mul_f32_e32 v3, 0x4f7ffffe, v3
	v_cvt_u32_f32_e32 v3, v3
	v_mul_lo_u32 v5, s16, v3
	v_mul_hi_u32 v5, v3, v5
	v_add_u32_e32 v3, v3, v5
	v_mul_hi_u32 v3, v4, v3
	v_mul_lo_u32 v5, v3, s41
	v_sub_u32_e32 v5, v4, v5
	v_add_u32_e32 v6, 1, v3
	v_subrev_u32_e32 v7, s41, v5
	v_cmp_le_u32_e32 vcc, s41, v5
	v_cndmask_b32_e32 v5, v5, v7, vcc
	v_cndmask_b32_e32 v3, v3, v6, vcc
	v_add_u32_e32 v6, 1, v3
	v_cmp_le_u32_e32 vcc, s41, v5
	v_cndmask_b32_e32 v8, v3, v6, vcc
.LBB12_11:                              ;   in Loop: Header=BB12_3 Depth=1
	s_or_b64 exec, exec, s[0:1]
	v_mad_u64_u32 v[6:7], s[0:1], v4, s33, 0
	v_sub_co_u32_e32 v28, vcc, v0, v6
	v_mad_u64_u32 v[6:7], s[0:1], v8, s41, 0
	v_sub_co_u32_e32 v27, vcc, v4, v6
	v_sub_u32_e32 v4, v28, v27
	v_add_u32_e32 v6, 2, v4
	v_ashrrev_i32_e32 v7, 31, v6
	v_cmp_lt_i64_e32 vcc, s[8:9], v[6:7]
	s_and_saveexec_b64 s[24:25], vcc
	s_cbranch_execz .LBB12_2
; %bb.12:                               ;   in Loop: Header=BB12_3 Depth=1
	s_load_dword s49, s[4:5], 0x0
	s_load_dword s0, s[12:13], 0x0
	s_andn2_b64 vcc, exec, s[6:7]
	s_waitcnt lgkmcnt(0)
	v_mul_lo_u32 v6, s49, v28
	v_mad_u64_u32 v[6:7], s[0:1], s0, v27, v[6:7]
	s_cbranch_vccnz .LBB12_57
; %bb.13:                               ;   in Loop: Header=BB12_3 Depth=1
	s_andn2_b64 vcc, exec, s[18:19]
	s_cbranch_vccnz .LBB12_20
; %bb.14:                               ;   in Loop: Header=BB12_3 Depth=1
	s_mov_b32 s36, s48
	s_mov_b32 s16, s45
	s_branch .LBB12_16
.LBB12_15:                              ;   in Loop: Header=BB12_16 Depth=2
	s_or_b64 exec, exec, s[0:1]
	s_add_u32 s0, s43, s26
	s_addc_u32 s1, s44, s27
	s_load_dword s0, s[0:1], 0x0
	v_mul_lo_u32 v3, v8, s37
	v_sub_u32_e32 v3, v10, v3
	s_add_i32 s16, s16, -1
	s_add_i32 s36, s36, -1
	s_cmp_lg_u32 s36, 0
	s_waitcnt lgkmcnt(0)
	v_mad_u64_u32 v[6:7], s[0:1], s0, v3, v[6:7]
	s_cbranch_scc0 .LBB12_21
.LBB12_16:                              ;   Parent Loop BB12_3 Depth=1
                                        ; =>  This Inner Loop Header: Depth=2
	s_lshl_b64 s[26:27], s[16:17], 2
	s_add_u32 s0, s39, s26
	s_addc_u32 s1, s40, s27
	s_load_dword s37, s[0:1], 0x0
	v_pk_mov_b32 v[10:11], v[8:9], v[8:9] op_sel:[0,1]
                                        ; implicit-def: $vgpr8_vgpr9
	s_waitcnt lgkmcnt(0)
	s_ashr_i32 s0, s37, 31
	v_or_b32_e32 v3, s0, v11
	v_cmp_ne_u64_e32 vcc, 0, v[2:3]
	s_and_saveexec_b64 s[28:29], vcc
	s_xor_b64 s[28:29], exec, s[28:29]
	s_cbranch_execz .LBB12_18
; %bb.17:                               ;   in Loop: Header=BB12_16 Depth=2
	s_add_u32 s34, s37, s0
	s_mov_b32 s30, s0
	s_mov_b32 s31, s0
	s_addc_u32 s35, s0, s0
	s_xor_b64 s[34:35], s[34:35], s[30:31]
	v_cvt_f32_u32_e32 v3, s34
	v_cvt_f32_u32_e32 v5, s35
	s_sub_u32 s0, 0, s34
	s_subb_u32 s1, 0, s35
	v_mac_f32_e32 v3, 0x4f800000, v5
	v_rcp_f32_e32 v3, v3
	v_mul_f32_e32 v3, 0x5f7ffffc, v3
	v_mul_f32_e32 v5, 0x2f800000, v3
	v_trunc_f32_e32 v5, v5
	v_mac_f32_e32 v3, 0xcf800000, v5
	v_cvt_u32_f32_e32 v5, v5
	v_cvt_u32_f32_e32 v3, v3
	v_mul_lo_u32 v7, s0, v5
	v_mul_hi_u32 v9, s0, v3
	v_mul_lo_u32 v8, s1, v3
	v_add_u32_e32 v7, v9, v7
	v_mul_lo_u32 v12, s0, v3
	v_add_u32_e32 v7, v7, v8
	v_mul_lo_u32 v9, v3, v7
	v_mul_hi_u32 v13, v3, v12
	v_mul_hi_u32 v8, v3, v7
	v_add_co_u32_e32 v9, vcc, v13, v9
	v_addc_co_u32_e32 v8, vcc, 0, v8, vcc
	v_mul_hi_u32 v14, v5, v12
	v_mul_lo_u32 v12, v5, v12
	v_add_co_u32_e32 v9, vcc, v9, v12
	v_mul_hi_u32 v13, v5, v7
	v_addc_co_u32_e32 v8, vcc, v8, v14, vcc
	v_addc_co_u32_e32 v9, vcc, 0, v13, vcc
	v_mul_lo_u32 v7, v5, v7
	v_add_co_u32_e32 v7, vcc, v8, v7
	v_addc_co_u32_e32 v8, vcc, 0, v9, vcc
	v_add_co_u32_e32 v3, vcc, v3, v7
	v_addc_co_u32_e32 v5, vcc, v5, v8, vcc
	v_mul_lo_u32 v7, s0, v5
	v_mul_hi_u32 v8, s0, v3
	v_add_u32_e32 v7, v8, v7
	v_mul_lo_u32 v8, s1, v3
	v_add_u32_e32 v7, v7, v8
	v_mul_lo_u32 v9, s0, v3
	v_mul_hi_u32 v12, v5, v9
	v_mul_lo_u32 v13, v5, v9
	v_mul_lo_u32 v15, v3, v7
	v_mul_hi_u32 v9, v3, v9
	v_mul_hi_u32 v14, v3, v7
	v_add_co_u32_e32 v9, vcc, v9, v15
	v_addc_co_u32_e32 v14, vcc, 0, v14, vcc
	v_add_co_u32_e32 v9, vcc, v9, v13
	v_mul_hi_u32 v8, v5, v7
	v_addc_co_u32_e32 v9, vcc, v14, v12, vcc
	v_addc_co_u32_e32 v8, vcc, 0, v8, vcc
	v_mul_lo_u32 v7, v5, v7
	v_add_co_u32_e32 v7, vcc, v9, v7
	v_addc_co_u32_e32 v8, vcc, 0, v8, vcc
	v_add_co_u32_e32 v3, vcc, v3, v7
	v_addc_co_u32_e32 v5, vcc, v5, v8, vcc
	v_ashrrev_i32_e32 v7, 31, v11
	v_add_co_u32_e32 v8, vcc, v10, v7
	v_addc_co_u32_e32 v9, vcc, v11, v7, vcc
	v_xor_b32_e32 v14, v8, v7
	v_xor_b32_e32 v11, v9, v7
	v_mad_u64_u32 v[8:9], s[0:1], v14, v5, 0
	v_mul_hi_u32 v12, v14, v3
	v_add_co_u32_e32 v15, vcc, v12, v8
	v_addc_co_u32_e32 v16, vcc, 0, v9, vcc
	v_mad_u64_u32 v[12:13], s[0:1], v11, v3, 0
	v_add_co_u32_e32 v3, vcc, v15, v12
	v_mad_u64_u32 v[8:9], s[0:1], v11, v5, 0
	v_addc_co_u32_e32 v3, vcc, v16, v13, vcc
	v_addc_co_u32_e32 v5, vcc, 0, v9, vcc
	v_add_co_u32_e32 v3, vcc, v3, v8
	v_addc_co_u32_e32 v5, vcc, 0, v5, vcc
	v_mul_lo_u32 v12, s35, v3
	v_mul_lo_u32 v13, s34, v5
	v_mad_u64_u32 v[8:9], s[0:1], s34, v3, 0
	v_add3_u32 v9, v9, v13, v12
	v_sub_u32_e32 v12, v11, v9
	v_mov_b32_e32 v13, s35
	v_sub_co_u32_e32 v8, vcc, v14, v8
	v_subb_co_u32_e64 v12, s[0:1], v12, v13, vcc
	v_subrev_co_u32_e64 v13, s[0:1], s34, v8
	v_subbrev_co_u32_e64 v12, s[0:1], 0, v12, s[0:1]
	v_cmp_le_u32_e64 s[0:1], s35, v12
	v_cndmask_b32_e64 v14, 0, -1, s[0:1]
	v_cmp_le_u32_e64 s[0:1], s34, v13
	v_cndmask_b32_e64 v13, 0, -1, s[0:1]
	v_cmp_eq_u32_e64 s[0:1], s35, v12
	v_cndmask_b32_e64 v12, v14, v13, s[0:1]
	v_add_co_u32_e64 v13, s[0:1], 2, v3
	v_subb_co_u32_e32 v9, vcc, v11, v9, vcc
	v_addc_co_u32_e64 v14, s[0:1], 0, v5, s[0:1]
	v_cmp_le_u32_e32 vcc, s35, v9
	v_add_co_u32_e64 v15, s[0:1], 1, v3
	v_cndmask_b32_e64 v11, 0, -1, vcc
	v_cmp_le_u32_e32 vcc, s34, v8
	v_addc_co_u32_e64 v16, s[0:1], 0, v5, s[0:1]
	v_cndmask_b32_e64 v8, 0, -1, vcc
	v_cmp_eq_u32_e32 vcc, s35, v9
	v_cmp_ne_u32_e64 s[0:1], 0, v12
	v_cndmask_b32_e32 v8, v11, v8, vcc
	v_cmp_ne_u32_e32 vcc, 0, v8
	v_cndmask_b32_e64 v8, v15, v13, s[0:1]
	v_cndmask_b32_e64 v12, v16, v14, s[0:1]
	v_cndmask_b32_e32 v3, v3, v8, vcc
	v_xor_b32_e32 v9, s31, v7
	v_xor_b32_e32 v7, s30, v7
	v_cndmask_b32_e32 v5, v5, v12, vcc
	v_xor_b32_e32 v3, v3, v7
	v_xor_b32_e32 v5, v5, v9
	v_sub_co_u32_e32 v8, vcc, v3, v7
	v_subb_co_u32_e32 v9, vcc, v5, v9, vcc
.LBB12_18:                              ;   in Loop: Header=BB12_16 Depth=2
	s_andn2_saveexec_b64 s[0:1], s[28:29]
	s_cbranch_execz .LBB12_15
; %bb.19:                               ;   in Loop: Header=BB12_16 Depth=2
	v_cvt_f32_u32_e32 v3, s37
	s_sub_i32 s28, 0, s37
	v_mov_b32_e32 v9, v2
	v_rcp_iflag_f32_e32 v3, v3
	v_mul_f32_e32 v3, 0x4f7ffffe, v3
	v_cvt_u32_f32_e32 v3, v3
	v_mul_lo_u32 v5, s28, v3
	v_mul_hi_u32 v5, v3, v5
	v_add_u32_e32 v3, v3, v5
	v_mul_hi_u32 v3, v10, v3
	v_mul_lo_u32 v5, v3, s37
	v_sub_u32_e32 v5, v10, v5
	v_add_u32_e32 v7, 1, v3
	v_subrev_u32_e32 v8, s37, v5
	v_cmp_le_u32_e32 vcc, s37, v5
	v_cndmask_b32_e32 v5, v5, v8, vcc
	v_cndmask_b32_e32 v3, v3, v7, vcc
	v_add_u32_e32 v7, 1, v3
	v_cmp_le_u32_e32 vcc, s37, v5
	v_cndmask_b32_e32 v8, v3, v7, vcc
	s_branch .LBB12_15
.LBB12_20:                              ;   in Loop: Header=BB12_3 Depth=1
	s_mov_b32 s16, s45
.LBB12_21:                              ;   in Loop: Header=BB12_3 Depth=1
	s_andn2_b64 vcc, exec, s[20:21]
	s_cbranch_vccnz .LBB12_57
; %bb.22:                               ;   in Loop: Header=BB12_3 Depth=1
	s_add_i32 s26, s16, -7
.LBB12_23:                              ;   Parent Loop BB12_3 Depth=1
                                        ; =>  This Inner Loop Header: Depth=2
	s_add_i32 s16, s26, 7
	s_lshl_b64 s[28:29], s[16:17], 2
	s_add_u32 s0, s39, s28
	s_addc_u32 s1, s40, s29
	s_load_dword s50, s[0:1], 0x0
                                        ; implicit-def: $vgpr10_vgpr11
	s_waitcnt lgkmcnt(0)
	s_ashr_i32 s0, s50, 31
	v_or_b32_e32 v3, s0, v9
	v_cmp_ne_u64_e32 vcc, 0, v[2:3]
	s_and_saveexec_b64 s[30:31], vcc
	s_xor_b64 s[30:31], exec, s[30:31]
	s_cbranch_execz .LBB12_25
; %bb.24:                               ;   in Loop: Header=BB12_23 Depth=2
	s_add_u32 s36, s50, s0
	s_mov_b32 s34, s0
	s_mov_b32 s35, s0
	s_addc_u32 s37, s0, s0
	s_xor_b64 s[36:37], s[36:37], s[34:35]
	v_cvt_f32_u32_e32 v3, s36
	v_cvt_f32_u32_e32 v5, s37
	s_sub_u32 s0, 0, s36
	s_subb_u32 s1, 0, s37
	v_mac_f32_e32 v3, 0x4f800000, v5
	v_rcp_f32_e32 v3, v3
	v_mul_f32_e32 v3, 0x5f7ffffc, v3
	v_mul_f32_e32 v5, 0x2f800000, v3
	v_trunc_f32_e32 v5, v5
	v_mac_f32_e32 v3, 0xcf800000, v5
	v_cvt_u32_f32_e32 v5, v5
	v_cvt_u32_f32_e32 v3, v3
	v_mul_lo_u32 v7, s0, v5
	v_mul_hi_u32 v11, s0, v3
	v_mul_lo_u32 v10, s1, v3
	v_add_u32_e32 v7, v11, v7
	v_mul_lo_u32 v12, s0, v3
	v_add_u32_e32 v7, v7, v10
	v_mul_lo_u32 v11, v3, v7
	v_mul_hi_u32 v13, v3, v12
	v_mul_hi_u32 v10, v3, v7
	v_add_co_u32_e32 v11, vcc, v13, v11
	v_addc_co_u32_e32 v10, vcc, 0, v10, vcc
	v_mul_hi_u32 v14, v5, v12
	v_mul_lo_u32 v12, v5, v12
	v_add_co_u32_e32 v11, vcc, v11, v12
	v_mul_hi_u32 v13, v5, v7
	v_addc_co_u32_e32 v10, vcc, v10, v14, vcc
	v_addc_co_u32_e32 v11, vcc, 0, v13, vcc
	v_mul_lo_u32 v7, v5, v7
	v_add_co_u32_e32 v7, vcc, v10, v7
	v_addc_co_u32_e32 v10, vcc, 0, v11, vcc
	v_add_co_u32_e32 v3, vcc, v3, v7
	v_addc_co_u32_e32 v5, vcc, v5, v10, vcc
	v_mul_lo_u32 v7, s0, v5
	v_mul_hi_u32 v10, s0, v3
	v_add_u32_e32 v7, v10, v7
	v_mul_lo_u32 v10, s1, v3
	v_add_u32_e32 v7, v7, v10
	v_mul_lo_u32 v11, s0, v3
	v_mul_hi_u32 v12, v5, v11
	v_mul_lo_u32 v13, v5, v11
	v_mul_lo_u32 v15, v3, v7
	v_mul_hi_u32 v11, v3, v11
	v_mul_hi_u32 v14, v3, v7
	v_add_co_u32_e32 v11, vcc, v11, v15
	v_addc_co_u32_e32 v14, vcc, 0, v14, vcc
	v_add_co_u32_e32 v11, vcc, v11, v13
	v_mul_hi_u32 v10, v5, v7
	v_addc_co_u32_e32 v11, vcc, v14, v12, vcc
	v_addc_co_u32_e32 v10, vcc, 0, v10, vcc
	v_mul_lo_u32 v7, v5, v7
	v_add_co_u32_e32 v7, vcc, v11, v7
	v_addc_co_u32_e32 v10, vcc, 0, v10, vcc
	v_add_co_u32_e32 v3, vcc, v3, v7
	v_addc_co_u32_e32 v5, vcc, v5, v10, vcc
	v_ashrrev_i32_e32 v7, 31, v9
	v_add_co_u32_e32 v10, vcc, v8, v7
	v_xor_b32_e32 v14, v10, v7
	v_addc_co_u32_e32 v9, vcc, v9, v7, vcc
	v_mad_u64_u32 v[10:11], s[0:1], v14, v5, 0
	v_mul_hi_u32 v12, v14, v3
	v_xor_b32_e32 v9, v9, v7
	v_add_co_u32_e32 v15, vcc, v12, v10
	v_addc_co_u32_e32 v16, vcc, 0, v11, vcc
	v_mad_u64_u32 v[12:13], s[0:1], v9, v3, 0
	v_add_co_u32_e32 v3, vcc, v15, v12
	v_mad_u64_u32 v[10:11], s[0:1], v9, v5, 0
	v_addc_co_u32_e32 v3, vcc, v16, v13, vcc
	v_addc_co_u32_e32 v5, vcc, 0, v11, vcc
	v_add_co_u32_e32 v3, vcc, v3, v10
	v_addc_co_u32_e32 v5, vcc, 0, v5, vcc
	v_mul_lo_u32 v12, s37, v3
	v_mul_lo_u32 v13, s36, v5
	v_mad_u64_u32 v[10:11], s[0:1], s36, v3, 0
	v_add3_u32 v11, v11, v13, v12
	v_sub_u32_e32 v12, v9, v11
	v_mov_b32_e32 v13, s37
	v_sub_co_u32_e32 v10, vcc, v14, v10
	v_subb_co_u32_e64 v12, s[0:1], v12, v13, vcc
	v_subrev_co_u32_e64 v13, s[0:1], s36, v10
	v_subbrev_co_u32_e64 v12, s[0:1], 0, v12, s[0:1]
	v_cmp_le_u32_e64 s[0:1], s37, v12
	v_cndmask_b32_e64 v14, 0, -1, s[0:1]
	v_cmp_le_u32_e64 s[0:1], s36, v13
	v_cndmask_b32_e64 v13, 0, -1, s[0:1]
	v_cmp_eq_u32_e64 s[0:1], s37, v12
	v_cndmask_b32_e64 v12, v14, v13, s[0:1]
	v_add_co_u32_e64 v13, s[0:1], 2, v3
	v_subb_co_u32_e32 v9, vcc, v9, v11, vcc
	v_addc_co_u32_e64 v14, s[0:1], 0, v5, s[0:1]
	v_cmp_le_u32_e32 vcc, s37, v9
	v_add_co_u32_e64 v15, s[0:1], 1, v3
	v_cndmask_b32_e64 v11, 0, -1, vcc
	v_cmp_le_u32_e32 vcc, s36, v10
	v_addc_co_u32_e64 v16, s[0:1], 0, v5, s[0:1]
	v_cndmask_b32_e64 v10, 0, -1, vcc
	v_cmp_eq_u32_e32 vcc, s37, v9
	v_cmp_ne_u32_e64 s[0:1], 0, v12
	v_cndmask_b32_e32 v9, v11, v10, vcc
	v_cmp_ne_u32_e32 vcc, 0, v9
	v_cndmask_b32_e64 v9, v15, v13, s[0:1]
	v_cndmask_b32_e64 v12, v16, v14, s[0:1]
	v_cndmask_b32_e32 v3, v3, v9, vcc
	v_xor_b32_e32 v9, s35, v7
	v_xor_b32_e32 v7, s34, v7
	v_cndmask_b32_e32 v5, v5, v12, vcc
	v_xor_b32_e32 v3, v3, v7
	v_xor_b32_e32 v5, v5, v9
	v_sub_co_u32_e32 v10, vcc, v3, v7
	v_subb_co_u32_e32 v11, vcc, v5, v9, vcc
.LBB12_25:                              ;   in Loop: Header=BB12_23 Depth=2
	s_andn2_saveexec_b64 s[0:1], s[30:31]
	s_cbranch_execz .LBB12_27
; %bb.26:                               ;   in Loop: Header=BB12_23 Depth=2
	v_cvt_f32_u32_e32 v3, s50
	s_sub_i32 s16, 0, s50
	v_mov_b32_e32 v11, v2
	v_rcp_iflag_f32_e32 v3, v3
	v_mul_f32_e32 v3, 0x4f7ffffe, v3
	v_cvt_u32_f32_e32 v3, v3
	v_mul_lo_u32 v5, s16, v3
	v_mul_hi_u32 v5, v3, v5
	v_add_u32_e32 v3, v3, v5
	v_mul_hi_u32 v3, v8, v3
	v_mul_lo_u32 v5, v3, s50
	v_sub_u32_e32 v5, v8, v5
	v_add_u32_e32 v7, 1, v3
	v_subrev_u32_e32 v9, s50, v5
	v_cmp_le_u32_e32 vcc, s50, v5
	v_cndmask_b32_e32 v5, v5, v9, vcc
	v_cndmask_b32_e32 v3, v3, v7, vcc
	v_add_u32_e32 v7, 1, v3
	v_cmp_le_u32_e32 vcc, s50, v5
	v_cndmask_b32_e32 v10, v3, v7, vcc
.LBB12_27:                              ;   in Loop: Header=BB12_23 Depth=2
	s_or_b64 exec, exec, s[0:1]
	s_add_u32 s0, s43, s28
	s_addc_u32 s1, s44, s29
	s_add_i32 s16, s26, 6
	s_lshl_b64 s[28:29], s[16:17], 2
	s_add_u32 s30, s39, s28
	s_addc_u32 s31, s40, s29
	s_load_dword s51, s[30:31], 0x0
	s_load_dword s52, s[0:1], 0x0
                                        ; implicit-def: $vgpr12_vgpr13
	s_waitcnt lgkmcnt(0)
	s_ashr_i32 s0, s51, 31
	v_or_b32_e32 v3, s0, v11
	v_cmp_ne_u64_e32 vcc, 0, v[2:3]
	s_and_saveexec_b64 s[30:31], vcc
	s_xor_b64 s[30:31], exec, s[30:31]
	s_cbranch_execz .LBB12_29
; %bb.28:                               ;   in Loop: Header=BB12_23 Depth=2
	s_add_u32 s36, s51, s0
	s_mov_b32 s34, s0
	s_mov_b32 s35, s0
	s_addc_u32 s37, s0, s0
	s_xor_b64 s[36:37], s[36:37], s[34:35]
	v_cvt_f32_u32_e32 v3, s36
	v_cvt_f32_u32_e32 v5, s37
	s_sub_u32 s0, 0, s36
	s_subb_u32 s1, 0, s37
	v_mac_f32_e32 v3, 0x4f800000, v5
	v_rcp_f32_e32 v3, v3
	v_mul_f32_e32 v3, 0x5f7ffffc, v3
	v_mul_f32_e32 v5, 0x2f800000, v3
	v_trunc_f32_e32 v5, v5
	v_mac_f32_e32 v3, 0xcf800000, v5
	v_cvt_u32_f32_e32 v5, v5
	v_cvt_u32_f32_e32 v3, v3
	v_mul_lo_u32 v7, s0, v5
	v_mul_hi_u32 v12, s0, v3
	v_mul_lo_u32 v9, s1, v3
	v_add_u32_e32 v7, v12, v7
	v_mul_lo_u32 v13, s0, v3
	v_add_u32_e32 v7, v7, v9
	v_mul_lo_u32 v12, v3, v7
	v_mul_hi_u32 v14, v3, v13
	v_mul_hi_u32 v9, v3, v7
	v_add_co_u32_e32 v12, vcc, v14, v12
	v_addc_co_u32_e32 v9, vcc, 0, v9, vcc
	v_mul_hi_u32 v15, v5, v13
	v_mul_lo_u32 v13, v5, v13
	v_add_co_u32_e32 v12, vcc, v12, v13
	v_mul_hi_u32 v14, v5, v7
	v_addc_co_u32_e32 v9, vcc, v9, v15, vcc
	v_addc_co_u32_e32 v12, vcc, 0, v14, vcc
	v_mul_lo_u32 v7, v5, v7
	v_add_co_u32_e32 v7, vcc, v9, v7
	v_addc_co_u32_e32 v9, vcc, 0, v12, vcc
	v_add_co_u32_e32 v3, vcc, v3, v7
	v_addc_co_u32_e32 v5, vcc, v5, v9, vcc
	v_mul_lo_u32 v7, s0, v5
	v_mul_hi_u32 v9, s0, v3
	v_add_u32_e32 v7, v9, v7
	v_mul_lo_u32 v9, s1, v3
	v_add_u32_e32 v7, v7, v9
	v_mul_lo_u32 v12, s0, v3
	v_mul_hi_u32 v13, v5, v12
	v_mul_lo_u32 v14, v5, v12
	v_mul_lo_u32 v16, v3, v7
	v_mul_hi_u32 v12, v3, v12
	v_mul_hi_u32 v15, v3, v7
	v_add_co_u32_e32 v12, vcc, v12, v16
	v_addc_co_u32_e32 v15, vcc, 0, v15, vcc
	v_add_co_u32_e32 v12, vcc, v12, v14
	v_mul_hi_u32 v9, v5, v7
	v_addc_co_u32_e32 v12, vcc, v15, v13, vcc
	v_addc_co_u32_e32 v9, vcc, 0, v9, vcc
	v_mul_lo_u32 v7, v5, v7
	v_add_co_u32_e32 v7, vcc, v12, v7
	v_addc_co_u32_e32 v9, vcc, 0, v9, vcc
	v_add_co_u32_e32 v3, vcc, v3, v7
	v_addc_co_u32_e32 v5, vcc, v5, v9, vcc
	v_ashrrev_i32_e32 v7, 31, v11
	v_add_co_u32_e32 v9, vcc, v10, v7
	v_xor_b32_e32 v9, v9, v7
	v_addc_co_u32_e32 v11, vcc, v11, v7, vcc
	v_mad_u64_u32 v[12:13], s[0:1], v9, v5, 0
	v_mul_hi_u32 v14, v9, v3
	v_xor_b32_e32 v11, v11, v7
	v_add_co_u32_e32 v16, vcc, v14, v12
	v_addc_co_u32_e32 v17, vcc, 0, v13, vcc
	v_mad_u64_u32 v[14:15], s[0:1], v11, v3, 0
	v_add_co_u32_e32 v3, vcc, v16, v14
	v_mad_u64_u32 v[12:13], s[0:1], v11, v5, 0
	v_addc_co_u32_e32 v3, vcc, v17, v15, vcc
	v_addc_co_u32_e32 v5, vcc, 0, v13, vcc
	v_add_co_u32_e32 v3, vcc, v3, v12
	v_addc_co_u32_e32 v5, vcc, 0, v5, vcc
	v_mul_lo_u32 v14, s37, v3
	v_mul_lo_u32 v15, s36, v5
	v_mad_u64_u32 v[12:13], s[0:1], s36, v3, 0
	v_add3_u32 v13, v13, v15, v14
	v_sub_u32_e32 v14, v11, v13
	v_mov_b32_e32 v15, s37
	v_sub_co_u32_e32 v9, vcc, v9, v12
	v_subb_co_u32_e64 v12, s[0:1], v14, v15, vcc
	v_subrev_co_u32_e64 v14, s[0:1], s36, v9
	v_subbrev_co_u32_e64 v12, s[0:1], 0, v12, s[0:1]
	v_cmp_le_u32_e64 s[0:1], s37, v12
	v_cndmask_b32_e64 v15, 0, -1, s[0:1]
	v_cmp_le_u32_e64 s[0:1], s36, v14
	v_cndmask_b32_e64 v14, 0, -1, s[0:1]
	v_cmp_eq_u32_e64 s[0:1], s37, v12
	v_cndmask_b32_e64 v12, v15, v14, s[0:1]
	v_add_co_u32_e64 v14, s[0:1], 2, v3
	v_subb_co_u32_e32 v11, vcc, v11, v13, vcc
	v_addc_co_u32_e64 v15, s[0:1], 0, v5, s[0:1]
	v_cmp_le_u32_e32 vcc, s37, v11
	v_add_co_u32_e64 v16, s[0:1], 1, v3
	v_cndmask_b32_e64 v13, 0, -1, vcc
	v_cmp_le_u32_e32 vcc, s36, v9
	v_addc_co_u32_e64 v17, s[0:1], 0, v5, s[0:1]
	v_cndmask_b32_e64 v9, 0, -1, vcc
	v_cmp_eq_u32_e32 vcc, s37, v11
	v_cmp_ne_u32_e64 s[0:1], 0, v12
	v_cndmask_b32_e32 v9, v13, v9, vcc
	v_cmp_ne_u32_e32 vcc, 0, v9
	v_cndmask_b32_e64 v9, v16, v14, s[0:1]
	v_cndmask_b32_e64 v12, v17, v15, s[0:1]
	v_cndmask_b32_e32 v3, v3, v9, vcc
	v_xor_b32_e32 v9, s35, v7
	v_xor_b32_e32 v7, s34, v7
	v_cndmask_b32_e32 v5, v5, v12, vcc
	v_xor_b32_e32 v3, v3, v7
	v_xor_b32_e32 v5, v5, v9
	v_sub_co_u32_e32 v12, vcc, v3, v7
	v_subb_co_u32_e32 v13, vcc, v5, v9, vcc
.LBB12_29:                              ;   in Loop: Header=BB12_23 Depth=2
	s_andn2_saveexec_b64 s[0:1], s[30:31]
	s_cbranch_execz .LBB12_31
; %bb.30:                               ;   in Loop: Header=BB12_23 Depth=2
	v_cvt_f32_u32_e32 v3, s51
	s_sub_i32 s16, 0, s51
	v_mov_b32_e32 v13, v2
	v_rcp_iflag_f32_e32 v3, v3
	v_mul_f32_e32 v3, 0x4f7ffffe, v3
	v_cvt_u32_f32_e32 v3, v3
	v_mul_lo_u32 v5, s16, v3
	v_mul_hi_u32 v5, v3, v5
	v_add_u32_e32 v3, v3, v5
	v_mul_hi_u32 v3, v10, v3
	v_mul_lo_u32 v5, v3, s51
	v_sub_u32_e32 v5, v10, v5
	v_add_u32_e32 v7, 1, v3
	v_subrev_u32_e32 v9, s51, v5
	v_cmp_le_u32_e32 vcc, s51, v5
	v_cndmask_b32_e32 v5, v5, v9, vcc
	v_cndmask_b32_e32 v3, v3, v7, vcc
	v_add_u32_e32 v7, 1, v3
	v_cmp_le_u32_e32 vcc, s51, v5
	v_cndmask_b32_e32 v12, v3, v7, vcc
.LBB12_31:                              ;   in Loop: Header=BB12_23 Depth=2
	s_or_b64 exec, exec, s[0:1]
	s_add_u32 s0, s43, s28
	s_addc_u32 s1, s44, s29
	s_add_i32 s16, s26, 5
	s_lshl_b64 s[28:29], s[16:17], 2
	s_add_u32 s30, s39, s28
	s_addc_u32 s31, s40, s29
	s_load_dword s53, s[30:31], 0x0
	s_load_dword s54, s[0:1], 0x0
                                        ; implicit-def: $vgpr14_vgpr15
	s_waitcnt lgkmcnt(0)
	s_ashr_i32 s0, s53, 31
	v_or_b32_e32 v3, s0, v13
	v_cmp_ne_u64_e32 vcc, 0, v[2:3]
	s_and_saveexec_b64 s[30:31], vcc
	s_xor_b64 s[30:31], exec, s[30:31]
	s_cbranch_execz .LBB12_33
; %bb.32:                               ;   in Loop: Header=BB12_23 Depth=2
	s_add_u32 s36, s53, s0
	s_mov_b32 s34, s0
	s_mov_b32 s35, s0
	s_addc_u32 s37, s0, s0
	s_xor_b64 s[36:37], s[36:37], s[34:35]
	v_cvt_f32_u32_e32 v3, s36
	v_cvt_f32_u32_e32 v5, s37
	s_sub_u32 s0, 0, s36
	s_subb_u32 s1, 0, s37
	v_mac_f32_e32 v3, 0x4f800000, v5
	v_rcp_f32_e32 v3, v3
	v_mul_f32_e32 v3, 0x5f7ffffc, v3
	v_mul_f32_e32 v5, 0x2f800000, v3
	v_trunc_f32_e32 v5, v5
	v_mac_f32_e32 v3, 0xcf800000, v5
	v_cvt_u32_f32_e32 v5, v5
	v_cvt_u32_f32_e32 v3, v3
	v_mul_lo_u32 v7, s0, v5
	v_mul_hi_u32 v11, s0, v3
	v_mul_lo_u32 v9, s1, v3
	v_add_u32_e32 v7, v11, v7
	v_mul_lo_u32 v14, s0, v3
	v_add_u32_e32 v7, v7, v9
	v_mul_lo_u32 v11, v3, v7
	v_mul_hi_u32 v15, v3, v14
	v_mul_hi_u32 v9, v3, v7
	v_add_co_u32_e32 v11, vcc, v15, v11
	v_addc_co_u32_e32 v9, vcc, 0, v9, vcc
	v_mul_hi_u32 v16, v5, v14
	v_mul_lo_u32 v14, v5, v14
	v_add_co_u32_e32 v11, vcc, v11, v14
	v_mul_hi_u32 v15, v5, v7
	v_addc_co_u32_e32 v9, vcc, v9, v16, vcc
	v_addc_co_u32_e32 v11, vcc, 0, v15, vcc
	v_mul_lo_u32 v7, v5, v7
	v_add_co_u32_e32 v7, vcc, v9, v7
	v_addc_co_u32_e32 v9, vcc, 0, v11, vcc
	v_add_co_u32_e32 v3, vcc, v3, v7
	v_addc_co_u32_e32 v5, vcc, v5, v9, vcc
	v_mul_lo_u32 v7, s0, v5
	v_mul_hi_u32 v9, s0, v3
	v_add_u32_e32 v7, v9, v7
	v_mul_lo_u32 v9, s1, v3
	v_add_u32_e32 v7, v7, v9
	v_mul_lo_u32 v11, s0, v3
	v_mul_hi_u32 v14, v5, v11
	v_mul_lo_u32 v15, v5, v11
	v_mul_lo_u32 v17, v3, v7
	v_mul_hi_u32 v11, v3, v11
	v_mul_hi_u32 v16, v3, v7
	v_add_co_u32_e32 v11, vcc, v11, v17
	v_addc_co_u32_e32 v16, vcc, 0, v16, vcc
	v_add_co_u32_e32 v11, vcc, v11, v15
	v_mul_hi_u32 v9, v5, v7
	v_addc_co_u32_e32 v11, vcc, v16, v14, vcc
	v_addc_co_u32_e32 v9, vcc, 0, v9, vcc
	v_mul_lo_u32 v7, v5, v7
	v_add_co_u32_e32 v7, vcc, v11, v7
	v_addc_co_u32_e32 v9, vcc, 0, v9, vcc
	v_add_co_u32_e32 v3, vcc, v3, v7
	v_addc_co_u32_e32 v5, vcc, v5, v9, vcc
	v_ashrrev_i32_e32 v7, 31, v13
	v_add_co_u32_e32 v9, vcc, v12, v7
	v_xor_b32_e32 v9, v9, v7
	v_addc_co_u32_e32 v11, vcc, v13, v7, vcc
	v_mad_u64_u32 v[14:15], s[0:1], v9, v5, 0
	v_mul_hi_u32 v13, v9, v3
	v_xor_b32_e32 v11, v11, v7
	v_add_co_u32_e32 v13, vcc, v13, v14
	v_addc_co_u32_e32 v18, vcc, 0, v15, vcc
	v_mad_u64_u32 v[16:17], s[0:1], v11, v3, 0
	v_add_co_u32_e32 v3, vcc, v13, v16
	v_mad_u64_u32 v[14:15], s[0:1], v11, v5, 0
	v_addc_co_u32_e32 v3, vcc, v18, v17, vcc
	v_addc_co_u32_e32 v5, vcc, 0, v15, vcc
	v_add_co_u32_e32 v3, vcc, v3, v14
	v_addc_co_u32_e32 v5, vcc, 0, v5, vcc
	v_mul_lo_u32 v13, s37, v3
	v_mul_lo_u32 v16, s36, v5
	v_mad_u64_u32 v[14:15], s[0:1], s36, v3, 0
	v_add3_u32 v13, v15, v16, v13
	v_sub_u32_e32 v15, v11, v13
	v_mov_b32_e32 v16, s37
	v_sub_co_u32_e32 v9, vcc, v9, v14
	v_subb_co_u32_e64 v14, s[0:1], v15, v16, vcc
	v_subrev_co_u32_e64 v15, s[0:1], s36, v9
	v_subbrev_co_u32_e64 v14, s[0:1], 0, v14, s[0:1]
	v_cmp_le_u32_e64 s[0:1], s37, v14
	v_cndmask_b32_e64 v16, 0, -1, s[0:1]
	v_cmp_le_u32_e64 s[0:1], s36, v15
	v_cndmask_b32_e64 v15, 0, -1, s[0:1]
	v_cmp_eq_u32_e64 s[0:1], s37, v14
	v_cndmask_b32_e64 v14, v16, v15, s[0:1]
	v_add_co_u32_e64 v15, s[0:1], 2, v3
	v_subb_co_u32_e32 v11, vcc, v11, v13, vcc
	v_addc_co_u32_e64 v16, s[0:1], 0, v5, s[0:1]
	v_cmp_le_u32_e32 vcc, s37, v11
	v_add_co_u32_e64 v17, s[0:1], 1, v3
	v_cndmask_b32_e64 v13, 0, -1, vcc
	v_cmp_le_u32_e32 vcc, s36, v9
	v_addc_co_u32_e64 v18, s[0:1], 0, v5, s[0:1]
	v_cndmask_b32_e64 v9, 0, -1, vcc
	v_cmp_eq_u32_e32 vcc, s37, v11
	v_cmp_ne_u32_e64 s[0:1], 0, v14
	v_cndmask_b32_e32 v9, v13, v9, vcc
	v_cmp_ne_u32_e32 vcc, 0, v9
	v_cndmask_b32_e64 v9, v17, v15, s[0:1]
	v_cndmask_b32_e64 v14, v18, v16, s[0:1]
	v_cndmask_b32_e32 v3, v3, v9, vcc
	v_xor_b32_e32 v9, s35, v7
	v_xor_b32_e32 v7, s34, v7
	v_cndmask_b32_e32 v5, v5, v14, vcc
	v_xor_b32_e32 v3, v3, v7
	v_xor_b32_e32 v5, v5, v9
	v_sub_co_u32_e32 v14, vcc, v3, v7
	v_subb_co_u32_e32 v15, vcc, v5, v9, vcc
.LBB12_33:                              ;   in Loop: Header=BB12_23 Depth=2
	s_andn2_saveexec_b64 s[0:1], s[30:31]
	s_cbranch_execz .LBB12_35
; %bb.34:                               ;   in Loop: Header=BB12_23 Depth=2
	v_cvt_f32_u32_e32 v3, s53
	s_sub_i32 s16, 0, s53
	v_mov_b32_e32 v15, v2
	v_rcp_iflag_f32_e32 v3, v3
	v_mul_f32_e32 v3, 0x4f7ffffe, v3
	v_cvt_u32_f32_e32 v3, v3
	v_mul_lo_u32 v5, s16, v3
	v_mul_hi_u32 v5, v3, v5
	v_add_u32_e32 v3, v3, v5
	v_mul_hi_u32 v3, v12, v3
	v_mul_lo_u32 v5, v3, s53
	v_sub_u32_e32 v5, v12, v5
	v_add_u32_e32 v7, 1, v3
	v_subrev_u32_e32 v9, s53, v5
	v_cmp_le_u32_e32 vcc, s53, v5
	v_cndmask_b32_e32 v5, v5, v9, vcc
	v_cndmask_b32_e32 v3, v3, v7, vcc
	v_add_u32_e32 v7, 1, v3
	v_cmp_le_u32_e32 vcc, s53, v5
	v_cndmask_b32_e32 v14, v3, v7, vcc
.LBB12_35:                              ;   in Loop: Header=BB12_23 Depth=2
	s_or_b64 exec, exec, s[0:1]
	s_add_u32 s0, s43, s28
	s_addc_u32 s1, s44, s29
	s_add_i32 s16, s26, 4
	s_lshl_b64 s[28:29], s[16:17], 2
	s_add_u32 s30, s39, s28
	s_addc_u32 s31, s40, s29
	s_load_dword s55, s[30:31], 0x0
	s_load_dword s56, s[0:1], 0x0
                                        ; implicit-def: $vgpr16_vgpr17
	s_waitcnt lgkmcnt(0)
	s_ashr_i32 s0, s55, 31
	v_or_b32_e32 v3, s0, v15
	v_cmp_ne_u64_e32 vcc, 0, v[2:3]
	s_and_saveexec_b64 s[30:31], vcc
	s_xor_b64 s[30:31], exec, s[30:31]
	s_cbranch_execz .LBB12_37
; %bb.36:                               ;   in Loop: Header=BB12_23 Depth=2
	s_add_u32 s36, s55, s0
	s_mov_b32 s34, s0
	s_mov_b32 s35, s0
	s_addc_u32 s37, s0, s0
	s_xor_b64 s[36:37], s[36:37], s[34:35]
	v_cvt_f32_u32_e32 v3, s36
	v_cvt_f32_u32_e32 v5, s37
	s_sub_u32 s0, 0, s36
	s_subb_u32 s1, 0, s37
	v_mac_f32_e32 v3, 0x4f800000, v5
	v_rcp_f32_e32 v3, v3
	v_mul_f32_e32 v3, 0x5f7ffffc, v3
	v_mul_f32_e32 v5, 0x2f800000, v3
	v_trunc_f32_e32 v5, v5
	v_mac_f32_e32 v3, 0xcf800000, v5
	v_cvt_u32_f32_e32 v5, v5
	v_cvt_u32_f32_e32 v3, v3
	v_mul_lo_u32 v7, s0, v5
	v_mul_hi_u32 v11, s0, v3
	v_mul_lo_u32 v9, s1, v3
	v_add_u32_e32 v7, v11, v7
	v_mul_lo_u32 v13, s0, v3
	v_add_u32_e32 v7, v7, v9
	v_mul_lo_u32 v11, v3, v7
	v_mul_hi_u32 v16, v3, v13
	v_mul_hi_u32 v9, v3, v7
	v_add_co_u32_e32 v11, vcc, v16, v11
	v_addc_co_u32_e32 v9, vcc, 0, v9, vcc
	v_mul_hi_u32 v17, v5, v13
	v_mul_lo_u32 v13, v5, v13
	v_add_co_u32_e32 v11, vcc, v11, v13
	v_mul_hi_u32 v16, v5, v7
	v_addc_co_u32_e32 v9, vcc, v9, v17, vcc
	v_addc_co_u32_e32 v11, vcc, 0, v16, vcc
	v_mul_lo_u32 v7, v5, v7
	v_add_co_u32_e32 v7, vcc, v9, v7
	v_addc_co_u32_e32 v9, vcc, 0, v11, vcc
	v_add_co_u32_e32 v3, vcc, v3, v7
	v_addc_co_u32_e32 v5, vcc, v5, v9, vcc
	v_mul_lo_u32 v7, s0, v5
	v_mul_hi_u32 v9, s0, v3
	v_add_u32_e32 v7, v9, v7
	v_mul_lo_u32 v9, s1, v3
	v_add_u32_e32 v7, v7, v9
	v_mul_lo_u32 v11, s0, v3
	v_mul_hi_u32 v13, v5, v11
	v_mul_lo_u32 v16, v5, v11
	v_mul_lo_u32 v18, v3, v7
	v_mul_hi_u32 v11, v3, v11
	v_mul_hi_u32 v17, v3, v7
	v_add_co_u32_e32 v11, vcc, v11, v18
	v_addc_co_u32_e32 v17, vcc, 0, v17, vcc
	v_add_co_u32_e32 v11, vcc, v11, v16
	v_mul_hi_u32 v9, v5, v7
	v_addc_co_u32_e32 v11, vcc, v17, v13, vcc
	v_addc_co_u32_e32 v9, vcc, 0, v9, vcc
	v_mul_lo_u32 v7, v5, v7
	v_add_co_u32_e32 v7, vcc, v11, v7
	v_addc_co_u32_e32 v9, vcc, 0, v9, vcc
	v_add_co_u32_e32 v3, vcc, v3, v7
	v_addc_co_u32_e32 v5, vcc, v5, v9, vcc
	v_ashrrev_i32_e32 v7, 31, v15
	v_add_co_u32_e32 v9, vcc, v14, v7
	v_xor_b32_e32 v9, v9, v7
	v_addc_co_u32_e32 v11, vcc, v15, v7, vcc
	v_mad_u64_u32 v[16:17], s[0:1], v9, v5, 0
	v_mul_hi_u32 v13, v9, v3
	v_xor_b32_e32 v11, v11, v7
	v_add_co_u32_e32 v13, vcc, v13, v16
	v_addc_co_u32_e32 v15, vcc, 0, v17, vcc
	v_mad_u64_u32 v[18:19], s[0:1], v11, v3, 0
	v_add_co_u32_e32 v3, vcc, v13, v18
	v_mad_u64_u32 v[16:17], s[0:1], v11, v5, 0
	v_addc_co_u32_e32 v3, vcc, v15, v19, vcc
	v_addc_co_u32_e32 v5, vcc, 0, v17, vcc
	v_add_co_u32_e32 v3, vcc, v3, v16
	v_addc_co_u32_e32 v5, vcc, 0, v5, vcc
	v_mul_lo_u32 v13, s37, v3
	v_mul_lo_u32 v15, s36, v5
	v_mad_u64_u32 v[16:17], s[0:1], s36, v3, 0
	v_add3_u32 v13, v17, v15, v13
	v_sub_u32_e32 v15, v11, v13
	v_mov_b32_e32 v17, s37
	v_sub_co_u32_e32 v9, vcc, v9, v16
	v_subb_co_u32_e64 v15, s[0:1], v15, v17, vcc
	v_subrev_co_u32_e64 v16, s[0:1], s36, v9
	v_subbrev_co_u32_e64 v15, s[0:1], 0, v15, s[0:1]
	v_cmp_le_u32_e64 s[0:1], s37, v15
	v_cndmask_b32_e64 v17, 0, -1, s[0:1]
	v_cmp_le_u32_e64 s[0:1], s36, v16
	v_cndmask_b32_e64 v16, 0, -1, s[0:1]
	v_cmp_eq_u32_e64 s[0:1], s37, v15
	v_cndmask_b32_e64 v15, v17, v16, s[0:1]
	v_add_co_u32_e64 v16, s[0:1], 2, v3
	v_subb_co_u32_e32 v11, vcc, v11, v13, vcc
	v_addc_co_u32_e64 v17, s[0:1], 0, v5, s[0:1]
	v_cmp_le_u32_e32 vcc, s37, v11
	v_add_co_u32_e64 v18, s[0:1], 1, v3
	v_cndmask_b32_e64 v13, 0, -1, vcc
	v_cmp_le_u32_e32 vcc, s36, v9
	v_addc_co_u32_e64 v19, s[0:1], 0, v5, s[0:1]
	v_cndmask_b32_e64 v9, 0, -1, vcc
	v_cmp_eq_u32_e32 vcc, s37, v11
	v_cmp_ne_u32_e64 s[0:1], 0, v15
	v_cndmask_b32_e32 v9, v13, v9, vcc
	v_cmp_ne_u32_e32 vcc, 0, v9
	v_cndmask_b32_e64 v9, v18, v16, s[0:1]
	v_cndmask_b32_e64 v15, v19, v17, s[0:1]
	v_cndmask_b32_e32 v3, v3, v9, vcc
	v_xor_b32_e32 v9, s35, v7
	v_xor_b32_e32 v7, s34, v7
	v_cndmask_b32_e32 v5, v5, v15, vcc
	v_xor_b32_e32 v3, v3, v7
	v_xor_b32_e32 v5, v5, v9
	v_sub_co_u32_e32 v16, vcc, v3, v7
	v_subb_co_u32_e32 v17, vcc, v5, v9, vcc
.LBB12_37:                              ;   in Loop: Header=BB12_23 Depth=2
	s_andn2_saveexec_b64 s[0:1], s[30:31]
	s_cbranch_execz .LBB12_39
; %bb.38:                               ;   in Loop: Header=BB12_23 Depth=2
	v_cvt_f32_u32_e32 v3, s55
	s_sub_i32 s16, 0, s55
	v_mov_b32_e32 v17, v2
	v_rcp_iflag_f32_e32 v3, v3
	v_mul_f32_e32 v3, 0x4f7ffffe, v3
	v_cvt_u32_f32_e32 v3, v3
	v_mul_lo_u32 v5, s16, v3
	v_mul_hi_u32 v5, v3, v5
	v_add_u32_e32 v3, v3, v5
	v_mul_hi_u32 v3, v14, v3
	v_mul_lo_u32 v5, v3, s55
	v_sub_u32_e32 v5, v14, v5
	v_add_u32_e32 v7, 1, v3
	v_subrev_u32_e32 v9, s55, v5
	v_cmp_le_u32_e32 vcc, s55, v5
	v_cndmask_b32_e32 v5, v5, v9, vcc
	v_cndmask_b32_e32 v3, v3, v7, vcc
	v_add_u32_e32 v7, 1, v3
	v_cmp_le_u32_e32 vcc, s55, v5
	v_cndmask_b32_e32 v16, v3, v7, vcc
.LBB12_39:                              ;   in Loop: Header=BB12_23 Depth=2
	s_or_b64 exec, exec, s[0:1]
	s_add_u32 s0, s43, s28
	s_addc_u32 s1, s44, s29
	s_add_i32 s16, s26, 3
	s_lshl_b64 s[28:29], s[16:17], 2
	s_add_u32 s30, s39, s28
	s_addc_u32 s31, s40, s29
	s_load_dword s57, s[30:31], 0x0
	s_load_dword s58, s[0:1], 0x0
                                        ; implicit-def: $vgpr18_vgpr19
	s_waitcnt lgkmcnt(0)
	s_ashr_i32 s0, s57, 31
	v_or_b32_e32 v3, s0, v17
	v_cmp_ne_u64_e32 vcc, 0, v[2:3]
	s_and_saveexec_b64 s[30:31], vcc
	s_xor_b64 s[30:31], exec, s[30:31]
	s_cbranch_execz .LBB12_41
; %bb.40:                               ;   in Loop: Header=BB12_23 Depth=2
	s_add_u32 s36, s57, s0
	s_mov_b32 s34, s0
	s_mov_b32 s35, s0
	s_addc_u32 s37, s0, s0
	s_xor_b64 s[36:37], s[36:37], s[34:35]
	v_cvt_f32_u32_e32 v3, s36
	v_cvt_f32_u32_e32 v5, s37
	s_sub_u32 s0, 0, s36
	s_subb_u32 s1, 0, s37
	v_mac_f32_e32 v3, 0x4f800000, v5
	v_rcp_f32_e32 v3, v3
	v_mul_f32_e32 v3, 0x5f7ffffc, v3
	v_mul_f32_e32 v5, 0x2f800000, v3
	v_trunc_f32_e32 v5, v5
	v_mac_f32_e32 v3, 0xcf800000, v5
	v_cvt_u32_f32_e32 v5, v5
	v_cvt_u32_f32_e32 v3, v3
	v_mul_lo_u32 v7, s0, v5
	v_mul_hi_u32 v11, s0, v3
	v_mul_lo_u32 v9, s1, v3
	v_add_u32_e32 v7, v11, v7
	v_mul_lo_u32 v13, s0, v3
	v_add_u32_e32 v7, v7, v9
	v_mul_lo_u32 v11, v3, v7
	v_mul_hi_u32 v15, v3, v13
	v_mul_hi_u32 v9, v3, v7
	v_add_co_u32_e32 v11, vcc, v15, v11
	v_addc_co_u32_e32 v9, vcc, 0, v9, vcc
	v_mul_hi_u32 v18, v5, v13
	v_mul_lo_u32 v13, v5, v13
	v_add_co_u32_e32 v11, vcc, v11, v13
	v_mul_hi_u32 v15, v5, v7
	v_addc_co_u32_e32 v9, vcc, v9, v18, vcc
	v_addc_co_u32_e32 v11, vcc, 0, v15, vcc
	v_mul_lo_u32 v7, v5, v7
	v_add_co_u32_e32 v7, vcc, v9, v7
	v_addc_co_u32_e32 v9, vcc, 0, v11, vcc
	v_add_co_u32_e32 v3, vcc, v3, v7
	v_addc_co_u32_e32 v5, vcc, v5, v9, vcc
	v_mul_lo_u32 v7, s0, v5
	v_mul_hi_u32 v9, s0, v3
	v_add_u32_e32 v7, v9, v7
	v_mul_lo_u32 v9, s1, v3
	v_add_u32_e32 v7, v7, v9
	v_mul_lo_u32 v11, s0, v3
	v_mul_hi_u32 v13, v5, v11
	v_mul_lo_u32 v15, v5, v11
	v_mul_lo_u32 v19, v3, v7
	v_mul_hi_u32 v11, v3, v11
	v_mul_hi_u32 v18, v3, v7
	v_add_co_u32_e32 v11, vcc, v11, v19
	v_addc_co_u32_e32 v18, vcc, 0, v18, vcc
	v_add_co_u32_e32 v11, vcc, v11, v15
	v_mul_hi_u32 v9, v5, v7
	v_addc_co_u32_e32 v11, vcc, v18, v13, vcc
	v_addc_co_u32_e32 v9, vcc, 0, v9, vcc
	v_mul_lo_u32 v7, v5, v7
	v_add_co_u32_e32 v7, vcc, v11, v7
	v_addc_co_u32_e32 v9, vcc, 0, v9, vcc
	v_add_co_u32_e32 v3, vcc, v3, v7
	v_addc_co_u32_e32 v5, vcc, v5, v9, vcc
	v_ashrrev_i32_e32 v7, 31, v17
	v_add_co_u32_e32 v9, vcc, v16, v7
	v_xor_b32_e32 v9, v9, v7
	v_addc_co_u32_e32 v11, vcc, v17, v7, vcc
	v_mad_u64_u32 v[18:19], s[0:1], v9, v5, 0
	v_mul_hi_u32 v13, v9, v3
	v_xor_b32_e32 v11, v11, v7
	v_add_co_u32_e32 v13, vcc, v13, v18
	v_addc_co_u32_e32 v15, vcc, 0, v19, vcc
	v_mad_u64_u32 v[20:21], s[0:1], v11, v3, 0
	v_add_co_u32_e32 v3, vcc, v13, v20
	v_mad_u64_u32 v[18:19], s[0:1], v11, v5, 0
	v_addc_co_u32_e32 v3, vcc, v15, v21, vcc
	v_addc_co_u32_e32 v5, vcc, 0, v19, vcc
	v_add_co_u32_e32 v3, vcc, v3, v18
	v_addc_co_u32_e32 v5, vcc, 0, v5, vcc
	v_mul_lo_u32 v13, s37, v3
	v_mul_lo_u32 v15, s36, v5
	v_mad_u64_u32 v[18:19], s[0:1], s36, v3, 0
	v_add3_u32 v13, v19, v15, v13
	v_sub_u32_e32 v15, v11, v13
	v_mov_b32_e32 v17, s37
	v_sub_co_u32_e32 v9, vcc, v9, v18
	v_subb_co_u32_e64 v15, s[0:1], v15, v17, vcc
	v_subrev_co_u32_e64 v17, s[0:1], s36, v9
	v_subbrev_co_u32_e64 v15, s[0:1], 0, v15, s[0:1]
	v_cmp_le_u32_e64 s[0:1], s37, v15
	v_cndmask_b32_e64 v18, 0, -1, s[0:1]
	v_cmp_le_u32_e64 s[0:1], s36, v17
	v_cndmask_b32_e64 v17, 0, -1, s[0:1]
	v_cmp_eq_u32_e64 s[0:1], s37, v15
	v_cndmask_b32_e64 v15, v18, v17, s[0:1]
	v_add_co_u32_e64 v17, s[0:1], 2, v3
	v_subb_co_u32_e32 v11, vcc, v11, v13, vcc
	v_addc_co_u32_e64 v18, s[0:1], 0, v5, s[0:1]
	v_cmp_le_u32_e32 vcc, s37, v11
	v_add_co_u32_e64 v19, s[0:1], 1, v3
	v_cndmask_b32_e64 v13, 0, -1, vcc
	v_cmp_le_u32_e32 vcc, s36, v9
	v_addc_co_u32_e64 v20, s[0:1], 0, v5, s[0:1]
	v_cndmask_b32_e64 v9, 0, -1, vcc
	v_cmp_eq_u32_e32 vcc, s37, v11
	v_cmp_ne_u32_e64 s[0:1], 0, v15
	v_cndmask_b32_e32 v9, v13, v9, vcc
	v_cmp_ne_u32_e32 vcc, 0, v9
	v_cndmask_b32_e64 v9, v19, v17, s[0:1]
	v_cndmask_b32_e64 v15, v20, v18, s[0:1]
	v_cndmask_b32_e32 v3, v3, v9, vcc
	v_xor_b32_e32 v9, s35, v7
	v_xor_b32_e32 v7, s34, v7
	v_cndmask_b32_e32 v5, v5, v15, vcc
	v_xor_b32_e32 v3, v3, v7
	v_xor_b32_e32 v5, v5, v9
	v_sub_co_u32_e32 v18, vcc, v3, v7
	v_subb_co_u32_e32 v19, vcc, v5, v9, vcc
.LBB12_41:                              ;   in Loop: Header=BB12_23 Depth=2
	s_andn2_saveexec_b64 s[0:1], s[30:31]
	s_cbranch_execz .LBB12_43
; %bb.42:                               ;   in Loop: Header=BB12_23 Depth=2
	v_cvt_f32_u32_e32 v3, s57
	s_sub_i32 s16, 0, s57
	v_mov_b32_e32 v19, v2
	v_rcp_iflag_f32_e32 v3, v3
	v_mul_f32_e32 v3, 0x4f7ffffe, v3
	v_cvt_u32_f32_e32 v3, v3
	v_mul_lo_u32 v5, s16, v3
	v_mul_hi_u32 v5, v3, v5
	v_add_u32_e32 v3, v3, v5
	v_mul_hi_u32 v3, v16, v3
	v_mul_lo_u32 v5, v3, s57
	v_sub_u32_e32 v5, v16, v5
	v_add_u32_e32 v7, 1, v3
	v_subrev_u32_e32 v9, s57, v5
	v_cmp_le_u32_e32 vcc, s57, v5
	v_cndmask_b32_e32 v5, v5, v9, vcc
	v_cndmask_b32_e32 v3, v3, v7, vcc
	v_add_u32_e32 v7, 1, v3
	v_cmp_le_u32_e32 vcc, s57, v5
	v_cndmask_b32_e32 v18, v3, v7, vcc
.LBB12_43:                              ;   in Loop: Header=BB12_23 Depth=2
	s_or_b64 exec, exec, s[0:1]
	s_add_u32 s0, s43, s28
	s_addc_u32 s1, s44, s29
	s_add_i32 s16, s26, 2
	s_lshl_b64 s[28:29], s[16:17], 2
	s_add_u32 s30, s39, s28
	s_addc_u32 s31, s40, s29
	s_load_dword s59, s[30:31], 0x0
	s_load_dword s60, s[0:1], 0x0
                                        ; implicit-def: $vgpr20_vgpr21
	s_waitcnt lgkmcnt(0)
	s_ashr_i32 s0, s59, 31
	v_or_b32_e32 v3, s0, v19
	v_cmp_ne_u64_e32 vcc, 0, v[2:3]
	s_and_saveexec_b64 s[30:31], vcc
	s_xor_b64 s[30:31], exec, s[30:31]
	s_cbranch_execz .LBB12_45
; %bb.44:                               ;   in Loop: Header=BB12_23 Depth=2
	s_add_u32 s36, s59, s0
	s_mov_b32 s34, s0
	s_mov_b32 s35, s0
	s_addc_u32 s37, s0, s0
	s_xor_b64 s[36:37], s[36:37], s[34:35]
	v_cvt_f32_u32_e32 v3, s36
	v_cvt_f32_u32_e32 v5, s37
	s_sub_u32 s0, 0, s36
	s_subb_u32 s1, 0, s37
	v_mac_f32_e32 v3, 0x4f800000, v5
	v_rcp_f32_e32 v3, v3
	v_mul_f32_e32 v3, 0x5f7ffffc, v3
	v_mul_f32_e32 v5, 0x2f800000, v3
	v_trunc_f32_e32 v5, v5
	v_mac_f32_e32 v3, 0xcf800000, v5
	v_cvt_u32_f32_e32 v5, v5
	v_cvt_u32_f32_e32 v3, v3
	v_mul_lo_u32 v7, s0, v5
	v_mul_hi_u32 v11, s0, v3
	v_mul_lo_u32 v9, s1, v3
	v_add_u32_e32 v7, v11, v7
	v_mul_lo_u32 v13, s0, v3
	v_add_u32_e32 v7, v7, v9
	v_mul_lo_u32 v11, v3, v7
	v_mul_hi_u32 v15, v3, v13
	v_mul_hi_u32 v9, v3, v7
	v_add_co_u32_e32 v11, vcc, v15, v11
	v_addc_co_u32_e32 v9, vcc, 0, v9, vcc
	v_mul_hi_u32 v17, v5, v13
	v_mul_lo_u32 v13, v5, v13
	v_add_co_u32_e32 v11, vcc, v11, v13
	v_mul_hi_u32 v15, v5, v7
	v_addc_co_u32_e32 v9, vcc, v9, v17, vcc
	v_addc_co_u32_e32 v11, vcc, 0, v15, vcc
	v_mul_lo_u32 v7, v5, v7
	v_add_co_u32_e32 v7, vcc, v9, v7
	v_addc_co_u32_e32 v9, vcc, 0, v11, vcc
	v_add_co_u32_e32 v3, vcc, v3, v7
	v_addc_co_u32_e32 v5, vcc, v5, v9, vcc
	v_mul_lo_u32 v7, s0, v5
	v_mul_hi_u32 v9, s0, v3
	v_add_u32_e32 v7, v9, v7
	v_mul_lo_u32 v9, s1, v3
	v_add_u32_e32 v7, v7, v9
	v_mul_lo_u32 v11, s0, v3
	v_mul_hi_u32 v13, v5, v11
	v_mul_lo_u32 v15, v5, v11
	v_mul_lo_u32 v20, v3, v7
	v_mul_hi_u32 v11, v3, v11
	v_mul_hi_u32 v17, v3, v7
	v_add_co_u32_e32 v11, vcc, v11, v20
	v_addc_co_u32_e32 v17, vcc, 0, v17, vcc
	v_add_co_u32_e32 v11, vcc, v11, v15
	v_mul_hi_u32 v9, v5, v7
	v_addc_co_u32_e32 v11, vcc, v17, v13, vcc
	v_addc_co_u32_e32 v9, vcc, 0, v9, vcc
	v_mul_lo_u32 v7, v5, v7
	v_add_co_u32_e32 v7, vcc, v11, v7
	v_addc_co_u32_e32 v9, vcc, 0, v9, vcc
	v_add_co_u32_e32 v3, vcc, v3, v7
	v_addc_co_u32_e32 v5, vcc, v5, v9, vcc
	v_ashrrev_i32_e32 v7, 31, v19
	v_add_co_u32_e32 v9, vcc, v18, v7
	v_xor_b32_e32 v9, v9, v7
	v_addc_co_u32_e32 v11, vcc, v19, v7, vcc
	v_mad_u64_u32 v[20:21], s[0:1], v9, v5, 0
	v_mul_hi_u32 v13, v9, v3
	v_xor_b32_e32 v11, v11, v7
	v_add_co_u32_e32 v13, vcc, v13, v20
	v_addc_co_u32_e32 v15, vcc, 0, v21, vcc
	v_mad_u64_u32 v[22:23], s[0:1], v11, v3, 0
	v_add_co_u32_e32 v3, vcc, v13, v22
	v_mad_u64_u32 v[20:21], s[0:1], v11, v5, 0
	v_addc_co_u32_e32 v3, vcc, v15, v23, vcc
	v_addc_co_u32_e32 v5, vcc, 0, v21, vcc
	v_add_co_u32_e32 v3, vcc, v3, v20
	v_addc_co_u32_e32 v5, vcc, 0, v5, vcc
	v_mul_lo_u32 v13, s37, v3
	v_mul_lo_u32 v15, s36, v5
	v_mad_u64_u32 v[20:21], s[0:1], s36, v3, 0
	v_add3_u32 v13, v21, v15, v13
	v_sub_u32_e32 v15, v11, v13
	v_mov_b32_e32 v17, s37
	v_sub_co_u32_e32 v9, vcc, v9, v20
	v_subb_co_u32_e64 v15, s[0:1], v15, v17, vcc
	v_subrev_co_u32_e64 v17, s[0:1], s36, v9
	v_subbrev_co_u32_e64 v15, s[0:1], 0, v15, s[0:1]
	v_cmp_le_u32_e64 s[0:1], s37, v15
	v_cndmask_b32_e64 v19, 0, -1, s[0:1]
	v_cmp_le_u32_e64 s[0:1], s36, v17
	v_cndmask_b32_e64 v17, 0, -1, s[0:1]
	v_cmp_eq_u32_e64 s[0:1], s37, v15
	v_cndmask_b32_e64 v15, v19, v17, s[0:1]
	v_add_co_u32_e64 v17, s[0:1], 2, v3
	v_subb_co_u32_e32 v11, vcc, v11, v13, vcc
	v_addc_co_u32_e64 v19, s[0:1], 0, v5, s[0:1]
	v_cmp_le_u32_e32 vcc, s37, v11
	v_add_co_u32_e64 v20, s[0:1], 1, v3
	v_cndmask_b32_e64 v13, 0, -1, vcc
	v_cmp_le_u32_e32 vcc, s36, v9
	v_addc_co_u32_e64 v21, s[0:1], 0, v5, s[0:1]
	v_cndmask_b32_e64 v9, 0, -1, vcc
	v_cmp_eq_u32_e32 vcc, s37, v11
	v_cmp_ne_u32_e64 s[0:1], 0, v15
	v_cndmask_b32_e32 v9, v13, v9, vcc
	v_cmp_ne_u32_e32 vcc, 0, v9
	v_cndmask_b32_e64 v9, v20, v17, s[0:1]
	v_cndmask_b32_e64 v15, v21, v19, s[0:1]
	v_cndmask_b32_e32 v3, v3, v9, vcc
	v_xor_b32_e32 v9, s35, v7
	v_xor_b32_e32 v7, s34, v7
	v_cndmask_b32_e32 v5, v5, v15, vcc
	v_xor_b32_e32 v3, v3, v7
	v_xor_b32_e32 v5, v5, v9
	v_sub_co_u32_e32 v20, vcc, v3, v7
	v_subb_co_u32_e32 v21, vcc, v5, v9, vcc
.LBB12_45:                              ;   in Loop: Header=BB12_23 Depth=2
	s_andn2_saveexec_b64 s[0:1], s[30:31]
	s_cbranch_execz .LBB12_47
; %bb.46:                               ;   in Loop: Header=BB12_23 Depth=2
	v_cvt_f32_u32_e32 v3, s59
	s_sub_i32 s16, 0, s59
	v_mov_b32_e32 v21, v2
	v_rcp_iflag_f32_e32 v3, v3
	v_mul_f32_e32 v3, 0x4f7ffffe, v3
	v_cvt_u32_f32_e32 v3, v3
	v_mul_lo_u32 v5, s16, v3
	v_mul_hi_u32 v5, v3, v5
	v_add_u32_e32 v3, v3, v5
	v_mul_hi_u32 v3, v18, v3
	v_mul_lo_u32 v5, v3, s59
	v_sub_u32_e32 v5, v18, v5
	v_add_u32_e32 v7, 1, v3
	v_subrev_u32_e32 v9, s59, v5
	v_cmp_le_u32_e32 vcc, s59, v5
	v_cndmask_b32_e32 v5, v5, v9, vcc
	v_cndmask_b32_e32 v3, v3, v7, vcc
	v_add_u32_e32 v7, 1, v3
	v_cmp_le_u32_e32 vcc, s59, v5
	v_cndmask_b32_e32 v20, v3, v7, vcc
.LBB12_47:                              ;   in Loop: Header=BB12_23 Depth=2
	s_or_b64 exec, exec, s[0:1]
	s_add_u32 s0, s43, s28
	s_addc_u32 s1, s44, s29
	s_add_i32 s16, s26, 1
	s_lshl_b64 s[28:29], s[16:17], 2
	s_add_u32 s30, s39, s28
	s_addc_u32 s31, s40, s29
	s_load_dword s16, s[30:31], 0x0
	s_load_dword s61, s[0:1], 0x0
                                        ; implicit-def: $vgpr22_vgpr23
	s_waitcnt lgkmcnt(0)
	s_ashr_i32 s0, s16, 31
	v_or_b32_e32 v3, s0, v21
	v_cmp_ne_u64_e32 vcc, 0, v[2:3]
	s_and_saveexec_b64 s[30:31], vcc
	s_xor_b64 s[30:31], exec, s[30:31]
	s_cbranch_execz .LBB12_49
; %bb.48:                               ;   in Loop: Header=BB12_23 Depth=2
	s_add_u32 s36, s16, s0
	s_mov_b32 s34, s0
	s_mov_b32 s35, s0
	s_addc_u32 s37, s0, s0
	s_xor_b64 s[36:37], s[36:37], s[34:35]
	v_cvt_f32_u32_e32 v3, s36
	v_cvt_f32_u32_e32 v5, s37
	s_sub_u32 s0, 0, s36
	s_subb_u32 s1, 0, s37
	v_mac_f32_e32 v3, 0x4f800000, v5
	v_rcp_f32_e32 v3, v3
	v_mul_f32_e32 v3, 0x5f7ffffc, v3
	v_mul_f32_e32 v5, 0x2f800000, v3
	v_trunc_f32_e32 v5, v5
	v_mac_f32_e32 v3, 0xcf800000, v5
	v_cvt_u32_f32_e32 v5, v5
	v_cvt_u32_f32_e32 v3, v3
	v_mul_lo_u32 v7, s0, v5
	v_mul_hi_u32 v11, s0, v3
	v_mul_lo_u32 v9, s1, v3
	v_add_u32_e32 v7, v11, v7
	v_mul_lo_u32 v13, s0, v3
	v_add_u32_e32 v7, v7, v9
	v_mul_lo_u32 v11, v3, v7
	v_mul_hi_u32 v15, v3, v13
	v_mul_hi_u32 v9, v3, v7
	v_add_co_u32_e32 v11, vcc, v15, v11
	v_addc_co_u32_e32 v9, vcc, 0, v9, vcc
	v_mul_hi_u32 v17, v5, v13
	v_mul_lo_u32 v13, v5, v13
	v_add_co_u32_e32 v11, vcc, v11, v13
	v_mul_hi_u32 v15, v5, v7
	v_addc_co_u32_e32 v9, vcc, v9, v17, vcc
	v_addc_co_u32_e32 v11, vcc, 0, v15, vcc
	v_mul_lo_u32 v7, v5, v7
	v_add_co_u32_e32 v7, vcc, v9, v7
	v_addc_co_u32_e32 v9, vcc, 0, v11, vcc
	v_add_co_u32_e32 v3, vcc, v3, v7
	v_addc_co_u32_e32 v5, vcc, v5, v9, vcc
	v_mul_lo_u32 v7, s0, v5
	v_mul_hi_u32 v9, s0, v3
	v_add_u32_e32 v7, v9, v7
	v_mul_lo_u32 v9, s1, v3
	v_add_u32_e32 v7, v7, v9
	v_mul_lo_u32 v11, s0, v3
	v_mul_hi_u32 v13, v5, v11
	v_mul_lo_u32 v15, v5, v11
	v_mul_lo_u32 v19, v3, v7
	v_mul_hi_u32 v11, v3, v11
	v_mul_hi_u32 v17, v3, v7
	v_add_co_u32_e32 v11, vcc, v11, v19
	v_addc_co_u32_e32 v17, vcc, 0, v17, vcc
	v_add_co_u32_e32 v11, vcc, v11, v15
	v_mul_hi_u32 v9, v5, v7
	v_addc_co_u32_e32 v11, vcc, v17, v13, vcc
	v_addc_co_u32_e32 v9, vcc, 0, v9, vcc
	v_mul_lo_u32 v7, v5, v7
	v_add_co_u32_e32 v7, vcc, v11, v7
	v_addc_co_u32_e32 v9, vcc, 0, v9, vcc
	v_add_co_u32_e32 v3, vcc, v3, v7
	v_addc_co_u32_e32 v5, vcc, v5, v9, vcc
	v_ashrrev_i32_e32 v7, 31, v21
	v_add_co_u32_e32 v9, vcc, v20, v7
	v_xor_b32_e32 v9, v9, v7
	v_addc_co_u32_e32 v11, vcc, v21, v7, vcc
	v_mad_u64_u32 v[22:23], s[0:1], v9, v5, 0
	v_mul_hi_u32 v13, v9, v3
	v_xor_b32_e32 v11, v11, v7
	v_add_co_u32_e32 v13, vcc, v13, v22
	v_addc_co_u32_e32 v15, vcc, 0, v23, vcc
	v_mad_u64_u32 v[24:25], s[0:1], v11, v3, 0
	v_add_co_u32_e32 v3, vcc, v13, v24
	v_mad_u64_u32 v[22:23], s[0:1], v11, v5, 0
	v_addc_co_u32_e32 v3, vcc, v15, v25, vcc
	v_addc_co_u32_e32 v5, vcc, 0, v23, vcc
	v_add_co_u32_e32 v3, vcc, v3, v22
	v_addc_co_u32_e32 v5, vcc, 0, v5, vcc
	v_mul_lo_u32 v13, s37, v3
	v_mul_lo_u32 v15, s36, v5
	v_mad_u64_u32 v[22:23], s[0:1], s36, v3, 0
	v_add3_u32 v13, v23, v15, v13
	v_sub_u32_e32 v15, v11, v13
	v_mov_b32_e32 v17, s37
	v_sub_co_u32_e32 v9, vcc, v9, v22
	v_subb_co_u32_e64 v15, s[0:1], v15, v17, vcc
	v_subrev_co_u32_e64 v17, s[0:1], s36, v9
	v_subbrev_co_u32_e64 v15, s[0:1], 0, v15, s[0:1]
	v_cmp_le_u32_e64 s[0:1], s37, v15
	v_cndmask_b32_e64 v19, 0, -1, s[0:1]
	v_cmp_le_u32_e64 s[0:1], s36, v17
	v_cndmask_b32_e64 v17, 0, -1, s[0:1]
	v_cmp_eq_u32_e64 s[0:1], s37, v15
	v_cndmask_b32_e64 v15, v19, v17, s[0:1]
	v_add_co_u32_e64 v17, s[0:1], 2, v3
	v_subb_co_u32_e32 v11, vcc, v11, v13, vcc
	v_addc_co_u32_e64 v19, s[0:1], 0, v5, s[0:1]
	v_cmp_le_u32_e32 vcc, s37, v11
	v_add_co_u32_e64 v21, s[0:1], 1, v3
	v_cndmask_b32_e64 v13, 0, -1, vcc
	v_cmp_le_u32_e32 vcc, s36, v9
	v_addc_co_u32_e64 v22, s[0:1], 0, v5, s[0:1]
	v_cndmask_b32_e64 v9, 0, -1, vcc
	v_cmp_eq_u32_e32 vcc, s37, v11
	v_cmp_ne_u32_e64 s[0:1], 0, v15
	v_cndmask_b32_e32 v9, v13, v9, vcc
	v_cmp_ne_u32_e32 vcc, 0, v9
	v_cndmask_b32_e64 v9, v21, v17, s[0:1]
	v_cndmask_b32_e64 v15, v22, v19, s[0:1]
	v_cndmask_b32_e32 v3, v3, v9, vcc
	v_xor_b32_e32 v9, s35, v7
	v_xor_b32_e32 v7, s34, v7
	v_cndmask_b32_e32 v5, v5, v15, vcc
	v_xor_b32_e32 v3, v3, v7
	v_xor_b32_e32 v5, v5, v9
	v_sub_co_u32_e32 v22, vcc, v3, v7
	v_subb_co_u32_e32 v23, vcc, v5, v9, vcc
.LBB12_49:                              ;   in Loop: Header=BB12_23 Depth=2
	s_andn2_saveexec_b64 s[0:1], s[30:31]
	s_cbranch_execz .LBB12_51
; %bb.50:                               ;   in Loop: Header=BB12_23 Depth=2
	v_cvt_f32_u32_e32 v3, s16
	s_sub_i32 s27, 0, s16
	v_mov_b32_e32 v23, v2
	v_rcp_iflag_f32_e32 v3, v3
	v_mul_f32_e32 v3, 0x4f7ffffe, v3
	v_cvt_u32_f32_e32 v3, v3
	v_mul_lo_u32 v5, s27, v3
	v_mul_hi_u32 v5, v3, v5
	v_add_u32_e32 v3, v3, v5
	v_mul_hi_u32 v3, v20, v3
	v_mul_lo_u32 v5, v3, s16
	v_sub_u32_e32 v5, v20, v5
	v_add_u32_e32 v7, 1, v3
	v_subrev_u32_e32 v9, s16, v5
	v_cmp_le_u32_e32 vcc, s16, v5
	v_cndmask_b32_e32 v5, v5, v9, vcc
	v_cndmask_b32_e32 v3, v3, v7, vcc
	v_add_u32_e32 v7, 1, v3
	v_cmp_le_u32_e32 vcc, s16, v5
	v_cndmask_b32_e32 v22, v3, v7, vcc
.LBB12_51:                              ;   in Loop: Header=BB12_23 Depth=2
	s_or_b64 exec, exec, s[0:1]
	s_add_u32 s0, s43, s28
	s_mov_b32 s27, s17
	s_addc_u32 s1, s44, s29
	s_lshl_b64 s[28:29], s[26:27], 2
	s_add_u32 s30, s39, s28
	s_addc_u32 s31, s40, s29
	s_load_dword s27, s[30:31], 0x0
	s_load_dword s62, s[0:1], 0x0
                                        ; implicit-def: $vgpr24_vgpr25
	s_waitcnt lgkmcnt(0)
	s_ashr_i32 s0, s27, 31
	v_or_b32_e32 v3, s0, v23
	v_cmp_ne_u64_e32 vcc, 0, v[2:3]
	s_and_saveexec_b64 s[30:31], vcc
	s_xor_b64 s[30:31], exec, s[30:31]
	s_cbranch_execz .LBB12_53
; %bb.52:                               ;   in Loop: Header=BB12_23 Depth=2
	s_add_u32 s36, s27, s0
	s_mov_b32 s34, s0
	s_mov_b32 s35, s0
	s_addc_u32 s37, s0, s0
	s_xor_b64 s[36:37], s[36:37], s[34:35]
	v_cvt_f32_u32_e32 v3, s36
	v_cvt_f32_u32_e32 v5, s37
	s_sub_u32 s0, 0, s36
	s_subb_u32 s1, 0, s37
	v_mac_f32_e32 v3, 0x4f800000, v5
	v_rcp_f32_e32 v3, v3
	v_mul_f32_e32 v3, 0x5f7ffffc, v3
	v_mul_f32_e32 v5, 0x2f800000, v3
	v_trunc_f32_e32 v5, v5
	v_mac_f32_e32 v3, 0xcf800000, v5
	v_cvt_u32_f32_e32 v5, v5
	v_cvt_u32_f32_e32 v3, v3
	v_mul_lo_u32 v7, s0, v5
	v_mul_hi_u32 v11, s0, v3
	v_mul_lo_u32 v9, s1, v3
	v_add_u32_e32 v7, v11, v7
	v_mul_lo_u32 v13, s0, v3
	v_add_u32_e32 v7, v7, v9
	v_mul_lo_u32 v11, v3, v7
	v_mul_hi_u32 v15, v3, v13
	v_mul_hi_u32 v9, v3, v7
	v_add_co_u32_e32 v11, vcc, v15, v11
	v_addc_co_u32_e32 v9, vcc, 0, v9, vcc
	v_mul_hi_u32 v17, v5, v13
	v_mul_lo_u32 v13, v5, v13
	v_add_co_u32_e32 v11, vcc, v11, v13
	v_mul_hi_u32 v15, v5, v7
	v_addc_co_u32_e32 v9, vcc, v9, v17, vcc
	v_addc_co_u32_e32 v11, vcc, 0, v15, vcc
	v_mul_lo_u32 v7, v5, v7
	v_add_co_u32_e32 v7, vcc, v9, v7
	v_addc_co_u32_e32 v9, vcc, 0, v11, vcc
	v_add_co_u32_e32 v3, vcc, v3, v7
	v_addc_co_u32_e32 v5, vcc, v5, v9, vcc
	v_mul_lo_u32 v7, s0, v5
	v_mul_hi_u32 v9, s0, v3
	v_add_u32_e32 v7, v9, v7
	v_mul_lo_u32 v9, s1, v3
	v_add_u32_e32 v7, v7, v9
	v_mul_lo_u32 v11, s0, v3
	v_mul_hi_u32 v13, v5, v11
	v_mul_lo_u32 v15, v5, v11
	v_mul_lo_u32 v19, v3, v7
	v_mul_hi_u32 v11, v3, v11
	v_mul_hi_u32 v17, v3, v7
	v_add_co_u32_e32 v11, vcc, v11, v19
	v_addc_co_u32_e32 v17, vcc, 0, v17, vcc
	v_add_co_u32_e32 v11, vcc, v11, v15
	v_mul_hi_u32 v9, v5, v7
	v_addc_co_u32_e32 v11, vcc, v17, v13, vcc
	v_addc_co_u32_e32 v9, vcc, 0, v9, vcc
	v_mul_lo_u32 v7, v5, v7
	v_add_co_u32_e32 v7, vcc, v11, v7
	v_addc_co_u32_e32 v9, vcc, 0, v9, vcc
	v_add_co_u32_e32 v3, vcc, v3, v7
	v_addc_co_u32_e32 v5, vcc, v5, v9, vcc
	v_ashrrev_i32_e32 v7, 31, v23
	v_add_co_u32_e32 v9, vcc, v22, v7
	v_xor_b32_e32 v9, v9, v7
	v_addc_co_u32_e32 v11, vcc, v23, v7, vcc
	v_mad_u64_u32 v[24:25], s[0:1], v9, v5, 0
	v_mul_hi_u32 v13, v9, v3
	v_xor_b32_e32 v11, v11, v7
	v_add_co_u32_e32 v13, vcc, v13, v24
	v_addc_co_u32_e32 v15, vcc, 0, v25, vcc
	v_mad_u64_u32 v[30:31], s[0:1], v11, v3, 0
	v_add_co_u32_e32 v3, vcc, v13, v30
	v_mad_u64_u32 v[24:25], s[0:1], v11, v5, 0
	v_addc_co_u32_e32 v3, vcc, v15, v31, vcc
	v_addc_co_u32_e32 v5, vcc, 0, v25, vcc
	v_add_co_u32_e32 v3, vcc, v3, v24
	v_addc_co_u32_e32 v5, vcc, 0, v5, vcc
	v_mul_lo_u32 v13, s37, v3
	v_mul_lo_u32 v15, s36, v5
	v_mad_u64_u32 v[24:25], s[0:1], s36, v3, 0
	v_add3_u32 v13, v25, v15, v13
	v_sub_u32_e32 v15, v11, v13
	v_mov_b32_e32 v17, s37
	v_sub_co_u32_e32 v9, vcc, v9, v24
	v_subb_co_u32_e64 v15, s[0:1], v15, v17, vcc
	v_subrev_co_u32_e64 v17, s[0:1], s36, v9
	v_subbrev_co_u32_e64 v15, s[0:1], 0, v15, s[0:1]
	v_cmp_le_u32_e64 s[0:1], s37, v15
	v_cndmask_b32_e64 v19, 0, -1, s[0:1]
	v_cmp_le_u32_e64 s[0:1], s36, v17
	v_cndmask_b32_e64 v17, 0, -1, s[0:1]
	v_cmp_eq_u32_e64 s[0:1], s37, v15
	v_cndmask_b32_e64 v15, v19, v17, s[0:1]
	v_add_co_u32_e64 v17, s[0:1], 2, v3
	v_subb_co_u32_e32 v11, vcc, v11, v13, vcc
	v_addc_co_u32_e64 v19, s[0:1], 0, v5, s[0:1]
	v_cmp_le_u32_e32 vcc, s37, v11
	v_add_co_u32_e64 v21, s[0:1], 1, v3
	v_cndmask_b32_e64 v13, 0, -1, vcc
	v_cmp_le_u32_e32 vcc, s36, v9
	v_addc_co_u32_e64 v23, s[0:1], 0, v5, s[0:1]
	v_cndmask_b32_e64 v9, 0, -1, vcc
	v_cmp_eq_u32_e32 vcc, s37, v11
	v_cmp_ne_u32_e64 s[0:1], 0, v15
	v_cndmask_b32_e32 v9, v13, v9, vcc
	v_cmp_ne_u32_e32 vcc, 0, v9
	v_cndmask_b32_e64 v9, v21, v17, s[0:1]
	v_cndmask_b32_e64 v15, v23, v19, s[0:1]
	v_cndmask_b32_e32 v3, v3, v9, vcc
	v_xor_b32_e32 v9, s35, v7
	v_xor_b32_e32 v7, s34, v7
	v_cndmask_b32_e32 v5, v5, v15, vcc
	v_xor_b32_e32 v3, v3, v7
	v_xor_b32_e32 v5, v5, v9
	v_sub_co_u32_e32 v24, vcc, v3, v7
	v_subb_co_u32_e32 v25, vcc, v5, v9, vcc
.LBB12_53:                              ;   in Loop: Header=BB12_23 Depth=2
	s_andn2_saveexec_b64 s[0:1], s[30:31]
	s_cbranch_execz .LBB12_55
; %bb.54:                               ;   in Loop: Header=BB12_23 Depth=2
	v_cvt_f32_u32_e32 v3, s27
	s_sub_i32 s30, 0, s27
	v_mov_b32_e32 v25, v2
	v_rcp_iflag_f32_e32 v3, v3
	v_mul_f32_e32 v3, 0x4f7ffffe, v3
	v_cvt_u32_f32_e32 v3, v3
	v_mul_lo_u32 v5, s30, v3
	v_mul_hi_u32 v5, v3, v5
	v_add_u32_e32 v3, v3, v5
	v_mul_hi_u32 v3, v22, v3
	v_mul_lo_u32 v5, v3, s27
	v_sub_u32_e32 v5, v22, v5
	v_add_u32_e32 v7, 1, v3
	v_subrev_u32_e32 v9, s27, v5
	v_cmp_le_u32_e32 vcc, s27, v5
	v_cndmask_b32_e32 v5, v5, v9, vcc
	v_cndmask_b32_e32 v3, v3, v7, vcc
	v_add_u32_e32 v7, 1, v3
	v_cmp_le_u32_e32 vcc, s27, v5
	v_cndmask_b32_e32 v24, v3, v7, vcc
.LBB12_55:                              ;   in Loop: Header=BB12_23 Depth=2
	s_or_b64 exec, exec, s[0:1]
	v_mul_lo_u32 v3, v10, s50
	v_mul_lo_u32 v5, v12, s51
	v_sub_u32_e32 v3, v8, v3
	v_sub_u32_e32 v5, v10, v5
	v_mul_lo_u32 v3, s52, v3
	v_mul_lo_u32 v5, s54, v5
	v_add3_u32 v3, v3, v6, v5
	v_mul_lo_u32 v5, v14, s53
	v_mul_lo_u32 v6, v16, s55
	v_sub_u32_e32 v5, v12, v5
	v_sub_u32_e32 v6, v14, v6
	s_add_u32 s0, s43, s28
	v_mul_lo_u32 v5, s56, v5
	v_mul_lo_u32 v6, s58, v6
	s_addc_u32 s1, s44, s29
	v_add3_u32 v3, v5, v3, v6
	v_mul_lo_u32 v5, v18, s57
	v_mul_lo_u32 v6, v20, s59
	s_load_dword s0, s[0:1], 0x0
	v_sub_u32_e32 v5, v16, v5
	v_sub_u32_e32 v6, v18, v6
	v_mul_lo_u32 v5, s60, v5
	v_mul_lo_u32 v6, s61, v6
	v_add3_u32 v3, v5, v3, v6
	v_mul_lo_u32 v5, v22, s16
	v_mul_lo_u32 v6, v24, s27
	v_sub_u32_e32 v5, v20, v5
	v_sub_u32_e32 v6, v22, v6
	v_mul_lo_u32 v5, s62, v5
	s_waitcnt lgkmcnt(0)
	v_mul_lo_u32 v6, s0, v6
	s_add_i32 s26, s26, -8
	s_cmp_eq_u32 s26, -8
	v_add3_u32 v6, v5, v3, v6
	s_cbranch_scc1 .LBB12_57
; %bb.56:                               ;   in Loop: Header=BB12_23 Depth=2
	v_pk_mov_b32 v[8:9], v[24:25], v[24:25] op_sel:[0,1]
	s_branch .LBB12_23
.LBB12_57:                              ;   in Loop: Header=BB12_3 Depth=1
	s_load_dword s16, s[14:15], 0x0
	s_waitcnt lgkmcnt(0)
	v_cmp_gt_i32_e32 vcc, s16, v28
	s_and_b64 exec, exec, vcc
	s_cbranch_execz .LBB12_2
; %bb.58:                               ;   in Loop: Header=BB12_3 Depth=1
	v_ashrrev_i32_e32 v5, 31, v4
	v_cmp_lt_i64_e32 vcc, s[8:9], v[4:5]
	s_and_saveexec_b64 s[0:1], vcc
	s_cbranch_execz .LBB12_60
; %bb.59:                               ;   in Loop: Header=BB12_3 Depth=1
	v_ashrrev_i32_e32 v7, 31, v6
	v_lshlrev_b64 v[4:5], 3, v[6:7]
	v_mov_b32_e32 v3, s3
	v_add_co_u32_e32 v4, vcc, s2, v4
	v_addc_co_u32_e32 v5, vcc, v3, v5, vcc
	v_mov_b32_e32 v3, v2
	global_store_dwordx2 v[4:5], v[2:3], off
.LBB12_60:                              ;   in Loop: Header=BB12_3 Depth=1
	s_or_b64 exec, exec, s[0:1]
	v_add_u32_e32 v3, 1, v28
	v_cmp_gt_i32_e32 vcc, s16, v3
	s_and_b64 exec, exec, vcc
	s_cbranch_execz .LBB12_2
; %bb.61:                               ;   in Loop: Header=BB12_3 Depth=1
	v_sub_u32_e32 v4, v3, v27
	v_ashrrev_i32_e32 v5, 31, v4
	v_cmp_lt_i64_e32 vcc, s[8:9], v[4:5]
	s_and_b64 exec, exec, vcc
	s_cbranch_execz .LBB12_2
; %bb.62:                               ;   in Loop: Header=BB12_3 Depth=1
	v_add_u32_e32 v4, s49, v6
	v_ashrrev_i32_e32 v5, 31, v4
	v_lshlrev_b64 v[4:5], 3, v[4:5]
	v_mov_b32_e32 v3, s3
	v_add_co_u32_e32 v4, vcc, s2, v4
	v_addc_co_u32_e32 v5, vcc, v3, v5, vcc
	v_mov_b32_e32 v3, v2
	global_store_dwordx2 v[4:5], v[2:3], off
	s_branch .LBB12_2
.LBB12_63:
	s_endpgm
	.section	.rodata,"a",@progbits
	.p2align	6, 0x0
	.amdhsa_kernel _ZN2at6native16triu_tril_kernelIliLb0ELi2ELb1EEEvNS_4cuda6detail10TensorInfoIT_T0_EENS4_IKS5_S6_EEllS6_
		.amdhsa_group_segment_fixed_size 0
		.amdhsa_private_segment_fixed_size 0
		.amdhsa_kernarg_size 712
		.amdhsa_user_sgpr_count 6
		.amdhsa_user_sgpr_private_segment_buffer 1
		.amdhsa_user_sgpr_dispatch_ptr 0
		.amdhsa_user_sgpr_queue_ptr 0
		.amdhsa_user_sgpr_kernarg_segment_ptr 1
		.amdhsa_user_sgpr_dispatch_id 0
		.amdhsa_user_sgpr_flat_scratch_init 0
		.amdhsa_user_sgpr_kernarg_preload_length 0
		.amdhsa_user_sgpr_kernarg_preload_offset 0
		.amdhsa_user_sgpr_private_segment_size 0
		.amdhsa_uses_dynamic_stack 0
		.amdhsa_system_sgpr_private_segment_wavefront_offset 0
		.amdhsa_system_sgpr_workgroup_id_x 1
		.amdhsa_system_sgpr_workgroup_id_y 0
		.amdhsa_system_sgpr_workgroup_id_z 0
		.amdhsa_system_sgpr_workgroup_info 0
		.amdhsa_system_vgpr_workitem_id 0
		.amdhsa_next_free_vgpr 32
		.amdhsa_next_free_sgpr 63
		.amdhsa_accum_offset 32
		.amdhsa_reserve_vcc 1
		.amdhsa_reserve_flat_scratch 0
		.amdhsa_float_round_mode_32 0
		.amdhsa_float_round_mode_16_64 0
		.amdhsa_float_denorm_mode_32 3
		.amdhsa_float_denorm_mode_16_64 3
		.amdhsa_dx10_clamp 1
		.amdhsa_ieee_mode 1
		.amdhsa_fp16_overflow 0
		.amdhsa_tg_split 0
		.amdhsa_exception_fp_ieee_invalid_op 0
		.amdhsa_exception_fp_denorm_src 0
		.amdhsa_exception_fp_ieee_div_zero 0
		.amdhsa_exception_fp_ieee_overflow 0
		.amdhsa_exception_fp_ieee_underflow 0
		.amdhsa_exception_fp_ieee_inexact 0
		.amdhsa_exception_int_div_zero 0
	.end_amdhsa_kernel
	.section	.text._ZN2at6native16triu_tril_kernelIliLb0ELi2ELb1EEEvNS_4cuda6detail10TensorInfoIT_T0_EENS4_IKS5_S6_EEllS6_,"axG",@progbits,_ZN2at6native16triu_tril_kernelIliLb0ELi2ELb1EEEvNS_4cuda6detail10TensorInfoIT_T0_EENS4_IKS5_S6_EEllS6_,comdat
.Lfunc_end12:
	.size	_ZN2at6native16triu_tril_kernelIliLb0ELi2ELb1EEEvNS_4cuda6detail10TensorInfoIT_T0_EENS4_IKS5_S6_EEllS6_, .Lfunc_end12-_ZN2at6native16triu_tril_kernelIliLb0ELi2ELb1EEEvNS_4cuda6detail10TensorInfoIT_T0_EENS4_IKS5_S6_EEllS6_
                                        ; -- End function
	.section	.AMDGPU.csdata,"",@progbits
; Kernel info:
; codeLenInByte = 10144
; NumSgprs: 67
; NumVgprs: 32
; NumAgprs: 0
; TotalNumVgprs: 32
; ScratchSize: 0
; MemoryBound: 0
; FloatMode: 240
; IeeeMode: 1
; LDSByteSize: 0 bytes/workgroup (compile time only)
; SGPRBlocks: 8
; VGPRBlocks: 3
; NumSGPRsForWavesPerEU: 67
; NumVGPRsForWavesPerEU: 32
; AccumOffset: 32
; Occupancy: 8
; WaveLimiterHint : 0
; COMPUTE_PGM_RSRC2:SCRATCH_EN: 0
; COMPUTE_PGM_RSRC2:USER_SGPR: 6
; COMPUTE_PGM_RSRC2:TRAP_HANDLER: 0
; COMPUTE_PGM_RSRC2:TGID_X_EN: 1
; COMPUTE_PGM_RSRC2:TGID_Y_EN: 0
; COMPUTE_PGM_RSRC2:TGID_Z_EN: 0
; COMPUTE_PGM_RSRC2:TIDIG_COMP_CNT: 0
; COMPUTE_PGM_RSRC3_GFX90A:ACCUM_OFFSET: 7
; COMPUTE_PGM_RSRC3_GFX90A:TG_SPLIT: 0
	.section	.text._ZN2at6native16triu_tril_kernelIliLb0ELi2ELb0EEEvNS_4cuda6detail10TensorInfoIT_T0_EENS4_IKS5_S6_EEllS6_,"axG",@progbits,_ZN2at6native16triu_tril_kernelIliLb0ELi2ELb0EEEvNS_4cuda6detail10TensorInfoIT_T0_EENS4_IKS5_S6_EEllS6_,comdat
	.protected	_ZN2at6native16triu_tril_kernelIliLb0ELi2ELb0EEEvNS_4cuda6detail10TensorInfoIT_T0_EENS4_IKS5_S6_EEllS6_ ; -- Begin function _ZN2at6native16triu_tril_kernelIliLb0ELi2ELb0EEEvNS_4cuda6detail10TensorInfoIT_T0_EENS4_IKS5_S6_EEllS6_
	.globl	_ZN2at6native16triu_tril_kernelIliLb0ELi2ELb0EEEvNS_4cuda6detail10TensorInfoIT_T0_EENS4_IKS5_S6_EEllS6_
	.p2align	8
	.type	_ZN2at6native16triu_tril_kernelIliLb0ELi2ELb0EEEvNS_4cuda6detail10TensorInfoIT_T0_EENS4_IKS5_S6_EEllS6_,@function
_ZN2at6native16triu_tril_kernelIliLb0ELi2ELb0EEEvNS_4cuda6detail10TensorInfoIT_T0_EENS4_IKS5_S6_EEllS6_: ; @_ZN2at6native16triu_tril_kernelIliLb0ELi2ELb0EEEvNS_4cuda6detail10TensorInfoIT_T0_EENS4_IKS5_S6_EEllS6_
; %bb.0:
	s_load_dword s2, s[4:5], 0x1d4
	s_load_dwordx4 s[8:11], s[4:5], 0x1b0
	s_add_u32 s0, s4, 0x1c8
	v_mov_b32_e32 v2, 0
	s_addc_u32 s1, s5, 0
	s_waitcnt lgkmcnt(0)
	s_and_b32 s2, s2, 0xffff
	v_mov_b32_e32 v1, v2
	v_mov_b32_e32 v3, s6
	v_mad_u64_u32 v[0:1], s[6:7], s2, v3, v[0:1]
	v_lshlrev_b64 v[0:1], 1, v[0:1]
	v_cmp_gt_i64_e32 vcc, s[10:11], v[0:1]
	s_and_saveexec_b64 s[6:7], vcc
	s_cbranch_execz .LBB13_52
; %bb.1:
	s_load_dword s20, s[4:5], 0x1a8
	s_add_u32 s33, s4, 0xd8
	s_addc_u32 s42, s5, 0
	s_load_dword s3, s[0:1], 0x0
	s_load_dwordx2 s[6:7], s[4:5], 0xd8
	s_mov_b64 s[26:27], 0
	s_waitcnt lgkmcnt(0)
	s_ashr_i32 s21, s20, 31
	s_lshl_b64 s[0:1], s[20:21], 2
	s_add_u32 s18, s0, -8
	s_addc_u32 s19, s1, -1
	s_add_u32 s0, s33, s18
	s_addc_u32 s1, s42, s19
	s_load_dwordx2 s[12:13], s[0:1], 0x8
	s_load_dword s43, s[4:5], 0x1c0
	s_load_dwordx2 s[16:17], s[0:1], 0x6c
	s_mul_i32 s3, s3, s2
	v_cmp_gt_i64_e64 s[14:15], s[20:21], 2
	s_waitcnt lgkmcnt(0)
	s_ashr_i32 s44, s12, 31
	v_cvt_f32_u32_e32 v3, s43
	s_ashr_i32 s45, s43, 31
	s_add_u32 s46, s4, 0x6c
	s_addc_u32 s47, s5, 0
	s_add_u32 s0, s46, s18
	v_rcp_iflag_f32_e32 v3, v3
	s_addc_u32 s1, s47, s19
	s_load_dwordx2 s[18:19], s[0:1], 0x0
	s_add_i32 s48, s20, -3
	s_load_dwordx2 s[4:5], s[4:5], 0x0
	s_lshl_b32 s49, s3, 1
	s_and_b32 s51, s20, 3
	v_mul_f32_e32 v3, 0x4f7ffffe, v3
	s_cmp_lg_u32 s51, 2
	v_cvt_u32_f32_e32 v22, v3
	s_cselect_b64 s[22:23], -1, 0
	s_cmp_gt_u32 s48, 2
	s_mov_b32 s21, 0
	s_cselect_b64 s[24:25], -1, 0
	s_ashr_i32 s1, s17, 31
	s_mov_b32 s0, s17
	s_waitcnt lgkmcnt(0)
	s_ashr_i32 s3, s19, 31
	s_mov_b32 s2, s19
	s_mov_b32 s50, s21
	s_lshl_b64 s[28:29], s[0:1], 3
	s_lshl_b64 s[30:31], s[2:3], 3
	s_branch .LBB13_3
.LBB13_2:                               ;   in Loop: Header=BB13_3 Depth=1
	s_or_b64 exec, exec, s[0:1]
	v_mov_b32_e32 v3, s50
	v_add_co_u32_e32 v0, vcc, s49, v0
	v_addc_co_u32_e32 v1, vcc, v1, v3, vcc
	v_cmp_le_i64_e32 vcc, s[10:11], v[0:1]
	s_or_b64 s[26:27], vcc, s[26:27]
	s_andn2_b64 exec, exec, s[26:27]
	s_cbranch_execz .LBB13_52
.LBB13_3:                               ; =>This Loop Header: Depth=1
                                        ;     Child Loop BB13_37 Depth 2
                                        ;     Child Loop BB13_18 Depth 2
	v_or_b32_e32 v3, s45, v1
	v_cmp_ne_u64_e32 vcc, 0, v[2:3]
                                        ; implicit-def: $vgpr4_vgpr5
                                        ; implicit-def: $vgpr14_vgpr15
	s_and_saveexec_b64 s[0:1], vcc
	s_xor_b64 s[34:35], exec, s[0:1]
	s_cbranch_execz .LBB13_5
; %bb.4:                                ;   in Loop: Header=BB13_3 Depth=1
	s_add_u32 s0, s43, s45
	s_mov_b32 s2, s45
	s_mov_b32 s3, s45
	s_addc_u32 s1, s45, s45
	s_xor_b64 s[36:37], s[0:1], s[2:3]
	v_cvt_f32_u32_e32 v3, s36
	v_cvt_f32_u32_e32 v4, s37
	s_sub_u32 s0, 0, s36
	s_subb_u32 s1, 0, s37
	v_mac_f32_e32 v3, 0x4f800000, v4
	v_rcp_f32_e32 v3, v3
	v_mul_f32_e32 v3, 0x5f7ffffc, v3
	v_mul_f32_e32 v4, 0x2f800000, v3
	v_trunc_f32_e32 v4, v4
	v_mac_f32_e32 v3, 0xcf800000, v4
	v_cvt_u32_f32_e32 v4, v4
	v_cvt_u32_f32_e32 v3, v3
	v_mul_lo_u32 v5, s0, v4
	v_mul_hi_u32 v7, s0, v3
	v_mul_lo_u32 v6, s1, v3
	v_add_u32_e32 v5, v7, v5
	v_mul_lo_u32 v8, s0, v3
	v_add_u32_e32 v5, v5, v6
	v_mul_lo_u32 v7, v3, v5
	v_mul_hi_u32 v9, v3, v8
	v_mul_hi_u32 v6, v3, v5
	v_add_co_u32_e32 v7, vcc, v9, v7
	v_addc_co_u32_e32 v6, vcc, 0, v6, vcc
	v_mul_hi_u32 v10, v4, v8
	v_mul_lo_u32 v8, v4, v8
	v_add_co_u32_e32 v7, vcc, v7, v8
	v_mul_hi_u32 v9, v4, v5
	v_addc_co_u32_e32 v6, vcc, v6, v10, vcc
	v_addc_co_u32_e32 v7, vcc, 0, v9, vcc
	v_mul_lo_u32 v5, v4, v5
	v_add_co_u32_e32 v5, vcc, v6, v5
	v_addc_co_u32_e32 v6, vcc, 0, v7, vcc
	v_add_co_u32_e32 v3, vcc, v3, v5
	v_addc_co_u32_e32 v4, vcc, v4, v6, vcc
	v_mul_lo_u32 v5, s0, v4
	v_mul_hi_u32 v6, s0, v3
	v_add_u32_e32 v5, v6, v5
	v_mul_lo_u32 v6, s1, v3
	v_add_u32_e32 v5, v5, v6
	v_mul_lo_u32 v7, s0, v3
	v_mul_hi_u32 v8, v4, v7
	v_mul_lo_u32 v9, v4, v7
	v_mul_lo_u32 v11, v3, v5
	v_mul_hi_u32 v7, v3, v7
	v_mul_hi_u32 v10, v3, v5
	v_add_co_u32_e32 v7, vcc, v7, v11
	v_addc_co_u32_e32 v10, vcc, 0, v10, vcc
	v_add_co_u32_e32 v7, vcc, v7, v9
	v_mul_hi_u32 v6, v4, v5
	v_addc_co_u32_e32 v7, vcc, v10, v8, vcc
	v_addc_co_u32_e32 v6, vcc, 0, v6, vcc
	v_mul_lo_u32 v5, v4, v5
	v_add_co_u32_e32 v5, vcc, v7, v5
	v_addc_co_u32_e32 v6, vcc, 0, v6, vcc
	v_add_co_u32_e32 v3, vcc, v3, v5
	v_addc_co_u32_e32 v6, vcc, v4, v6, vcc
	v_ashrrev_i32_e32 v8, 31, v1
	v_add_co_u32_e32 v4, vcc, v0, v8
	v_addc_co_u32_e32 v5, vcc, v1, v8, vcc
	v_xor_b32_e32 v10, v4, v8
	v_xor_b32_e32 v9, v5, v8
	v_mad_u64_u32 v[4:5], s[0:1], v10, v6, 0
	v_mul_hi_u32 v7, v10, v3
	v_add_co_u32_e32 v11, vcc, v7, v4
	v_addc_co_u32_e32 v12, vcc, 0, v5, vcc
	v_mad_u64_u32 v[4:5], s[0:1], v9, v6, 0
	v_mad_u64_u32 v[6:7], s[0:1], v9, v3, 0
	v_add_co_u32_e32 v3, vcc, v11, v6
	v_addc_co_u32_e32 v3, vcc, v12, v7, vcc
	v_addc_co_u32_e32 v5, vcc, 0, v5, vcc
	v_add_co_u32_e32 v3, vcc, v3, v4
	v_addc_co_u32_e32 v6, vcc, 0, v5, vcc
	v_mul_lo_u32 v7, s37, v3
	v_mul_lo_u32 v11, s36, v6
	v_mad_u64_u32 v[4:5], s[0:1], s36, v3, 0
	v_add3_u32 v5, v5, v11, v7
	v_sub_u32_e32 v7, v9, v5
	v_mov_b32_e32 v11, s37
	v_sub_co_u32_e32 v4, vcc, v10, v4
	v_subb_co_u32_e64 v7, s[0:1], v7, v11, vcc
	v_subrev_co_u32_e64 v10, s[0:1], s36, v4
	v_subbrev_co_u32_e64 v7, s[0:1], 0, v7, s[0:1]
	v_cmp_le_u32_e64 s[0:1], s37, v7
	v_cndmask_b32_e64 v11, 0, -1, s[0:1]
	v_cmp_le_u32_e64 s[0:1], s36, v10
	v_cndmask_b32_e64 v12, 0, -1, s[0:1]
	v_cmp_eq_u32_e64 s[0:1], s37, v7
	v_cndmask_b32_e64 v7, v11, v12, s[0:1]
	v_add_co_u32_e64 v11, s[0:1], 2, v3
	v_addc_co_u32_e64 v12, s[0:1], 0, v6, s[0:1]
	v_add_co_u32_e64 v13, s[0:1], 1, v3
	v_subb_co_u32_e32 v5, vcc, v9, v5, vcc
	v_addc_co_u32_e64 v14, s[0:1], 0, v6, s[0:1]
	v_cmp_le_u32_e32 vcc, s37, v5
	v_cmp_ne_u32_e64 s[0:1], 0, v7
	v_cndmask_b32_e64 v9, 0, -1, vcc
	v_cmp_le_u32_e32 vcc, s36, v4
	v_cndmask_b32_e64 v7, v14, v12, s[0:1]
	v_cndmask_b32_e64 v12, 0, -1, vcc
	v_cmp_eq_u32_e32 vcc, s37, v5
	v_cndmask_b32_e32 v5, v9, v12, vcc
	v_cmp_ne_u32_e32 vcc, 0, v5
	v_cndmask_b32_e32 v5, v6, v7, vcc
	v_cndmask_b32_e64 v6, v13, v11, s[0:1]
	v_cndmask_b32_e32 v3, v3, v6, vcc
	v_xor_b32_e32 v7, s2, v8
	v_xor_b32_e32 v6, s3, v8
	;; [unrolled: 1-line block ×4, first 2 shown]
	v_sub_co_u32_e64 v14, s[2:3], v3, v7
	v_subb_co_u32_e64 v15, s[2:3], v5, v6, s[2:3]
	v_subrev_co_u32_e64 v3, s[2:3], s36, v10
	v_cndmask_b32_e64 v3, v10, v3, s[0:1]
	v_cndmask_b32_e32 v3, v4, v3, vcc
	v_xor_b32_e32 v3, v3, v8
	v_sub_co_u32_e32 v4, vcc, v3, v8
.LBB13_5:                               ;   in Loop: Header=BB13_3 Depth=1
	s_andn2_saveexec_b64 s[2:3], s[34:35]
	s_cbranch_execz .LBB13_7
; %bb.6:                                ;   in Loop: Header=BB13_3 Depth=1
	s_sub_i32 s0, 0, s43
	v_mul_lo_u32 v3, s0, v22
	v_mul_hi_u32 v3, v22, v3
	v_add_u32_e32 v3, v22, v3
	v_mul_hi_u32 v3, v0, v3
	v_mul_lo_u32 v4, v3, s43
	v_sub_u32_e32 v4, v0, v4
	v_subrev_u32_e32 v5, s43, v4
	v_cmp_le_u32_e32 vcc, s43, v4
	v_cndmask_b32_e32 v4, v4, v5, vcc
	v_subrev_u32_e32 v5, s43, v4
	v_cmp_le_u32_e64 s[0:1], s43, v4
	v_cndmask_b32_e64 v4, v4, v5, s[0:1]
	v_add_u32_e32 v5, 1, v3
	v_cndmask_b32_e32 v3, v3, v5, vcc
	v_add_u32_e32 v5, 1, v3
	v_cndmask_b32_e64 v14, v3, v5, s[0:1]
	v_mov_b32_e32 v15, v2
.LBB13_7:                               ;   in Loop: Header=BB13_3 Depth=1
	s_or_b64 exec, exec, s[2:3]
	v_or_b32_e32 v3, s44, v15
	v_cmp_ne_u64_e32 vcc, 0, v[2:3]
                                        ; implicit-def: $vgpr6_vgpr7
	s_and_saveexec_b64 s[0:1], vcc
	s_xor_b64 s[2:3], exec, s[0:1]
	s_cbranch_execz .LBB13_9
; %bb.8:                                ;   in Loop: Header=BB13_3 Depth=1
	s_add_u32 s34, s12, s44
	s_mov_b32 s0, s44
	s_mov_b32 s1, s44
	s_addc_u32 s35, s44, s44
	s_xor_b64 s[34:35], s[34:35], s[0:1]
	v_cvt_f32_u32_e32 v5, s34
	v_cvt_f32_u32_e32 v6, s35
	s_sub_u32 s0, 0, s34
	s_subb_u32 s1, 0, s35
	v_mac_f32_e32 v5, 0x4f800000, v6
	v_rcp_f32_e32 v5, v5
	v_mul_f32_e32 v5, 0x5f7ffffc, v5
	v_mul_f32_e32 v6, 0x2f800000, v5
	v_trunc_f32_e32 v6, v6
	v_mac_f32_e32 v5, 0xcf800000, v6
	v_cvt_u32_f32_e32 v6, v6
	v_cvt_u32_f32_e32 v5, v5
	v_mul_lo_u32 v7, s0, v6
	v_mul_hi_u32 v9, s0, v5
	v_mul_lo_u32 v8, s1, v5
	v_add_u32_e32 v7, v9, v7
	v_mul_lo_u32 v10, s0, v5
	v_add_u32_e32 v7, v7, v8
	v_mul_lo_u32 v9, v5, v7
	v_mul_hi_u32 v11, v5, v10
	v_mul_hi_u32 v8, v5, v7
	v_add_co_u32_e32 v9, vcc, v11, v9
	v_addc_co_u32_e32 v8, vcc, 0, v8, vcc
	v_mul_hi_u32 v12, v6, v10
	v_mul_lo_u32 v10, v6, v10
	v_add_co_u32_e32 v9, vcc, v9, v10
	v_mul_hi_u32 v11, v6, v7
	v_addc_co_u32_e32 v8, vcc, v8, v12, vcc
	v_addc_co_u32_e32 v9, vcc, 0, v11, vcc
	v_mul_lo_u32 v7, v6, v7
	v_add_co_u32_e32 v7, vcc, v8, v7
	v_addc_co_u32_e32 v8, vcc, 0, v9, vcc
	v_add_co_u32_e32 v5, vcc, v5, v7
	v_addc_co_u32_e32 v6, vcc, v6, v8, vcc
	v_mul_lo_u32 v7, s0, v6
	v_mul_hi_u32 v8, s0, v5
	v_add_u32_e32 v7, v8, v7
	v_mul_lo_u32 v8, s1, v5
	v_add_u32_e32 v7, v7, v8
	v_mul_lo_u32 v9, s0, v5
	v_mul_hi_u32 v10, v6, v9
	v_mul_lo_u32 v11, v6, v9
	v_mul_lo_u32 v13, v5, v7
	v_mul_hi_u32 v9, v5, v9
	v_mul_hi_u32 v12, v5, v7
	v_add_co_u32_e32 v9, vcc, v9, v13
	v_addc_co_u32_e32 v12, vcc, 0, v12, vcc
	v_add_co_u32_e32 v9, vcc, v9, v11
	v_mul_hi_u32 v8, v6, v7
	v_addc_co_u32_e32 v9, vcc, v12, v10, vcc
	v_addc_co_u32_e32 v8, vcc, 0, v8, vcc
	v_mul_lo_u32 v7, v6, v7
	v_add_co_u32_e32 v7, vcc, v9, v7
	v_addc_co_u32_e32 v8, vcc, 0, v8, vcc
	v_add_co_u32_e32 v5, vcc, v5, v7
	v_addc_co_u32_e32 v8, vcc, v6, v8, vcc
	v_ashrrev_i32_e32 v10, 31, v15
	v_add_co_u32_e32 v6, vcc, v14, v10
	v_addc_co_u32_e32 v7, vcc, v15, v10, vcc
	v_xor_b32_e32 v12, v6, v10
	v_xor_b32_e32 v11, v7, v10
	v_mad_u64_u32 v[6:7], s[0:1], v12, v8, 0
	v_mul_hi_u32 v9, v12, v5
	v_add_co_u32_e32 v13, vcc, v9, v6
	v_addc_co_u32_e32 v16, vcc, 0, v7, vcc
	v_mad_u64_u32 v[6:7], s[0:1], v11, v8, 0
	v_mad_u64_u32 v[8:9], s[0:1], v11, v5, 0
	v_add_co_u32_e32 v5, vcc, v13, v8
	v_addc_co_u32_e32 v5, vcc, v16, v9, vcc
	v_addc_co_u32_e32 v7, vcc, 0, v7, vcc
	v_add_co_u32_e32 v5, vcc, v5, v6
	v_addc_co_u32_e32 v6, vcc, 0, v7, vcc
	v_mul_lo_u32 v8, s35, v5
	v_mul_lo_u32 v9, s34, v6
	v_mad_u64_u32 v[6:7], s[0:1], s34, v5, 0
	v_add3_u32 v5, v7, v9, v8
	v_sub_u32_e32 v7, v11, v5
	v_mov_b32_e32 v8, s35
	v_sub_co_u32_e32 v6, vcc, v12, v6
	v_subb_co_u32_e64 v7, s[0:1], v7, v8, vcc
	v_subrev_co_u32_e64 v8, s[0:1], s34, v6
	v_subbrev_co_u32_e64 v7, s[0:1], 0, v7, s[0:1]
	v_cmp_le_u32_e64 s[0:1], s35, v7
	v_subb_co_u32_e32 v5, vcc, v11, v5, vcc
	v_cndmask_b32_e64 v9, 0, -1, s[0:1]
	v_cmp_le_u32_e64 s[0:1], s34, v8
	v_cmp_le_u32_e32 vcc, s35, v5
	v_cndmask_b32_e64 v12, 0, -1, s[0:1]
	v_cmp_eq_u32_e64 s[0:1], s35, v7
	v_cndmask_b32_e64 v11, 0, -1, vcc
	v_cmp_le_u32_e32 vcc, s34, v6
	v_cndmask_b32_e64 v7, v9, v12, s[0:1]
	v_cndmask_b32_e64 v12, 0, -1, vcc
	v_cmp_eq_u32_e32 vcc, s35, v5
	v_subrev_co_u32_e64 v9, s[0:1], s34, v8
	v_cndmask_b32_e32 v5, v11, v12, vcc
	v_cmp_ne_u32_e32 vcc, 0, v7
	v_cndmask_b32_e32 v7, v8, v9, vcc
	v_cmp_ne_u32_e32 vcc, 0, v5
	v_cndmask_b32_e32 v5, v6, v7, vcc
	v_xor_b32_e32 v5, v5, v10
	v_sub_co_u32_e32 v6, vcc, v5, v10
.LBB13_9:                               ;   in Loop: Header=BB13_3 Depth=1
	s_andn2_saveexec_b64 s[0:1], s[2:3]
	s_cbranch_execz .LBB13_11
; %bb.10:                               ;   in Loop: Header=BB13_3 Depth=1
	v_cvt_f32_u32_e32 v5, s12
	s_sub_i32 s2, 0, s12
	v_rcp_iflag_f32_e32 v5, v5
	v_mul_f32_e32 v5, 0x4f7ffffe, v5
	v_cvt_u32_f32_e32 v5, v5
	v_mul_lo_u32 v6, s2, v5
	v_mul_hi_u32 v6, v5, v6
	v_add_u32_e32 v5, v5, v6
	v_mul_hi_u32 v5, v14, v5
	v_mul_lo_u32 v5, v5, s12
	v_sub_u32_e32 v5, v14, v5
	v_subrev_u32_e32 v6, s12, v5
	v_cmp_le_u32_e32 vcc, s12, v5
	v_cndmask_b32_e32 v5, v5, v6, vcc
	v_subrev_u32_e32 v6, s12, v5
	v_cmp_le_u32_e32 vcc, s12, v5
	v_cndmask_b32_e32 v6, v5, v6, vcc
.LBB13_11:                              ;   in Loop: Header=BB13_3 Depth=1
	s_or_b64 exec, exec, s[0:1]
	v_mul_lo_u32 v8, s17, v4
	v_mad_u64_u32 v[10:11], s[0:1], s16, v6, v[8:9]
	v_mul_lo_u32 v8, s19, v4
	s_andn2_b64 vcc, exec, s[14:15]
	v_mad_u64_u32 v[8:9], s[0:1], s18, v6, v[8:9]
	s_cbranch_vccnz .LBB13_41
; %bb.12:                               ;   in Loop: Header=BB13_3 Depth=1
	v_cmp_ne_u64_e32 vcc, 0, v[2:3]
                                        ; implicit-def: $vgpr12_vgpr13
	s_and_saveexec_b64 s[0:1], vcc
	s_xor_b64 s[2:3], exec, s[0:1]
	s_cbranch_execz .LBB13_14
; %bb.13:                               ;   in Loop: Header=BB13_3 Depth=1
	s_add_u32 s0, s12, s44
	s_mov_b32 s34, s44
	s_mov_b32 s35, s44
	s_addc_u32 s1, s44, s44
	s_xor_b64 s[36:37], s[0:1], s[34:35]
	v_cvt_f32_u32_e32 v3, s36
	v_cvt_f32_u32_e32 v5, s37
	s_sub_u32 s0, 0, s36
	s_subb_u32 s1, 0, s37
	v_mac_f32_e32 v3, 0x4f800000, v5
	v_rcp_f32_e32 v3, v3
	v_mul_f32_e32 v3, 0x5f7ffffc, v3
	v_mul_f32_e32 v5, 0x2f800000, v3
	v_trunc_f32_e32 v5, v5
	v_mac_f32_e32 v3, 0xcf800000, v5
	v_cvt_u32_f32_e32 v5, v5
	v_cvt_u32_f32_e32 v3, v3
	v_mul_lo_u32 v7, s0, v5
	v_mul_hi_u32 v11, s0, v3
	v_mul_lo_u32 v9, s1, v3
	v_add_u32_e32 v7, v11, v7
	v_mul_lo_u32 v12, s0, v3
	v_add_u32_e32 v7, v7, v9
	v_mul_lo_u32 v11, v3, v7
	v_mul_hi_u32 v13, v3, v12
	v_mul_hi_u32 v9, v3, v7
	v_add_co_u32_e32 v11, vcc, v13, v11
	v_addc_co_u32_e32 v9, vcc, 0, v9, vcc
	v_mul_hi_u32 v16, v5, v12
	v_mul_lo_u32 v12, v5, v12
	v_add_co_u32_e32 v11, vcc, v11, v12
	v_mul_hi_u32 v13, v5, v7
	v_addc_co_u32_e32 v9, vcc, v9, v16, vcc
	v_addc_co_u32_e32 v11, vcc, 0, v13, vcc
	v_mul_lo_u32 v7, v5, v7
	v_add_co_u32_e32 v7, vcc, v9, v7
	v_addc_co_u32_e32 v9, vcc, 0, v11, vcc
	v_add_co_u32_e32 v3, vcc, v3, v7
	v_addc_co_u32_e32 v5, vcc, v5, v9, vcc
	v_mul_lo_u32 v7, s0, v5
	v_mul_hi_u32 v9, s0, v3
	v_add_u32_e32 v7, v9, v7
	v_mul_lo_u32 v9, s1, v3
	v_add_u32_e32 v7, v7, v9
	v_mul_lo_u32 v11, s0, v3
	v_mul_hi_u32 v12, v5, v11
	v_mul_lo_u32 v13, v5, v11
	v_mul_lo_u32 v17, v3, v7
	v_mul_hi_u32 v11, v3, v11
	v_mul_hi_u32 v16, v3, v7
	v_add_co_u32_e32 v11, vcc, v11, v17
	v_addc_co_u32_e32 v16, vcc, 0, v16, vcc
	v_add_co_u32_e32 v11, vcc, v11, v13
	v_mul_hi_u32 v9, v5, v7
	v_addc_co_u32_e32 v11, vcc, v16, v12, vcc
	v_addc_co_u32_e32 v9, vcc, 0, v9, vcc
	v_mul_lo_u32 v7, v5, v7
	v_add_co_u32_e32 v7, vcc, v11, v7
	v_addc_co_u32_e32 v9, vcc, 0, v9, vcc
	v_add_co_u32_e32 v3, vcc, v3, v7
	v_addc_co_u32_e32 v5, vcc, v5, v9, vcc
	v_ashrrev_i32_e32 v7, 31, v15
	v_add_co_u32_e32 v9, vcc, v14, v7
	v_xor_b32_e32 v9, v9, v7
	v_addc_co_u32_e32 v11, vcc, v15, v7, vcc
	v_mad_u64_u32 v[12:13], s[0:1], v9, v5, 0
	v_mul_hi_u32 v14, v9, v3
	v_xor_b32_e32 v11, v11, v7
	v_add_co_u32_e32 v16, vcc, v14, v12
	v_addc_co_u32_e32 v17, vcc, 0, v13, vcc
	v_mad_u64_u32 v[14:15], s[0:1], v11, v3, 0
	v_add_co_u32_e32 v3, vcc, v16, v14
	v_mad_u64_u32 v[12:13], s[0:1], v11, v5, 0
	v_addc_co_u32_e32 v3, vcc, v17, v15, vcc
	v_addc_co_u32_e32 v5, vcc, 0, v13, vcc
	v_add_co_u32_e32 v3, vcc, v3, v12
	v_addc_co_u32_e32 v5, vcc, 0, v5, vcc
	v_mul_lo_u32 v14, s37, v3
	v_mul_lo_u32 v15, s36, v5
	v_mad_u64_u32 v[12:13], s[0:1], s36, v3, 0
	v_add3_u32 v13, v13, v15, v14
	v_sub_u32_e32 v14, v11, v13
	v_mov_b32_e32 v15, s37
	v_sub_co_u32_e32 v9, vcc, v9, v12
	v_subb_co_u32_e64 v12, s[0:1], v14, v15, vcc
	v_subrev_co_u32_e64 v14, s[0:1], s36, v9
	v_subbrev_co_u32_e64 v12, s[0:1], 0, v12, s[0:1]
	v_cmp_le_u32_e64 s[0:1], s37, v12
	v_cndmask_b32_e64 v15, 0, -1, s[0:1]
	v_cmp_le_u32_e64 s[0:1], s36, v14
	v_cndmask_b32_e64 v14, 0, -1, s[0:1]
	v_cmp_eq_u32_e64 s[0:1], s37, v12
	v_cndmask_b32_e64 v12, v15, v14, s[0:1]
	v_add_co_u32_e64 v14, s[0:1], 2, v3
	v_subb_co_u32_e32 v11, vcc, v11, v13, vcc
	v_addc_co_u32_e64 v15, s[0:1], 0, v5, s[0:1]
	v_cmp_le_u32_e32 vcc, s37, v11
	v_add_co_u32_e64 v16, s[0:1], 1, v3
	v_cndmask_b32_e64 v13, 0, -1, vcc
	v_cmp_le_u32_e32 vcc, s36, v9
	v_addc_co_u32_e64 v17, s[0:1], 0, v5, s[0:1]
	v_cndmask_b32_e64 v9, 0, -1, vcc
	v_cmp_eq_u32_e32 vcc, s37, v11
	v_cmp_ne_u32_e64 s[0:1], 0, v12
	v_cndmask_b32_e32 v9, v13, v9, vcc
	v_cmp_ne_u32_e32 vcc, 0, v9
	v_cndmask_b32_e64 v9, v16, v14, s[0:1]
	v_cndmask_b32_e64 v12, v17, v15, s[0:1]
	v_cndmask_b32_e32 v3, v3, v9, vcc
	v_xor_b32_e32 v9, s35, v7
	v_xor_b32_e32 v7, s34, v7
	v_cndmask_b32_e32 v5, v5, v12, vcc
	v_xor_b32_e32 v3, v3, v7
	v_xor_b32_e32 v5, v5, v9
	v_sub_co_u32_e32 v12, vcc, v3, v7
	v_subb_co_u32_e32 v13, vcc, v5, v9, vcc
                                        ; implicit-def: $vgpr14_vgpr15
.LBB13_14:                              ;   in Loop: Header=BB13_3 Depth=1
	s_andn2_saveexec_b64 s[0:1], s[2:3]
	s_cbranch_execz .LBB13_16
; %bb.15:                               ;   in Loop: Header=BB13_3 Depth=1
	v_cvt_f32_u32_e32 v3, s12
	s_sub_i32 s2, 0, s12
	v_mov_b32_e32 v13, v2
	v_rcp_iflag_f32_e32 v3, v3
	v_mul_f32_e32 v3, 0x4f7ffffe, v3
	v_cvt_u32_f32_e32 v3, v3
	v_mul_lo_u32 v5, s2, v3
	v_mul_hi_u32 v5, v3, v5
	v_add_u32_e32 v3, v3, v5
	v_mul_hi_u32 v3, v14, v3
	v_mul_lo_u32 v5, v3, s12
	v_sub_u32_e32 v5, v14, v5
	v_add_u32_e32 v7, 1, v3
	v_subrev_u32_e32 v9, s12, v5
	v_cmp_le_u32_e32 vcc, s12, v5
	v_cndmask_b32_e32 v5, v5, v9, vcc
	v_cndmask_b32_e32 v3, v3, v7, vcc
	v_add_u32_e32 v7, 1, v3
	v_cmp_le_u32_e32 vcc, s12, v5
	v_cndmask_b32_e32 v12, v3, v7, vcc
.LBB13_16:                              ;   in Loop: Header=BB13_3 Depth=1
	s_or_b64 exec, exec, s[0:1]
	s_andn2_b64 vcc, exec, s[22:23]
	s_mov_b32 s52, 1
	s_mov_b32 s20, s48
	s_cbranch_vccz .LBB13_37
.LBB13_17:                              ;   in Loop: Header=BB13_3 Depth=1
	s_and_b64 vcc, exec, s[24:25]
	s_cbranch_vccz .LBB13_41
.LBB13_18:                              ;   Parent Loop BB13_3 Depth=1
                                        ; =>  This Inner Loop Header: Depth=2
	s_lshl_b64 s[2:3], s[20:21], 2
	s_add_u32 s34, s33, s2
	s_addc_u32 s35, s42, s3
	s_load_dword s52, s[34:35], 0x8
                                        ; implicit-def: $vgpr14_vgpr15
	s_waitcnt lgkmcnt(0)
	s_ashr_i32 s0, s52, 31
	v_or_b32_e32 v3, s0, v13
	v_cmp_ne_u64_e32 vcc, 0, v[2:3]
	s_and_saveexec_b64 s[36:37], vcc
	s_xor_b64 s[36:37], exec, s[36:37]
	s_cbranch_execz .LBB13_20
; %bb.19:                               ;   in Loop: Header=BB13_18 Depth=2
	s_add_u32 s40, s52, s0
	s_mov_b32 s38, s0
	s_mov_b32 s39, s0
	s_addc_u32 s41, s0, s0
	s_xor_b64 s[40:41], s[40:41], s[38:39]
	v_cvt_f32_u32_e32 v3, s40
	v_cvt_f32_u32_e32 v5, s41
	s_sub_u32 s0, 0, s40
	s_subb_u32 s1, 0, s41
	v_mac_f32_e32 v3, 0x4f800000, v5
	v_rcp_f32_e32 v3, v3
	v_mul_f32_e32 v3, 0x5f7ffffc, v3
	v_mul_f32_e32 v5, 0x2f800000, v3
	v_trunc_f32_e32 v5, v5
	v_mac_f32_e32 v3, 0xcf800000, v5
	v_cvt_u32_f32_e32 v5, v5
	v_cvt_u32_f32_e32 v3, v3
	v_mul_lo_u32 v7, s0, v5
	v_mul_hi_u32 v11, s0, v3
	v_mul_lo_u32 v9, s1, v3
	v_add_u32_e32 v7, v11, v7
	v_mul_lo_u32 v14, s0, v3
	v_add_u32_e32 v7, v7, v9
	v_mul_lo_u32 v11, v3, v7
	v_mul_hi_u32 v15, v3, v14
	v_mul_hi_u32 v9, v3, v7
	v_add_co_u32_e32 v11, vcc, v15, v11
	v_addc_co_u32_e32 v9, vcc, 0, v9, vcc
	v_mul_hi_u32 v16, v5, v14
	v_mul_lo_u32 v14, v5, v14
	v_add_co_u32_e32 v11, vcc, v11, v14
	v_mul_hi_u32 v15, v5, v7
	v_addc_co_u32_e32 v9, vcc, v9, v16, vcc
	v_addc_co_u32_e32 v11, vcc, 0, v15, vcc
	v_mul_lo_u32 v7, v5, v7
	v_add_co_u32_e32 v7, vcc, v9, v7
	v_addc_co_u32_e32 v9, vcc, 0, v11, vcc
	v_add_co_u32_e32 v3, vcc, v3, v7
	v_addc_co_u32_e32 v5, vcc, v5, v9, vcc
	v_mul_lo_u32 v7, s0, v5
	v_mul_hi_u32 v9, s0, v3
	v_add_u32_e32 v7, v9, v7
	v_mul_lo_u32 v9, s1, v3
	v_add_u32_e32 v7, v7, v9
	v_mul_lo_u32 v11, s0, v3
	v_mul_hi_u32 v14, v5, v11
	v_mul_lo_u32 v15, v5, v11
	v_mul_lo_u32 v17, v3, v7
	v_mul_hi_u32 v11, v3, v11
	v_mul_hi_u32 v16, v3, v7
	v_add_co_u32_e32 v11, vcc, v11, v17
	v_addc_co_u32_e32 v16, vcc, 0, v16, vcc
	v_add_co_u32_e32 v11, vcc, v11, v15
	v_mul_hi_u32 v9, v5, v7
	v_addc_co_u32_e32 v11, vcc, v16, v14, vcc
	v_addc_co_u32_e32 v9, vcc, 0, v9, vcc
	v_mul_lo_u32 v7, v5, v7
	v_add_co_u32_e32 v7, vcc, v11, v7
	v_addc_co_u32_e32 v9, vcc, 0, v9, vcc
	v_add_co_u32_e32 v3, vcc, v3, v7
	v_addc_co_u32_e32 v5, vcc, v5, v9, vcc
	v_ashrrev_i32_e32 v7, 31, v13
	v_add_co_u32_e32 v9, vcc, v12, v7
	v_xor_b32_e32 v9, v9, v7
	v_addc_co_u32_e32 v11, vcc, v13, v7, vcc
	v_mad_u64_u32 v[14:15], s[0:1], v9, v5, 0
	v_mul_hi_u32 v13, v9, v3
	v_xor_b32_e32 v11, v11, v7
	v_add_co_u32_e32 v13, vcc, v13, v14
	v_addc_co_u32_e32 v18, vcc, 0, v15, vcc
	v_mad_u64_u32 v[16:17], s[0:1], v11, v3, 0
	v_add_co_u32_e32 v3, vcc, v13, v16
	v_mad_u64_u32 v[14:15], s[0:1], v11, v5, 0
	v_addc_co_u32_e32 v3, vcc, v18, v17, vcc
	v_addc_co_u32_e32 v5, vcc, 0, v15, vcc
	v_add_co_u32_e32 v3, vcc, v3, v14
	v_addc_co_u32_e32 v5, vcc, 0, v5, vcc
	v_mul_lo_u32 v13, s41, v3
	v_mul_lo_u32 v16, s40, v5
	v_mad_u64_u32 v[14:15], s[0:1], s40, v3, 0
	v_add3_u32 v13, v15, v16, v13
	v_sub_u32_e32 v15, v11, v13
	v_mov_b32_e32 v16, s41
	v_sub_co_u32_e32 v9, vcc, v9, v14
	v_subb_co_u32_e64 v14, s[0:1], v15, v16, vcc
	v_subrev_co_u32_e64 v15, s[0:1], s40, v9
	v_subbrev_co_u32_e64 v14, s[0:1], 0, v14, s[0:1]
	v_cmp_le_u32_e64 s[0:1], s41, v14
	v_cndmask_b32_e64 v16, 0, -1, s[0:1]
	v_cmp_le_u32_e64 s[0:1], s40, v15
	v_cndmask_b32_e64 v15, 0, -1, s[0:1]
	v_cmp_eq_u32_e64 s[0:1], s41, v14
	v_cndmask_b32_e64 v14, v16, v15, s[0:1]
	v_add_co_u32_e64 v15, s[0:1], 2, v3
	v_subb_co_u32_e32 v11, vcc, v11, v13, vcc
	v_addc_co_u32_e64 v16, s[0:1], 0, v5, s[0:1]
	v_cmp_le_u32_e32 vcc, s41, v11
	v_add_co_u32_e64 v17, s[0:1], 1, v3
	v_cndmask_b32_e64 v13, 0, -1, vcc
	v_cmp_le_u32_e32 vcc, s40, v9
	v_addc_co_u32_e64 v18, s[0:1], 0, v5, s[0:1]
	v_cndmask_b32_e64 v9, 0, -1, vcc
	v_cmp_eq_u32_e32 vcc, s41, v11
	v_cmp_ne_u32_e64 s[0:1], 0, v14
	v_cndmask_b32_e32 v9, v13, v9, vcc
	v_cmp_ne_u32_e32 vcc, 0, v9
	v_cndmask_b32_e64 v9, v17, v15, s[0:1]
	v_cndmask_b32_e64 v14, v18, v16, s[0:1]
	v_cndmask_b32_e32 v3, v3, v9, vcc
	v_xor_b32_e32 v9, s39, v7
	v_xor_b32_e32 v7, s38, v7
	v_cndmask_b32_e32 v5, v5, v14, vcc
	v_xor_b32_e32 v3, v3, v7
	v_xor_b32_e32 v5, v5, v9
	v_sub_co_u32_e32 v14, vcc, v3, v7
	v_subb_co_u32_e32 v15, vcc, v5, v9, vcc
.LBB13_20:                              ;   in Loop: Header=BB13_18 Depth=2
	s_andn2_saveexec_b64 s[0:1], s[36:37]
	s_cbranch_execz .LBB13_22
; %bb.21:                               ;   in Loop: Header=BB13_18 Depth=2
	v_cvt_f32_u32_e32 v3, s52
	s_sub_i32 s36, 0, s52
	v_mov_b32_e32 v15, v2
	v_rcp_iflag_f32_e32 v3, v3
	v_mul_f32_e32 v3, 0x4f7ffffe, v3
	v_cvt_u32_f32_e32 v3, v3
	v_mul_lo_u32 v5, s36, v3
	v_mul_hi_u32 v5, v3, v5
	v_add_u32_e32 v3, v3, v5
	v_mul_hi_u32 v3, v12, v3
	v_mul_lo_u32 v5, v3, s52
	v_sub_u32_e32 v5, v12, v5
	v_add_u32_e32 v7, 1, v3
	v_subrev_u32_e32 v9, s52, v5
	v_cmp_le_u32_e32 vcc, s52, v5
	v_cndmask_b32_e32 v5, v5, v9, vcc
	v_cndmask_b32_e32 v3, v3, v7, vcc
	v_add_u32_e32 v7, 1, v3
	v_cmp_le_u32_e32 vcc, s52, v5
	v_cndmask_b32_e32 v14, v3, v7, vcc
.LBB13_22:                              ;   in Loop: Header=BB13_18 Depth=2
	s_or_b64 exec, exec, s[0:1]
	s_add_u32 s0, s46, s2
	s_addc_u32 s1, s47, s3
	s_add_i32 s2, s20, -1
	s_mov_b32 s3, s21
	s_lshl_b64 s[36:37], s[2:3], 2
	s_add_u32 s2, s33, s36
	s_addc_u32 s3, s42, s37
	s_load_dword s53, s[2:3], 0x8
	s_load_dword s54, s[34:35], 0x6c
	;; [unrolled: 1-line block ×3, first 2 shown]
                                        ; implicit-def: $vgpr16_vgpr17
	s_waitcnt lgkmcnt(0)
	s_ashr_i32 s0, s53, 31
	v_or_b32_e32 v3, s0, v15
	v_cmp_ne_u64_e32 vcc, 0, v[2:3]
	s_and_saveexec_b64 s[34:35], vcc
	s_xor_b64 s[34:35], exec, s[34:35]
	s_cbranch_execz .LBB13_24
; %bb.23:                               ;   in Loop: Header=BB13_18 Depth=2
	s_add_u32 s40, s53, s0
	s_mov_b32 s38, s0
	s_mov_b32 s39, s0
	s_addc_u32 s41, s0, s0
	s_xor_b64 s[40:41], s[40:41], s[38:39]
	v_cvt_f32_u32_e32 v3, s40
	v_cvt_f32_u32_e32 v5, s41
	s_sub_u32 s0, 0, s40
	s_subb_u32 s1, 0, s41
	v_mac_f32_e32 v3, 0x4f800000, v5
	v_rcp_f32_e32 v3, v3
	v_mul_f32_e32 v3, 0x5f7ffffc, v3
	v_mul_f32_e32 v5, 0x2f800000, v3
	v_trunc_f32_e32 v5, v5
	v_mac_f32_e32 v3, 0xcf800000, v5
	v_cvt_u32_f32_e32 v5, v5
	v_cvt_u32_f32_e32 v3, v3
	v_mul_lo_u32 v7, s0, v5
	v_mul_hi_u32 v11, s0, v3
	v_mul_lo_u32 v9, s1, v3
	v_add_u32_e32 v7, v11, v7
	v_mul_lo_u32 v13, s0, v3
	v_add_u32_e32 v7, v7, v9
	v_mul_lo_u32 v11, v3, v7
	v_mul_hi_u32 v16, v3, v13
	v_mul_hi_u32 v9, v3, v7
	v_add_co_u32_e32 v11, vcc, v16, v11
	v_addc_co_u32_e32 v9, vcc, 0, v9, vcc
	v_mul_hi_u32 v17, v5, v13
	v_mul_lo_u32 v13, v5, v13
	v_add_co_u32_e32 v11, vcc, v11, v13
	v_mul_hi_u32 v16, v5, v7
	v_addc_co_u32_e32 v9, vcc, v9, v17, vcc
	v_addc_co_u32_e32 v11, vcc, 0, v16, vcc
	v_mul_lo_u32 v7, v5, v7
	v_add_co_u32_e32 v7, vcc, v9, v7
	v_addc_co_u32_e32 v9, vcc, 0, v11, vcc
	v_add_co_u32_e32 v3, vcc, v3, v7
	v_addc_co_u32_e32 v5, vcc, v5, v9, vcc
	v_mul_lo_u32 v7, s0, v5
	v_mul_hi_u32 v9, s0, v3
	v_add_u32_e32 v7, v9, v7
	v_mul_lo_u32 v9, s1, v3
	v_add_u32_e32 v7, v7, v9
	v_mul_lo_u32 v11, s0, v3
	v_mul_hi_u32 v13, v5, v11
	v_mul_lo_u32 v16, v5, v11
	v_mul_lo_u32 v18, v3, v7
	v_mul_hi_u32 v11, v3, v11
	v_mul_hi_u32 v17, v3, v7
	v_add_co_u32_e32 v11, vcc, v11, v18
	v_addc_co_u32_e32 v17, vcc, 0, v17, vcc
	v_add_co_u32_e32 v11, vcc, v11, v16
	v_mul_hi_u32 v9, v5, v7
	v_addc_co_u32_e32 v11, vcc, v17, v13, vcc
	v_addc_co_u32_e32 v9, vcc, 0, v9, vcc
	v_mul_lo_u32 v7, v5, v7
	v_add_co_u32_e32 v7, vcc, v11, v7
	v_addc_co_u32_e32 v9, vcc, 0, v9, vcc
	v_add_co_u32_e32 v3, vcc, v3, v7
	v_addc_co_u32_e32 v5, vcc, v5, v9, vcc
	v_ashrrev_i32_e32 v7, 31, v15
	v_add_co_u32_e32 v9, vcc, v14, v7
	v_xor_b32_e32 v9, v9, v7
	v_addc_co_u32_e32 v11, vcc, v15, v7, vcc
	v_mad_u64_u32 v[16:17], s[0:1], v9, v5, 0
	v_mul_hi_u32 v13, v9, v3
	v_xor_b32_e32 v11, v11, v7
	v_add_co_u32_e32 v13, vcc, v13, v16
	v_addc_co_u32_e32 v15, vcc, 0, v17, vcc
	v_mad_u64_u32 v[18:19], s[0:1], v11, v3, 0
	v_add_co_u32_e32 v3, vcc, v13, v18
	v_mad_u64_u32 v[16:17], s[0:1], v11, v5, 0
	v_addc_co_u32_e32 v3, vcc, v15, v19, vcc
	v_addc_co_u32_e32 v5, vcc, 0, v17, vcc
	v_add_co_u32_e32 v3, vcc, v3, v16
	v_addc_co_u32_e32 v5, vcc, 0, v5, vcc
	v_mul_lo_u32 v13, s41, v3
	v_mul_lo_u32 v15, s40, v5
	v_mad_u64_u32 v[16:17], s[0:1], s40, v3, 0
	v_add3_u32 v13, v17, v15, v13
	v_sub_u32_e32 v15, v11, v13
	v_mov_b32_e32 v17, s41
	v_sub_co_u32_e32 v9, vcc, v9, v16
	v_subb_co_u32_e64 v15, s[0:1], v15, v17, vcc
	v_subrev_co_u32_e64 v16, s[0:1], s40, v9
	v_subbrev_co_u32_e64 v15, s[0:1], 0, v15, s[0:1]
	v_cmp_le_u32_e64 s[0:1], s41, v15
	v_cndmask_b32_e64 v17, 0, -1, s[0:1]
	v_cmp_le_u32_e64 s[0:1], s40, v16
	v_cndmask_b32_e64 v16, 0, -1, s[0:1]
	v_cmp_eq_u32_e64 s[0:1], s41, v15
	v_cndmask_b32_e64 v15, v17, v16, s[0:1]
	v_add_co_u32_e64 v16, s[0:1], 2, v3
	v_subb_co_u32_e32 v11, vcc, v11, v13, vcc
	v_addc_co_u32_e64 v17, s[0:1], 0, v5, s[0:1]
	v_cmp_le_u32_e32 vcc, s41, v11
	v_add_co_u32_e64 v18, s[0:1], 1, v3
	v_cndmask_b32_e64 v13, 0, -1, vcc
	v_cmp_le_u32_e32 vcc, s40, v9
	v_addc_co_u32_e64 v19, s[0:1], 0, v5, s[0:1]
	v_cndmask_b32_e64 v9, 0, -1, vcc
	v_cmp_eq_u32_e32 vcc, s41, v11
	v_cmp_ne_u32_e64 s[0:1], 0, v15
	v_cndmask_b32_e32 v9, v13, v9, vcc
	v_cmp_ne_u32_e32 vcc, 0, v9
	v_cndmask_b32_e64 v9, v18, v16, s[0:1]
	v_cndmask_b32_e64 v15, v19, v17, s[0:1]
	v_cndmask_b32_e32 v3, v3, v9, vcc
	v_xor_b32_e32 v9, s39, v7
	v_xor_b32_e32 v7, s38, v7
	v_cndmask_b32_e32 v5, v5, v15, vcc
	v_xor_b32_e32 v3, v3, v7
	v_xor_b32_e32 v5, v5, v9
	v_sub_co_u32_e32 v16, vcc, v3, v7
	v_subb_co_u32_e32 v17, vcc, v5, v9, vcc
.LBB13_24:                              ;   in Loop: Header=BB13_18 Depth=2
	s_andn2_saveexec_b64 s[0:1], s[34:35]
	s_cbranch_execz .LBB13_26
; %bb.25:                               ;   in Loop: Header=BB13_18 Depth=2
	v_cvt_f32_u32_e32 v3, s53
	s_sub_i32 s34, 0, s53
	v_mov_b32_e32 v17, v2
	v_rcp_iflag_f32_e32 v3, v3
	v_mul_f32_e32 v3, 0x4f7ffffe, v3
	v_cvt_u32_f32_e32 v3, v3
	v_mul_lo_u32 v5, s34, v3
	v_mul_hi_u32 v5, v3, v5
	v_add_u32_e32 v3, v3, v5
	v_mul_hi_u32 v3, v14, v3
	v_mul_lo_u32 v5, v3, s53
	v_sub_u32_e32 v5, v14, v5
	v_add_u32_e32 v7, 1, v3
	v_subrev_u32_e32 v9, s53, v5
	v_cmp_le_u32_e32 vcc, s53, v5
	v_cndmask_b32_e32 v5, v5, v9, vcc
	v_cndmask_b32_e32 v3, v3, v7, vcc
	v_add_u32_e32 v7, 1, v3
	v_cmp_le_u32_e32 vcc, s53, v5
	v_cndmask_b32_e32 v16, v3, v7, vcc
.LBB13_26:                              ;   in Loop: Header=BB13_18 Depth=2
	s_or_b64 exec, exec, s[0:1]
	s_add_u32 s0, s46, s36
	s_addc_u32 s1, s47, s37
	s_add_i32 s34, s20, -2
	s_mov_b32 s35, s21
	s_lshl_b64 s[34:35], s[34:35], 2
	s_add_u32 s36, s33, s34
	s_addc_u32 s37, s42, s35
	s_load_dword s56, s[36:37], 0x8
	s_load_dword s58, s[2:3], 0x6c
	;; [unrolled: 1-line block ×3, first 2 shown]
                                        ; implicit-def: $vgpr18_vgpr19
	s_waitcnt lgkmcnt(0)
	s_ashr_i32 s0, s56, 31
	v_or_b32_e32 v3, s0, v17
	v_cmp_ne_u64_e32 vcc, 0, v[2:3]
	s_and_saveexec_b64 s[2:3], vcc
	s_xor_b64 s[2:3], exec, s[2:3]
	s_cbranch_execz .LBB13_28
; %bb.27:                               ;   in Loop: Header=BB13_18 Depth=2
	s_add_u32 s40, s56, s0
	s_mov_b32 s38, s0
	s_mov_b32 s39, s0
	s_addc_u32 s41, s0, s0
	s_xor_b64 s[40:41], s[40:41], s[38:39]
	v_cvt_f32_u32_e32 v3, s40
	v_cvt_f32_u32_e32 v5, s41
	s_sub_u32 s0, 0, s40
	s_subb_u32 s1, 0, s41
	v_mac_f32_e32 v3, 0x4f800000, v5
	v_rcp_f32_e32 v3, v3
	v_mul_f32_e32 v3, 0x5f7ffffc, v3
	v_mul_f32_e32 v5, 0x2f800000, v3
	v_trunc_f32_e32 v5, v5
	v_mac_f32_e32 v3, 0xcf800000, v5
	v_cvt_u32_f32_e32 v5, v5
	v_cvt_u32_f32_e32 v3, v3
	v_mul_lo_u32 v7, s0, v5
	v_mul_hi_u32 v11, s0, v3
	v_mul_lo_u32 v9, s1, v3
	v_add_u32_e32 v7, v11, v7
	v_mul_lo_u32 v13, s0, v3
	v_add_u32_e32 v7, v7, v9
	v_mul_lo_u32 v11, v3, v7
	v_mul_hi_u32 v15, v3, v13
	v_mul_hi_u32 v9, v3, v7
	v_add_co_u32_e32 v11, vcc, v15, v11
	v_addc_co_u32_e32 v9, vcc, 0, v9, vcc
	v_mul_hi_u32 v18, v5, v13
	v_mul_lo_u32 v13, v5, v13
	v_add_co_u32_e32 v11, vcc, v11, v13
	v_mul_hi_u32 v15, v5, v7
	v_addc_co_u32_e32 v9, vcc, v9, v18, vcc
	v_addc_co_u32_e32 v11, vcc, 0, v15, vcc
	v_mul_lo_u32 v7, v5, v7
	v_add_co_u32_e32 v7, vcc, v9, v7
	v_addc_co_u32_e32 v9, vcc, 0, v11, vcc
	v_add_co_u32_e32 v3, vcc, v3, v7
	v_addc_co_u32_e32 v5, vcc, v5, v9, vcc
	v_mul_lo_u32 v7, s0, v5
	v_mul_hi_u32 v9, s0, v3
	v_add_u32_e32 v7, v9, v7
	v_mul_lo_u32 v9, s1, v3
	v_add_u32_e32 v7, v7, v9
	v_mul_lo_u32 v11, s0, v3
	v_mul_hi_u32 v13, v5, v11
	v_mul_lo_u32 v15, v5, v11
	v_mul_lo_u32 v19, v3, v7
	v_mul_hi_u32 v11, v3, v11
	v_mul_hi_u32 v18, v3, v7
	v_add_co_u32_e32 v11, vcc, v11, v19
	v_addc_co_u32_e32 v18, vcc, 0, v18, vcc
	v_add_co_u32_e32 v11, vcc, v11, v15
	v_mul_hi_u32 v9, v5, v7
	v_addc_co_u32_e32 v11, vcc, v18, v13, vcc
	v_addc_co_u32_e32 v9, vcc, 0, v9, vcc
	v_mul_lo_u32 v7, v5, v7
	v_add_co_u32_e32 v7, vcc, v11, v7
	v_addc_co_u32_e32 v9, vcc, 0, v9, vcc
	v_add_co_u32_e32 v3, vcc, v3, v7
	v_addc_co_u32_e32 v5, vcc, v5, v9, vcc
	v_ashrrev_i32_e32 v7, 31, v17
	v_add_co_u32_e32 v9, vcc, v16, v7
	v_xor_b32_e32 v9, v9, v7
	v_addc_co_u32_e32 v11, vcc, v17, v7, vcc
	v_mad_u64_u32 v[18:19], s[0:1], v9, v5, 0
	v_mul_hi_u32 v13, v9, v3
	v_xor_b32_e32 v11, v11, v7
	v_add_co_u32_e32 v13, vcc, v13, v18
	v_addc_co_u32_e32 v15, vcc, 0, v19, vcc
	v_mad_u64_u32 v[20:21], s[0:1], v11, v3, 0
	v_add_co_u32_e32 v3, vcc, v13, v20
	v_mad_u64_u32 v[18:19], s[0:1], v11, v5, 0
	v_addc_co_u32_e32 v3, vcc, v15, v21, vcc
	v_addc_co_u32_e32 v5, vcc, 0, v19, vcc
	v_add_co_u32_e32 v3, vcc, v3, v18
	v_addc_co_u32_e32 v5, vcc, 0, v5, vcc
	v_mul_lo_u32 v13, s41, v3
	v_mul_lo_u32 v15, s40, v5
	v_mad_u64_u32 v[18:19], s[0:1], s40, v3, 0
	v_add3_u32 v13, v19, v15, v13
	v_sub_u32_e32 v15, v11, v13
	v_mov_b32_e32 v17, s41
	v_sub_co_u32_e32 v9, vcc, v9, v18
	v_subb_co_u32_e64 v15, s[0:1], v15, v17, vcc
	v_subrev_co_u32_e64 v17, s[0:1], s40, v9
	v_subbrev_co_u32_e64 v15, s[0:1], 0, v15, s[0:1]
	v_cmp_le_u32_e64 s[0:1], s41, v15
	v_cndmask_b32_e64 v18, 0, -1, s[0:1]
	v_cmp_le_u32_e64 s[0:1], s40, v17
	v_cndmask_b32_e64 v17, 0, -1, s[0:1]
	v_cmp_eq_u32_e64 s[0:1], s41, v15
	v_cndmask_b32_e64 v15, v18, v17, s[0:1]
	v_add_co_u32_e64 v17, s[0:1], 2, v3
	v_subb_co_u32_e32 v11, vcc, v11, v13, vcc
	v_addc_co_u32_e64 v18, s[0:1], 0, v5, s[0:1]
	v_cmp_le_u32_e32 vcc, s41, v11
	v_add_co_u32_e64 v19, s[0:1], 1, v3
	v_cndmask_b32_e64 v13, 0, -1, vcc
	v_cmp_le_u32_e32 vcc, s40, v9
	v_addc_co_u32_e64 v20, s[0:1], 0, v5, s[0:1]
	v_cndmask_b32_e64 v9, 0, -1, vcc
	v_cmp_eq_u32_e32 vcc, s41, v11
	v_cmp_ne_u32_e64 s[0:1], 0, v15
	v_cndmask_b32_e32 v9, v13, v9, vcc
	v_cmp_ne_u32_e32 vcc, 0, v9
	v_cndmask_b32_e64 v9, v19, v17, s[0:1]
	v_cndmask_b32_e64 v15, v20, v18, s[0:1]
	v_cndmask_b32_e32 v3, v3, v9, vcc
	v_xor_b32_e32 v9, s39, v7
	v_xor_b32_e32 v7, s38, v7
	v_cndmask_b32_e32 v5, v5, v15, vcc
	v_xor_b32_e32 v3, v3, v7
	v_xor_b32_e32 v5, v5, v9
	v_sub_co_u32_e32 v18, vcc, v3, v7
	v_subb_co_u32_e32 v19, vcc, v5, v9, vcc
.LBB13_28:                              ;   in Loop: Header=BB13_18 Depth=2
	s_andn2_saveexec_b64 s[0:1], s[2:3]
	s_cbranch_execz .LBB13_30
; %bb.29:                               ;   in Loop: Header=BB13_18 Depth=2
	v_cvt_f32_u32_e32 v3, s56
	s_sub_i32 s2, 0, s56
	v_mov_b32_e32 v19, v2
	v_rcp_iflag_f32_e32 v3, v3
	v_mul_f32_e32 v3, 0x4f7ffffe, v3
	v_cvt_u32_f32_e32 v3, v3
	v_mul_lo_u32 v5, s2, v3
	v_mul_hi_u32 v5, v3, v5
	v_add_u32_e32 v3, v3, v5
	v_mul_hi_u32 v3, v16, v3
	v_mul_lo_u32 v5, v3, s56
	v_sub_u32_e32 v5, v16, v5
	v_add_u32_e32 v7, 1, v3
	v_subrev_u32_e32 v9, s56, v5
	v_cmp_le_u32_e32 vcc, s56, v5
	v_cndmask_b32_e32 v5, v5, v9, vcc
	v_cndmask_b32_e32 v3, v3, v7, vcc
	v_add_u32_e32 v7, 1, v3
	v_cmp_le_u32_e32 vcc, s56, v5
	v_cndmask_b32_e32 v18, v3, v7, vcc
.LBB13_30:                              ;   in Loop: Header=BB13_18 Depth=2
	s_or_b64 exec, exec, s[0:1]
	s_add_u32 s0, s46, s34
	s_addc_u32 s1, s47, s35
	s_add_i32 s2, s20, -3
	s_mov_b32 s3, s21
	s_lshl_b64 s[2:3], s[2:3], 2
	s_add_u32 s34, s33, s2
	s_addc_u32 s35, s42, s3
	s_load_dword s59, s[34:35], 0x8
	s_load_dword s60, s[36:37], 0x6c
	;; [unrolled: 1-line block ×3, first 2 shown]
                                        ; implicit-def: $vgpr20_vgpr21
	s_waitcnt lgkmcnt(0)
	s_ashr_i32 s0, s59, 31
	v_or_b32_e32 v3, s0, v19
	v_cmp_ne_u64_e32 vcc, 0, v[2:3]
	s_and_saveexec_b64 s[36:37], vcc
	s_xor_b64 s[36:37], exec, s[36:37]
	s_cbranch_execz .LBB13_32
; %bb.31:                               ;   in Loop: Header=BB13_18 Depth=2
	s_add_u32 s40, s59, s0
	s_mov_b32 s38, s0
	s_mov_b32 s39, s0
	s_addc_u32 s41, s0, s0
	s_xor_b64 s[40:41], s[40:41], s[38:39]
	v_cvt_f32_u32_e32 v3, s40
	v_cvt_f32_u32_e32 v5, s41
	s_sub_u32 s0, 0, s40
	s_subb_u32 s1, 0, s41
	v_mac_f32_e32 v3, 0x4f800000, v5
	v_rcp_f32_e32 v3, v3
	v_mul_f32_e32 v3, 0x5f7ffffc, v3
	v_mul_f32_e32 v5, 0x2f800000, v3
	v_trunc_f32_e32 v5, v5
	v_mac_f32_e32 v3, 0xcf800000, v5
	v_cvt_u32_f32_e32 v5, v5
	v_cvt_u32_f32_e32 v3, v3
	v_mul_lo_u32 v7, s0, v5
	v_mul_hi_u32 v11, s0, v3
	v_mul_lo_u32 v9, s1, v3
	v_add_u32_e32 v7, v11, v7
	v_mul_lo_u32 v13, s0, v3
	v_add_u32_e32 v7, v7, v9
	v_mul_lo_u32 v11, v3, v7
	v_mul_hi_u32 v15, v3, v13
	v_mul_hi_u32 v9, v3, v7
	v_add_co_u32_e32 v11, vcc, v15, v11
	v_addc_co_u32_e32 v9, vcc, 0, v9, vcc
	v_mul_hi_u32 v17, v5, v13
	v_mul_lo_u32 v13, v5, v13
	v_add_co_u32_e32 v11, vcc, v11, v13
	v_mul_hi_u32 v15, v5, v7
	v_addc_co_u32_e32 v9, vcc, v9, v17, vcc
	v_addc_co_u32_e32 v11, vcc, 0, v15, vcc
	v_mul_lo_u32 v7, v5, v7
	v_add_co_u32_e32 v7, vcc, v9, v7
	v_addc_co_u32_e32 v9, vcc, 0, v11, vcc
	v_add_co_u32_e32 v3, vcc, v3, v7
	v_addc_co_u32_e32 v5, vcc, v5, v9, vcc
	v_mul_lo_u32 v7, s0, v5
	v_mul_hi_u32 v9, s0, v3
	v_add_u32_e32 v7, v9, v7
	v_mul_lo_u32 v9, s1, v3
	v_add_u32_e32 v7, v7, v9
	v_mul_lo_u32 v11, s0, v3
	v_mul_hi_u32 v13, v5, v11
	v_mul_lo_u32 v15, v5, v11
	v_mul_lo_u32 v20, v3, v7
	v_mul_hi_u32 v11, v3, v11
	v_mul_hi_u32 v17, v3, v7
	v_add_co_u32_e32 v11, vcc, v11, v20
	v_addc_co_u32_e32 v17, vcc, 0, v17, vcc
	v_add_co_u32_e32 v11, vcc, v11, v15
	v_mul_hi_u32 v9, v5, v7
	v_addc_co_u32_e32 v11, vcc, v17, v13, vcc
	v_addc_co_u32_e32 v9, vcc, 0, v9, vcc
	v_mul_lo_u32 v7, v5, v7
	v_add_co_u32_e32 v7, vcc, v11, v7
	v_addc_co_u32_e32 v9, vcc, 0, v9, vcc
	v_add_co_u32_e32 v3, vcc, v3, v7
	v_addc_co_u32_e32 v5, vcc, v5, v9, vcc
	v_ashrrev_i32_e32 v7, 31, v19
	v_add_co_u32_e32 v9, vcc, v18, v7
	v_xor_b32_e32 v9, v9, v7
	v_addc_co_u32_e32 v11, vcc, v19, v7, vcc
	v_mad_u64_u32 v[20:21], s[0:1], v9, v5, 0
	v_mul_hi_u32 v13, v9, v3
	v_xor_b32_e32 v11, v11, v7
	v_add_co_u32_e32 v13, vcc, v13, v20
	v_addc_co_u32_e32 v15, vcc, 0, v21, vcc
	v_mad_u64_u32 v[24:25], s[0:1], v11, v3, 0
	v_add_co_u32_e32 v3, vcc, v13, v24
	v_mad_u64_u32 v[20:21], s[0:1], v11, v5, 0
	v_addc_co_u32_e32 v3, vcc, v15, v25, vcc
	v_addc_co_u32_e32 v5, vcc, 0, v21, vcc
	v_add_co_u32_e32 v3, vcc, v3, v20
	v_addc_co_u32_e32 v5, vcc, 0, v5, vcc
	v_mul_lo_u32 v13, s41, v3
	v_mul_lo_u32 v15, s40, v5
	v_mad_u64_u32 v[20:21], s[0:1], s40, v3, 0
	v_add3_u32 v13, v21, v15, v13
	v_sub_u32_e32 v15, v11, v13
	v_mov_b32_e32 v17, s41
	v_sub_co_u32_e32 v9, vcc, v9, v20
	v_subb_co_u32_e64 v15, s[0:1], v15, v17, vcc
	v_subrev_co_u32_e64 v17, s[0:1], s40, v9
	v_subbrev_co_u32_e64 v15, s[0:1], 0, v15, s[0:1]
	v_cmp_le_u32_e64 s[0:1], s41, v15
	v_cndmask_b32_e64 v19, 0, -1, s[0:1]
	v_cmp_le_u32_e64 s[0:1], s40, v17
	v_cndmask_b32_e64 v17, 0, -1, s[0:1]
	v_cmp_eq_u32_e64 s[0:1], s41, v15
	v_cndmask_b32_e64 v15, v19, v17, s[0:1]
	v_add_co_u32_e64 v17, s[0:1], 2, v3
	v_subb_co_u32_e32 v11, vcc, v11, v13, vcc
	v_addc_co_u32_e64 v19, s[0:1], 0, v5, s[0:1]
	v_cmp_le_u32_e32 vcc, s41, v11
	v_add_co_u32_e64 v20, s[0:1], 1, v3
	v_cndmask_b32_e64 v13, 0, -1, vcc
	v_cmp_le_u32_e32 vcc, s40, v9
	v_addc_co_u32_e64 v21, s[0:1], 0, v5, s[0:1]
	v_cndmask_b32_e64 v9, 0, -1, vcc
	v_cmp_eq_u32_e32 vcc, s41, v11
	v_cmp_ne_u32_e64 s[0:1], 0, v15
	v_cndmask_b32_e32 v9, v13, v9, vcc
	v_cmp_ne_u32_e32 vcc, 0, v9
	v_cndmask_b32_e64 v9, v20, v17, s[0:1]
	v_cndmask_b32_e64 v15, v21, v19, s[0:1]
	v_cndmask_b32_e32 v3, v3, v9, vcc
	v_xor_b32_e32 v9, s39, v7
	v_xor_b32_e32 v7, s38, v7
	v_cndmask_b32_e32 v5, v5, v15, vcc
	v_xor_b32_e32 v3, v3, v7
	v_xor_b32_e32 v5, v5, v9
	v_sub_co_u32_e32 v20, vcc, v3, v7
	v_subb_co_u32_e32 v21, vcc, v5, v9, vcc
.LBB13_32:                              ;   in Loop: Header=BB13_18 Depth=2
	s_andn2_saveexec_b64 s[0:1], s[36:37]
	s_cbranch_execz .LBB13_34
; %bb.33:                               ;   in Loop: Header=BB13_18 Depth=2
	v_cvt_f32_u32_e32 v3, s59
	s_sub_i32 s36, 0, s59
	v_mov_b32_e32 v21, v2
	v_rcp_iflag_f32_e32 v3, v3
	v_mul_f32_e32 v3, 0x4f7ffffe, v3
	v_cvt_u32_f32_e32 v3, v3
	v_mul_lo_u32 v5, s36, v3
	v_mul_hi_u32 v5, v3, v5
	v_add_u32_e32 v3, v3, v5
	v_mul_hi_u32 v3, v18, v3
	v_mul_lo_u32 v5, v3, s59
	v_sub_u32_e32 v5, v18, v5
	v_add_u32_e32 v7, 1, v3
	v_subrev_u32_e32 v9, s59, v5
	v_cmp_le_u32_e32 vcc, s59, v5
	v_cndmask_b32_e32 v5, v5, v9, vcc
	v_cndmask_b32_e32 v3, v3, v7, vcc
	v_add_u32_e32 v7, 1, v3
	v_cmp_le_u32_e32 vcc, s59, v5
	v_cndmask_b32_e32 v20, v3, v7, vcc
.LBB13_34:                              ;   in Loop: Header=BB13_18 Depth=2
	s_or_b64 exec, exec, s[0:1]
	s_add_u32 s0, s46, s2
	v_mul_lo_u32 v3, v14, s52
	v_mul_lo_u32 v7, v16, s53
	s_load_dword s2, s[34:35], 0x6c
	s_addc_u32 s1, s47, s3
	s_load_dword s0, s[0:1], 0x0
	v_sub_u32_e32 v3, v12, v3
	v_sub_u32_e32 v7, v14, v7
	v_mul_lo_u32 v5, s54, v3
	v_mul_lo_u32 v3, s55, v3
	;; [unrolled: 1-line block ×4, first 2 shown]
	v_add3_u32 v5, v5, v10, v9
	v_add3_u32 v3, v3, v8, v7
	v_mul_lo_u32 v7, v18, s56
	v_mul_lo_u32 v9, v20, s59
	v_sub_u32_e32 v7, v16, v7
	v_sub_u32_e32 v9, v18, v9
	v_mul_lo_u32 v8, s60, v7
	s_waitcnt lgkmcnt(0)
	v_mul_lo_u32 v10, s2, v9
	v_mul_lo_u32 v7, s61, v7
	v_add3_u32 v10, v8, v5, v10
	v_mul_lo_u32 v5, s0, v9
	s_add_i32 s20, s20, -4
	s_cmp_eq_u32 s20, -1
	v_add3_u32 v8, v7, v3, v5
	s_cbranch_scc1 .LBB13_41
; %bb.35:                               ;   in Loop: Header=BB13_18 Depth=2
	v_pk_mov_b32 v[12:13], v[20:21], v[20:21] op_sel:[0,1]
	s_branch .LBB13_18
.LBB13_36:                              ;   in Loop: Header=BB13_37 Depth=2
	s_or_b64 exec, exec, s[0:1]
	s_load_dword s34, s[34:35], 0x6c
	s_add_u32 s0, s46, s2
	s_addc_u32 s1, s47, s3
	s_load_dword s2, s[0:1], 0x0
	v_mul_lo_u32 v3, v12, s53
	v_sub_u32_e32 v3, v14, v3
	s_waitcnt lgkmcnt(0)
	v_mad_u64_u32 v[10:11], s[0:1], s34, v3, v[10:11]
	s_add_i32 s20, s20, -1
	s_xor_b32 s0, s51, s52
	s_add_i32 s52, s52, 1
	s_cmp_lg_u32 s0, 2
	v_mad_u64_u32 v[8:9], s[0:1], s2, v3, v[8:9]
	s_cbranch_scc0 .LBB13_17
.LBB13_37:                              ;   Parent Loop BB13_3 Depth=1
                                        ; =>  This Inner Loop Header: Depth=2
	s_lshl_b64 s[2:3], s[20:21], 2
	s_add_u32 s34, s33, s2
	s_addc_u32 s35, s42, s3
	s_load_dword s53, s[34:35], 0x8
	v_pk_mov_b32 v[14:15], v[12:13], v[12:13] op_sel:[0,1]
                                        ; implicit-def: $vgpr12_vgpr13
	s_waitcnt lgkmcnt(0)
	s_ashr_i32 s0, s53, 31
	v_or_b32_e32 v3, s0, v15
	v_cmp_ne_u64_e32 vcc, 0, v[2:3]
	s_and_saveexec_b64 s[36:37], vcc
	s_xor_b64 s[36:37], exec, s[36:37]
	s_cbranch_execz .LBB13_39
; %bb.38:                               ;   in Loop: Header=BB13_37 Depth=2
	s_add_u32 s40, s53, s0
	s_mov_b32 s38, s0
	s_mov_b32 s39, s0
	s_addc_u32 s41, s0, s0
	s_xor_b64 s[40:41], s[40:41], s[38:39]
	v_cvt_f32_u32_e32 v3, s40
	v_cvt_f32_u32_e32 v5, s41
	s_sub_u32 s0, 0, s40
	s_subb_u32 s1, 0, s41
	v_mac_f32_e32 v3, 0x4f800000, v5
	v_rcp_f32_e32 v3, v3
	v_mul_f32_e32 v3, 0x5f7ffffc, v3
	v_mul_f32_e32 v5, 0x2f800000, v3
	v_trunc_f32_e32 v5, v5
	v_mac_f32_e32 v3, 0xcf800000, v5
	v_cvt_u32_f32_e32 v5, v5
	v_cvt_u32_f32_e32 v3, v3
	v_mul_lo_u32 v7, s0, v5
	v_mul_hi_u32 v11, s0, v3
	v_mul_lo_u32 v9, s1, v3
	v_add_u32_e32 v7, v11, v7
	v_mul_lo_u32 v12, s0, v3
	v_add_u32_e32 v7, v7, v9
	v_mul_lo_u32 v11, v3, v7
	v_mul_hi_u32 v13, v3, v12
	v_mul_hi_u32 v9, v3, v7
	v_add_co_u32_e32 v11, vcc, v13, v11
	v_addc_co_u32_e32 v9, vcc, 0, v9, vcc
	v_mul_hi_u32 v16, v5, v12
	v_mul_lo_u32 v12, v5, v12
	v_add_co_u32_e32 v11, vcc, v11, v12
	v_mul_hi_u32 v13, v5, v7
	v_addc_co_u32_e32 v9, vcc, v9, v16, vcc
	v_addc_co_u32_e32 v11, vcc, 0, v13, vcc
	v_mul_lo_u32 v7, v5, v7
	v_add_co_u32_e32 v7, vcc, v9, v7
	v_addc_co_u32_e32 v9, vcc, 0, v11, vcc
	v_add_co_u32_e32 v3, vcc, v3, v7
	v_addc_co_u32_e32 v5, vcc, v5, v9, vcc
	v_mul_lo_u32 v7, s0, v5
	v_mul_hi_u32 v9, s0, v3
	v_add_u32_e32 v7, v9, v7
	v_mul_lo_u32 v9, s1, v3
	v_add_u32_e32 v7, v7, v9
	v_mul_lo_u32 v11, s0, v3
	v_mul_hi_u32 v12, v5, v11
	v_mul_lo_u32 v13, v5, v11
	v_mul_lo_u32 v17, v3, v7
	v_mul_hi_u32 v11, v3, v11
	v_mul_hi_u32 v16, v3, v7
	v_add_co_u32_e32 v11, vcc, v11, v17
	v_addc_co_u32_e32 v16, vcc, 0, v16, vcc
	v_add_co_u32_e32 v11, vcc, v11, v13
	v_mul_hi_u32 v9, v5, v7
	v_addc_co_u32_e32 v11, vcc, v16, v12, vcc
	v_addc_co_u32_e32 v9, vcc, 0, v9, vcc
	v_mul_lo_u32 v7, v5, v7
	v_add_co_u32_e32 v7, vcc, v11, v7
	v_addc_co_u32_e32 v9, vcc, 0, v9, vcc
	v_add_co_u32_e32 v3, vcc, v3, v7
	v_addc_co_u32_e32 v5, vcc, v5, v9, vcc
	v_ashrrev_i32_e32 v7, 31, v15
	v_add_co_u32_e32 v9, vcc, v14, v7
	v_xor_b32_e32 v9, v9, v7
	v_addc_co_u32_e32 v11, vcc, v15, v7, vcc
	v_mad_u64_u32 v[12:13], s[0:1], v9, v5, 0
	v_mul_hi_u32 v15, v9, v3
	v_xor_b32_e32 v11, v11, v7
	v_add_co_u32_e32 v15, vcc, v15, v12
	v_addc_co_u32_e32 v18, vcc, 0, v13, vcc
	v_mad_u64_u32 v[16:17], s[0:1], v11, v3, 0
	v_add_co_u32_e32 v3, vcc, v15, v16
	v_mad_u64_u32 v[12:13], s[0:1], v11, v5, 0
	v_addc_co_u32_e32 v3, vcc, v18, v17, vcc
	v_addc_co_u32_e32 v5, vcc, 0, v13, vcc
	v_add_co_u32_e32 v3, vcc, v3, v12
	v_addc_co_u32_e32 v5, vcc, 0, v5, vcc
	v_mul_lo_u32 v15, s41, v3
	v_mul_lo_u32 v16, s40, v5
	v_mad_u64_u32 v[12:13], s[0:1], s40, v3, 0
	v_add3_u32 v13, v13, v16, v15
	v_sub_u32_e32 v15, v11, v13
	v_mov_b32_e32 v16, s41
	v_sub_co_u32_e32 v9, vcc, v9, v12
	v_subb_co_u32_e64 v12, s[0:1], v15, v16, vcc
	v_subrev_co_u32_e64 v15, s[0:1], s40, v9
	v_subbrev_co_u32_e64 v12, s[0:1], 0, v12, s[0:1]
	v_cmp_le_u32_e64 s[0:1], s41, v12
	v_cndmask_b32_e64 v16, 0, -1, s[0:1]
	v_cmp_le_u32_e64 s[0:1], s40, v15
	v_cndmask_b32_e64 v15, 0, -1, s[0:1]
	v_cmp_eq_u32_e64 s[0:1], s41, v12
	v_cndmask_b32_e64 v12, v16, v15, s[0:1]
	v_add_co_u32_e64 v15, s[0:1], 2, v3
	v_subb_co_u32_e32 v11, vcc, v11, v13, vcc
	v_addc_co_u32_e64 v16, s[0:1], 0, v5, s[0:1]
	v_cmp_le_u32_e32 vcc, s41, v11
	v_add_co_u32_e64 v17, s[0:1], 1, v3
	v_cndmask_b32_e64 v13, 0, -1, vcc
	v_cmp_le_u32_e32 vcc, s40, v9
	v_addc_co_u32_e64 v18, s[0:1], 0, v5, s[0:1]
	v_cndmask_b32_e64 v9, 0, -1, vcc
	v_cmp_eq_u32_e32 vcc, s41, v11
	v_cmp_ne_u32_e64 s[0:1], 0, v12
	v_cndmask_b32_e32 v9, v13, v9, vcc
	v_cmp_ne_u32_e32 vcc, 0, v9
	v_cndmask_b32_e64 v9, v17, v15, s[0:1]
	v_cndmask_b32_e64 v12, v18, v16, s[0:1]
	v_cndmask_b32_e32 v3, v3, v9, vcc
	v_xor_b32_e32 v9, s39, v7
	v_xor_b32_e32 v7, s38, v7
	v_cndmask_b32_e32 v5, v5, v12, vcc
	v_xor_b32_e32 v3, v3, v7
	v_xor_b32_e32 v5, v5, v9
	v_sub_co_u32_e32 v12, vcc, v3, v7
	v_subb_co_u32_e32 v13, vcc, v5, v9, vcc
.LBB13_39:                              ;   in Loop: Header=BB13_37 Depth=2
	s_andn2_saveexec_b64 s[0:1], s[36:37]
	s_cbranch_execz .LBB13_36
; %bb.40:                               ;   in Loop: Header=BB13_37 Depth=2
	v_cvt_f32_u32_e32 v3, s53
	s_sub_i32 s36, 0, s53
	v_mov_b32_e32 v13, v2
	v_rcp_iflag_f32_e32 v3, v3
	v_mul_f32_e32 v3, 0x4f7ffffe, v3
	v_cvt_u32_f32_e32 v3, v3
	v_mul_lo_u32 v5, s36, v3
	v_mul_hi_u32 v5, v3, v5
	v_add_u32_e32 v3, v3, v5
	v_mul_hi_u32 v3, v14, v3
	v_mul_lo_u32 v5, v3, s53
	v_sub_u32_e32 v5, v14, v5
	v_add_u32_e32 v7, 1, v3
	v_subrev_u32_e32 v9, s53, v5
	v_cmp_le_u32_e32 vcc, s53, v5
	v_cndmask_b32_e32 v5, v5, v9, vcc
	v_cndmask_b32_e32 v3, v3, v7, vcc
	v_add_u32_e32 v7, 1, v3
	v_cmp_le_u32_e32 vcc, s53, v5
	v_cndmask_b32_e32 v12, v3, v7, vcc
	s_branch .LBB13_36
.LBB13_41:                              ;   in Loop: Header=BB13_3 Depth=1
	v_mov_b32_e32 v3, v4
	v_sub_u32_e32 v4, v4, v6
	v_ashrrev_i32_e32 v5, 31, v4
	v_cmp_ge_i64_e32 vcc, s[8:9], v[4:5]
                                        ; implicit-def: $vgpr4_vgpr5
                                        ; implicit-def: $vgpr12_vgpr13
	s_and_saveexec_b64 s[0:1], vcc
	s_xor_b64 s[0:1], exec, s[0:1]
	s_cbranch_execnz .LBB13_44
; %bb.42:                               ;   in Loop: Header=BB13_3 Depth=1
	s_andn2_saveexec_b64 s[0:1], s[0:1]
	s_cbranch_execnz .LBB13_49
.LBB13_43:                              ;   in Loop: Header=BB13_3 Depth=1
	s_or_b64 exec, exec, s[0:1]
	v_cmp_gt_i32_e32 vcc, s13, v3
	s_and_saveexec_b64 s[0:1], vcc
	s_cbranch_execz .LBB13_2
	s_branch .LBB13_50
.LBB13_44:                              ;   in Loop: Header=BB13_3 Depth=1
	v_pk_mov_b32 v[4:5], 0, 0
	v_cmp_gt_i32_e32 vcc, s13, v3
	v_pk_mov_b32 v[14:15], v[4:5], v[4:5] op_sel:[0,1]
	s_and_saveexec_b64 s[2:3], vcc
	s_cbranch_execz .LBB13_48
; %bb.45:                               ;   in Loop: Header=BB13_3 Depth=1
	v_ashrrev_i32_e32 v11, 31, v10
	v_lshlrev_b64 v[4:5], 3, v[10:11]
	v_mov_b32_e32 v7, s7
	v_add_co_u32_e32 v10, vcc, s6, v4
	v_addc_co_u32_e32 v11, vcc, v7, v5, vcc
	global_load_dwordx2 v[4:5], v[10:11], off
	v_add_u32_e32 v7, 1, v3
	v_cmp_gt_i32_e32 vcc, s13, v7
	v_pk_mov_b32 v[14:15], 0, 0
	s_and_saveexec_b64 s[34:35], vcc
	s_xor_b64 s[34:35], exec, s[34:35]
	s_cbranch_execz .LBB13_47
; %bb.46:                               ;   in Loop: Header=BB13_3 Depth=1
	v_mov_b32_e32 v7, s29
	v_add_co_u32_e32 v10, vcc, s28, v10
	v_addc_co_u32_e32 v11, vcc, v11, v7, vcc
	global_load_dwordx2 v[14:15], v[10:11], off
.LBB13_47:                              ;   in Loop: Header=BB13_3 Depth=1
	s_or_b64 exec, exec, s[34:35]
.LBB13_48:                              ;   in Loop: Header=BB13_3 Depth=1
	s_or_b64 exec, exec, s[2:3]
	v_sub_u32_e32 v6, v3, v6
	v_ashrrev_i32_e32 v7, 31, v6
	v_cmp_ge_i64_e32 vcc, s[8:9], v[6:7]
	s_waitcnt vmcnt(0)
	v_cndmask_b32_e32 v12, 0, v4, vcc
	v_add_u32_e32 v4, 1, v6
	v_cndmask_b32_e32 v13, 0, v5, vcc
	v_ashrrev_i32_e32 v5, 31, v4
	v_cmp_ge_i64_e32 vcc, s[8:9], v[4:5]
	v_cndmask_b32_e32 v5, 0, v15, vcc
	v_cndmask_b32_e32 v4, 0, v14, vcc
	s_andn2_saveexec_b64 s[0:1], s[0:1]
	s_cbranch_execz .LBB13_43
.LBB13_49:                              ;   in Loop: Header=BB13_3 Depth=1
	v_pk_mov_b32 v[12:13], 0, 0
	v_pk_mov_b32 v[4:5], v[12:13], v[12:13] op_sel:[0,1]
	s_or_b64 exec, exec, s[0:1]
	v_cmp_gt_i32_e32 vcc, s13, v3
	s_and_saveexec_b64 s[0:1], vcc
	s_cbranch_execz .LBB13_2
.LBB13_50:                              ;   in Loop: Header=BB13_3 Depth=1
	v_ashrrev_i32_e32 v9, 31, v8
	v_lshlrev_b64 v[6:7], 3, v[8:9]
	v_mov_b32_e32 v8, s5
	v_add_co_u32_e32 v6, vcc, s4, v6
	v_addc_co_u32_e32 v7, vcc, v8, v7, vcc
	v_add_u32_e32 v3, 1, v3
	v_cmp_gt_i32_e32 vcc, s13, v3
	global_store_dwordx2 v[6:7], v[12:13], off
	s_and_saveexec_b64 s[2:3], vcc
	s_xor_b64 s[2:3], exec, s[2:3]
	s_cbranch_execz .LBB13_2
; %bb.51:                               ;   in Loop: Header=BB13_3 Depth=1
	v_mov_b32_e32 v3, s31
	v_add_co_u32_e32 v6, vcc, s30, v6
	v_addc_co_u32_e32 v7, vcc, v7, v3, vcc
	global_store_dwordx2 v[6:7], v[4:5], off
	s_branch .LBB13_2
.LBB13_52:
	s_endpgm
	.section	.rodata,"a",@progbits
	.p2align	6, 0x0
	.amdhsa_kernel _ZN2at6native16triu_tril_kernelIliLb0ELi2ELb0EEEvNS_4cuda6detail10TensorInfoIT_T0_EENS4_IKS5_S6_EEllS6_
		.amdhsa_group_segment_fixed_size 0
		.amdhsa_private_segment_fixed_size 0
		.amdhsa_kernarg_size 712
		.amdhsa_user_sgpr_count 6
		.amdhsa_user_sgpr_private_segment_buffer 1
		.amdhsa_user_sgpr_dispatch_ptr 0
		.amdhsa_user_sgpr_queue_ptr 0
		.amdhsa_user_sgpr_kernarg_segment_ptr 1
		.amdhsa_user_sgpr_dispatch_id 0
		.amdhsa_user_sgpr_flat_scratch_init 0
		.amdhsa_user_sgpr_kernarg_preload_length 0
		.amdhsa_user_sgpr_kernarg_preload_offset 0
		.amdhsa_user_sgpr_private_segment_size 0
		.amdhsa_uses_dynamic_stack 0
		.amdhsa_system_sgpr_private_segment_wavefront_offset 0
		.amdhsa_system_sgpr_workgroup_id_x 1
		.amdhsa_system_sgpr_workgroup_id_y 0
		.amdhsa_system_sgpr_workgroup_id_z 0
		.amdhsa_system_sgpr_workgroup_info 0
		.amdhsa_system_vgpr_workitem_id 0
		.amdhsa_next_free_vgpr 26
		.amdhsa_next_free_sgpr 62
		.amdhsa_accum_offset 28
		.amdhsa_reserve_vcc 1
		.amdhsa_reserve_flat_scratch 0
		.amdhsa_float_round_mode_32 0
		.amdhsa_float_round_mode_16_64 0
		.amdhsa_float_denorm_mode_32 3
		.amdhsa_float_denorm_mode_16_64 3
		.amdhsa_dx10_clamp 1
		.amdhsa_ieee_mode 1
		.amdhsa_fp16_overflow 0
		.amdhsa_tg_split 0
		.amdhsa_exception_fp_ieee_invalid_op 0
		.amdhsa_exception_fp_denorm_src 0
		.amdhsa_exception_fp_ieee_div_zero 0
		.amdhsa_exception_fp_ieee_overflow 0
		.amdhsa_exception_fp_ieee_underflow 0
		.amdhsa_exception_fp_ieee_inexact 0
		.amdhsa_exception_int_div_zero 0
	.end_amdhsa_kernel
	.section	.text._ZN2at6native16triu_tril_kernelIliLb0ELi2ELb0EEEvNS_4cuda6detail10TensorInfoIT_T0_EENS4_IKS5_S6_EEllS6_,"axG",@progbits,_ZN2at6native16triu_tril_kernelIliLb0ELi2ELb0EEEvNS_4cuda6detail10TensorInfoIT_T0_EENS4_IKS5_S6_EEllS6_,comdat
.Lfunc_end13:
	.size	_ZN2at6native16triu_tril_kernelIliLb0ELi2ELb0EEEvNS_4cuda6detail10TensorInfoIT_T0_EENS4_IKS5_S6_EEllS6_, .Lfunc_end13-_ZN2at6native16triu_tril_kernelIliLb0ELi2ELb0EEEvNS_4cuda6detail10TensorInfoIT_T0_EENS4_IKS5_S6_EEllS6_
                                        ; -- End function
	.section	.AMDGPU.csdata,"",@progbits
; Kernel info:
; codeLenInByte = 7664
; NumSgprs: 66
; NumVgprs: 26
; NumAgprs: 0
; TotalNumVgprs: 26
; ScratchSize: 0
; MemoryBound: 0
; FloatMode: 240
; IeeeMode: 1
; LDSByteSize: 0 bytes/workgroup (compile time only)
; SGPRBlocks: 8
; VGPRBlocks: 3
; NumSGPRsForWavesPerEU: 66
; NumVGPRsForWavesPerEU: 26
; AccumOffset: 28
; Occupancy: 8
; WaveLimiterHint : 0
; COMPUTE_PGM_RSRC2:SCRATCH_EN: 0
; COMPUTE_PGM_RSRC2:USER_SGPR: 6
; COMPUTE_PGM_RSRC2:TRAP_HANDLER: 0
; COMPUTE_PGM_RSRC2:TGID_X_EN: 1
; COMPUTE_PGM_RSRC2:TGID_Y_EN: 0
; COMPUTE_PGM_RSRC2:TGID_Z_EN: 0
; COMPUTE_PGM_RSRC2:TIDIG_COMP_CNT: 0
; COMPUTE_PGM_RSRC3_GFX90A:ACCUM_OFFSET: 6
; COMPUTE_PGM_RSRC3_GFX90A:TG_SPLIT: 0
	.section	.text._ZN2at6native16triu_tril_kernelIllLb0ELi2ELb1EEEvNS_4cuda6detail10TensorInfoIT_T0_EENS4_IKS5_S6_EEllS6_,"axG",@progbits,_ZN2at6native16triu_tril_kernelIllLb0ELi2ELb1EEEvNS_4cuda6detail10TensorInfoIT_T0_EENS4_IKS5_S6_EEllS6_,comdat
	.protected	_ZN2at6native16triu_tril_kernelIllLb0ELi2ELb1EEEvNS_4cuda6detail10TensorInfoIT_T0_EENS4_IKS5_S6_EEllS6_ ; -- Begin function _ZN2at6native16triu_tril_kernelIllLb0ELi2ELb1EEEvNS_4cuda6detail10TensorInfoIT_T0_EENS4_IKS5_S6_EEllS6_
	.globl	_ZN2at6native16triu_tril_kernelIllLb0ELi2ELb1EEEvNS_4cuda6detail10TensorInfoIT_T0_EENS4_IKS5_S6_EEllS6_
	.p2align	8
	.type	_ZN2at6native16triu_tril_kernelIllLb0ELi2ELb1EEEvNS_4cuda6detail10TensorInfoIT_T0_EENS4_IKS5_S6_EEllS6_,@function
_ZN2at6native16triu_tril_kernelIllLb0ELi2ELb1EEEvNS_4cuda6detail10TensorInfoIT_T0_EENS4_IKS5_S6_EEllS6_: ; @_ZN2at6native16triu_tril_kernelIllLb0ELi2ELb1EEEvNS_4cuda6detail10TensorInfoIT_T0_EENS4_IKS5_S6_EEllS6_
; %bb.0:
	s_load_dword s2, s[4:5], 0x364
	s_load_dwordx4 s[8:11], s[4:5], 0x340
	s_add_u32 s0, s4, 0x358
	v_mov_b32_e32 v2, 0
	s_addc_u32 s1, s5, 0
	s_waitcnt lgkmcnt(0)
	s_and_b32 s12, s2, 0xffff
	v_mov_b32_e32 v1, v2
	v_mov_b32_e32 v3, s6
	v_mad_u64_u32 v[0:1], s[2:3], s12, v3, v[0:1]
	v_lshlrev_b64 v[0:1], 1, v[0:1]
	v_cmp_gt_i64_e32 vcc, s[10:11], v[0:1]
	s_and_saveexec_b64 s[2:3], vcc
	s_cbranch_execz .LBB14_23
; %bb.1:
	s_load_dword s13, s[0:1], 0x0
	s_load_dword s18, s[4:5], 0x338
	s_load_dwordx2 s[2:3], s[4:5], 0x350
	s_load_dwordx2 s[6:7], s[4:5], 0x0
	s_mov_b32 s48, 0
	s_waitcnt lgkmcnt(0)
	s_mul_i32 s20, s13, s12
	s_ashr_i32 s19, s18, 31
	s_add_u32 s24, s4, 0x1a8
	s_addc_u32 s25, s5, 0
	s_lshl_b64 s[0:1], s[18:19], 3
	s_add_u32 s16, s0, -16
	s_addc_u32 s17, s1, -1
	s_add_u32 s14, s24, s16
	s_addc_u32 s15, s25, s17
	v_cmp_gt_i64_e64 s[12:13], s[18:19], 2
	s_add_u32 s19, s0, -8
	s_addc_u32 s21, s1, -1
	s_add_u32 s26, s4, 0xd0
	s_addc_u32 s27, s5, 0
	s_add_u32 s4, s26, s19
	v_cvt_f32_u32_e32 v3, s2
	s_addc_u32 s5, s27, s21
	s_add_u32 s16, s26, s16
	s_addc_u32 s17, s27, s17
	s_add_i32 s0, s18, -3
	s_ashr_i32 s1, s0, 31
	v_rcp_iflag_f32_e32 v3, v3
	s_add_u32 s18, s24, s19
	s_addc_u32 s19, s25, s21
	s_lshl_b32 s33, s20, 1
	s_lshl_b64 s[22:23], s[0:1], 3
	s_add_u32 s20, s26, s22
	s_load_dwordx2 s[14:15], s[14:15], 0x0
	s_addc_u32 s21, s27, s23
	v_mul_f32_e32 v3, 0x4f7ffffe, v3
	s_add_u32 s22, s24, s22
	v_cvt_u32_f32_e32 v14, v3
	s_addc_u32 s23, s25, s23
	s_add_u32 s24, s0, 1
	s_addc_u32 s25, s1, 0
	s_mov_b64 s[26:27], 0
	s_branch .LBB14_3
.LBB14_2:                               ;   in Loop: Header=BB14_3 Depth=1
	s_or_b64 exec, exec, s[28:29]
	v_mov_b32_e32 v3, s48
	v_add_co_u32_e32 v0, vcc, s33, v0
	v_addc_co_u32_e32 v1, vcc, v1, v3, vcc
	v_cmp_le_i64_e32 vcc, s[10:11], v[0:1]
	s_or_b64 s[26:27], vcc, s[26:27]
	s_andn2_b64 exec, exec, s[26:27]
	s_cbranch_execz .LBB14_23
.LBB14_3:                               ; =>This Loop Header: Depth=1
                                        ;     Child Loop BB14_19 Depth 2
	v_or_b32_e32 v3, s3, v1
	v_cmp_ne_u64_e32 vcc, 0, v[2:3]
                                        ; implicit-def: $vgpr6_vgpr7
	s_and_saveexec_b64 s[0:1], vcc
	s_xor_b64 s[28:29], exec, s[0:1]
	s_cbranch_execz .LBB14_5
; %bb.4:                                ;   in Loop: Header=BB14_3 Depth=1
	s_ashr_i32 s30, s3, 31
	s_add_u32 s0, s2, s30
	s_mov_b32 s31, s30
	s_addc_u32 s1, s3, s30
	s_xor_b64 s[34:35], s[0:1], s[30:31]
	v_cvt_f32_u32_e32 v3, s34
	v_cvt_f32_u32_e32 v4, s35
	s_sub_u32 s0, 0, s34
	s_subb_u32 s1, 0, s35
	v_mac_f32_e32 v3, 0x4f800000, v4
	v_rcp_f32_e32 v3, v3
	v_mul_f32_e32 v3, 0x5f7ffffc, v3
	v_mul_f32_e32 v4, 0x2f800000, v3
	v_trunc_f32_e32 v4, v4
	v_mac_f32_e32 v3, 0xcf800000, v4
	v_cvt_u32_f32_e32 v4, v4
	v_cvt_u32_f32_e32 v3, v3
	v_mul_lo_u32 v5, s0, v4
	v_mul_hi_u32 v7, s0, v3
	v_mul_lo_u32 v6, s1, v3
	v_add_u32_e32 v5, v7, v5
	v_mul_lo_u32 v8, s0, v3
	v_add_u32_e32 v5, v5, v6
	v_mul_lo_u32 v7, v3, v5
	v_mul_hi_u32 v9, v3, v8
	v_mul_hi_u32 v6, v3, v5
	v_add_co_u32_e32 v7, vcc, v9, v7
	v_addc_co_u32_e32 v6, vcc, 0, v6, vcc
	v_mul_hi_u32 v10, v4, v8
	v_mul_lo_u32 v8, v4, v8
	v_add_co_u32_e32 v7, vcc, v7, v8
	v_mul_hi_u32 v9, v4, v5
	v_addc_co_u32_e32 v6, vcc, v6, v10, vcc
	v_addc_co_u32_e32 v7, vcc, 0, v9, vcc
	v_mul_lo_u32 v5, v4, v5
	v_add_co_u32_e32 v5, vcc, v6, v5
	v_addc_co_u32_e32 v6, vcc, 0, v7, vcc
	v_add_co_u32_e32 v3, vcc, v3, v5
	v_addc_co_u32_e32 v4, vcc, v4, v6, vcc
	v_mul_lo_u32 v5, s0, v4
	v_mul_hi_u32 v6, s0, v3
	v_add_u32_e32 v5, v6, v5
	v_mul_lo_u32 v6, s1, v3
	v_add_u32_e32 v5, v5, v6
	v_mul_lo_u32 v7, s0, v3
	v_mul_hi_u32 v8, v4, v7
	v_mul_lo_u32 v9, v4, v7
	v_mul_lo_u32 v11, v3, v5
	v_mul_hi_u32 v7, v3, v7
	v_mul_hi_u32 v10, v3, v5
	v_add_co_u32_e32 v7, vcc, v7, v11
	v_addc_co_u32_e32 v10, vcc, 0, v10, vcc
	v_add_co_u32_e32 v7, vcc, v7, v9
	v_mul_hi_u32 v6, v4, v5
	v_addc_co_u32_e32 v7, vcc, v10, v8, vcc
	v_addc_co_u32_e32 v6, vcc, 0, v6, vcc
	v_mul_lo_u32 v5, v4, v5
	v_add_co_u32_e32 v5, vcc, v7, v5
	v_addc_co_u32_e32 v6, vcc, 0, v6, vcc
	v_add_co_u32_e32 v3, vcc, v3, v5
	v_addc_co_u32_e32 v6, vcc, v4, v6, vcc
	v_ashrrev_i32_e32 v8, 31, v1
	v_add_co_u32_e32 v4, vcc, v0, v8
	v_addc_co_u32_e32 v5, vcc, v1, v8, vcc
	v_xor_b32_e32 v10, v4, v8
	v_xor_b32_e32 v9, v5, v8
	v_mad_u64_u32 v[4:5], s[0:1], v10, v6, 0
	v_mul_hi_u32 v7, v10, v3
	v_add_co_u32_e32 v11, vcc, v7, v4
	v_addc_co_u32_e32 v12, vcc, 0, v5, vcc
	v_mad_u64_u32 v[4:5], s[0:1], v9, v6, 0
	v_mad_u64_u32 v[6:7], s[0:1], v9, v3, 0
	v_add_co_u32_e32 v3, vcc, v11, v6
	v_addc_co_u32_e32 v3, vcc, v12, v7, vcc
	v_addc_co_u32_e32 v5, vcc, 0, v5, vcc
	v_add_co_u32_e32 v3, vcc, v3, v4
	v_addc_co_u32_e32 v6, vcc, 0, v5, vcc
	v_mul_lo_u32 v7, s35, v3
	v_mul_lo_u32 v11, s34, v6
	v_mad_u64_u32 v[4:5], s[0:1], s34, v3, 0
	v_add3_u32 v5, v5, v11, v7
	v_sub_u32_e32 v7, v9, v5
	v_mov_b32_e32 v11, s35
	v_sub_co_u32_e32 v4, vcc, v10, v4
	v_subb_co_u32_e64 v7, s[0:1], v7, v11, vcc
	v_subrev_co_u32_e64 v10, s[0:1], s34, v4
	v_subbrev_co_u32_e64 v7, s[0:1], 0, v7, s[0:1]
	v_cmp_le_u32_e64 s[0:1], s35, v7
	v_cndmask_b32_e64 v11, 0, -1, s[0:1]
	v_cmp_le_u32_e64 s[0:1], s34, v10
	v_cndmask_b32_e64 v10, 0, -1, s[0:1]
	v_cmp_eq_u32_e64 s[0:1], s35, v7
	v_cndmask_b32_e64 v7, v11, v10, s[0:1]
	v_add_co_u32_e64 v10, s[0:1], 2, v3
	v_subb_co_u32_e32 v5, vcc, v9, v5, vcc
	v_addc_co_u32_e64 v11, s[0:1], 0, v6, s[0:1]
	v_cmp_le_u32_e32 vcc, s35, v5
	v_add_co_u32_e64 v12, s[0:1], 1, v3
	v_cndmask_b32_e64 v9, 0, -1, vcc
	v_cmp_le_u32_e32 vcc, s34, v4
	v_addc_co_u32_e64 v13, s[0:1], 0, v6, s[0:1]
	v_cndmask_b32_e64 v4, 0, -1, vcc
	v_cmp_eq_u32_e32 vcc, s35, v5
	v_cmp_ne_u32_e64 s[0:1], 0, v7
	v_cndmask_b32_e32 v4, v9, v4, vcc
	v_cmp_ne_u32_e32 vcc, 0, v4
	v_cndmask_b32_e64 v5, v12, v10, s[0:1]
	v_cndmask_b32_e64 v7, v13, v11, s[0:1]
	v_cndmask_b32_e32 v3, v3, v5, vcc
	v_xor_b32_e32 v5, s30, v8
	v_cndmask_b32_e32 v4, v6, v7, vcc
	v_xor_b32_e32 v3, v3, v5
	v_xor_b32_e32 v4, v4, v5
	v_sub_co_u32_e32 v6, vcc, v3, v5
	v_subb_co_u32_e32 v7, vcc, v4, v5, vcc
.LBB14_5:                               ;   in Loop: Header=BB14_3 Depth=1
	s_andn2_saveexec_b64 s[0:1], s[28:29]
	s_cbranch_execz .LBB14_7
; %bb.6:                                ;   in Loop: Header=BB14_3 Depth=1
	s_sub_i32 s28, 0, s2
	v_mul_lo_u32 v3, s28, v14
	v_mul_hi_u32 v3, v14, v3
	v_add_u32_e32 v3, v14, v3
	v_mul_hi_u32 v3, v0, v3
	v_mul_lo_u32 v4, v3, s2
	v_sub_u32_e32 v4, v0, v4
	v_subrev_u32_e32 v5, s2, v4
	v_cmp_le_u32_e32 vcc, s2, v4
	v_cndmask_b32_e32 v4, v4, v5, vcc
	v_add_u32_e32 v5, 1, v3
	v_cndmask_b32_e32 v3, v3, v5, vcc
	v_add_u32_e32 v5, 1, v3
	v_cmp_le_u32_e32 vcc, s2, v4
	v_cndmask_b32_e32 v6, v3, v5, vcc
	v_mov_b32_e32 v7, v2
.LBB14_7:                               ;   in Loop: Header=BB14_3 Depth=1
	s_or_b64 exec, exec, s[0:1]
	s_waitcnt lgkmcnt(0)
	v_or_b32_e32 v3, s15, v7
	v_cmp_ne_u64_e32 vcc, 0, v[2:3]
                                        ; implicit-def: $vgpr8_vgpr9
	s_and_saveexec_b64 s[0:1], vcc
	s_xor_b64 s[28:29], exec, s[0:1]
	s_cbranch_execz .LBB14_9
; %bb.8:                                ;   in Loop: Header=BB14_3 Depth=1
	s_ashr_i32 s30, s15, 31
	s_add_u32 s0, s14, s30
	s_mov_b32 s31, s30
	s_addc_u32 s1, s15, s30
	s_xor_b64 s[34:35], s[0:1], s[30:31]
	v_cvt_f32_u32_e32 v3, s34
	v_cvt_f32_u32_e32 v4, s35
	s_sub_u32 s0, 0, s34
	s_subb_u32 s1, 0, s35
	v_mac_f32_e32 v3, 0x4f800000, v4
	v_rcp_f32_e32 v3, v3
	v_mul_f32_e32 v3, 0x5f7ffffc, v3
	v_mul_f32_e32 v4, 0x2f800000, v3
	v_trunc_f32_e32 v4, v4
	v_mac_f32_e32 v3, 0xcf800000, v4
	v_cvt_u32_f32_e32 v4, v4
	v_cvt_u32_f32_e32 v3, v3
	v_mul_lo_u32 v5, s0, v4
	v_mul_hi_u32 v9, s0, v3
	v_mul_lo_u32 v8, s1, v3
	v_add_u32_e32 v5, v9, v5
	v_mul_lo_u32 v10, s0, v3
	v_add_u32_e32 v5, v5, v8
	v_mul_lo_u32 v9, v3, v5
	v_mul_hi_u32 v11, v3, v10
	v_mul_hi_u32 v8, v3, v5
	v_add_co_u32_e32 v9, vcc, v11, v9
	v_addc_co_u32_e32 v8, vcc, 0, v8, vcc
	v_mul_hi_u32 v12, v4, v10
	v_mul_lo_u32 v10, v4, v10
	v_add_co_u32_e32 v9, vcc, v9, v10
	v_mul_hi_u32 v11, v4, v5
	v_addc_co_u32_e32 v8, vcc, v8, v12, vcc
	v_addc_co_u32_e32 v9, vcc, 0, v11, vcc
	v_mul_lo_u32 v5, v4, v5
	v_add_co_u32_e32 v5, vcc, v8, v5
	v_addc_co_u32_e32 v8, vcc, 0, v9, vcc
	v_add_co_u32_e32 v3, vcc, v3, v5
	v_addc_co_u32_e32 v4, vcc, v4, v8, vcc
	v_mul_lo_u32 v5, s0, v4
	v_mul_hi_u32 v8, s0, v3
	v_add_u32_e32 v5, v8, v5
	v_mul_lo_u32 v8, s1, v3
	v_add_u32_e32 v5, v5, v8
	v_mul_lo_u32 v9, s0, v3
	v_mul_hi_u32 v10, v4, v9
	v_mul_lo_u32 v11, v4, v9
	v_mul_lo_u32 v13, v3, v5
	v_mul_hi_u32 v9, v3, v9
	v_mul_hi_u32 v12, v3, v5
	v_add_co_u32_e32 v9, vcc, v9, v13
	v_addc_co_u32_e32 v12, vcc, 0, v12, vcc
	v_add_co_u32_e32 v9, vcc, v9, v11
	v_mul_hi_u32 v8, v4, v5
	v_addc_co_u32_e32 v9, vcc, v12, v10, vcc
	v_addc_co_u32_e32 v8, vcc, 0, v8, vcc
	v_mul_lo_u32 v5, v4, v5
	v_add_co_u32_e32 v5, vcc, v9, v5
	v_addc_co_u32_e32 v8, vcc, 0, v8, vcc
	v_add_co_u32_e32 v3, vcc, v3, v5
	v_addc_co_u32_e32 v8, vcc, v4, v8, vcc
	v_ashrrev_i32_e32 v10, 31, v7
	v_add_co_u32_e32 v4, vcc, v6, v10
	v_addc_co_u32_e32 v5, vcc, v7, v10, vcc
	v_xor_b32_e32 v12, v4, v10
	v_xor_b32_e32 v11, v5, v10
	v_mad_u64_u32 v[4:5], s[0:1], v12, v8, 0
	v_mul_hi_u32 v9, v12, v3
	v_add_co_u32_e32 v13, vcc, v9, v4
	v_addc_co_u32_e32 v15, vcc, 0, v5, vcc
	v_mad_u64_u32 v[4:5], s[0:1], v11, v8, 0
	v_mad_u64_u32 v[8:9], s[0:1], v11, v3, 0
	v_add_co_u32_e32 v3, vcc, v13, v8
	v_addc_co_u32_e32 v3, vcc, v15, v9, vcc
	v_addc_co_u32_e32 v5, vcc, 0, v5, vcc
	v_add_co_u32_e32 v3, vcc, v3, v4
	v_addc_co_u32_e32 v8, vcc, 0, v5, vcc
	v_mul_lo_u32 v9, s35, v3
	v_mul_lo_u32 v13, s34, v8
	v_mad_u64_u32 v[4:5], s[0:1], s34, v3, 0
	v_add3_u32 v5, v5, v13, v9
	v_sub_u32_e32 v9, v11, v5
	v_mov_b32_e32 v13, s35
	v_sub_co_u32_e32 v4, vcc, v12, v4
	v_subb_co_u32_e64 v9, s[0:1], v9, v13, vcc
	v_subrev_co_u32_e64 v12, s[0:1], s34, v4
	v_subbrev_co_u32_e64 v9, s[0:1], 0, v9, s[0:1]
	v_cmp_le_u32_e64 s[0:1], s35, v9
	v_cndmask_b32_e64 v13, 0, -1, s[0:1]
	v_cmp_le_u32_e64 s[0:1], s34, v12
	v_cndmask_b32_e64 v12, 0, -1, s[0:1]
	v_cmp_eq_u32_e64 s[0:1], s35, v9
	v_cndmask_b32_e64 v9, v13, v12, s[0:1]
	v_add_co_u32_e64 v12, s[0:1], 2, v3
	v_subb_co_u32_e32 v5, vcc, v11, v5, vcc
	v_addc_co_u32_e64 v13, s[0:1], 0, v8, s[0:1]
	v_cmp_le_u32_e32 vcc, s35, v5
	v_add_co_u32_e64 v15, s[0:1], 1, v3
	v_cndmask_b32_e64 v11, 0, -1, vcc
	v_cmp_le_u32_e32 vcc, s34, v4
	v_addc_co_u32_e64 v16, s[0:1], 0, v8, s[0:1]
	v_cndmask_b32_e64 v4, 0, -1, vcc
	v_cmp_eq_u32_e32 vcc, s35, v5
	v_cmp_ne_u32_e64 s[0:1], 0, v9
	v_cndmask_b32_e32 v4, v11, v4, vcc
	v_cmp_ne_u32_e32 vcc, 0, v4
	v_cndmask_b32_e64 v5, v15, v12, s[0:1]
	v_cndmask_b32_e64 v9, v16, v13, s[0:1]
	v_cndmask_b32_e32 v3, v3, v5, vcc
	v_xor_b32_e32 v5, s30, v10
	v_cndmask_b32_e32 v4, v8, v9, vcc
	v_xor_b32_e32 v3, v3, v5
	v_xor_b32_e32 v4, v4, v5
	v_sub_co_u32_e32 v8, vcc, v3, v5
	v_subb_co_u32_e32 v9, vcc, v4, v5, vcc
.LBB14_9:                               ;   in Loop: Header=BB14_3 Depth=1
	s_andn2_saveexec_b64 s[0:1], s[28:29]
	s_cbranch_execz .LBB14_11
; %bb.10:                               ;   in Loop: Header=BB14_3 Depth=1
	v_cvt_f32_u32_e32 v3, s14
	s_sub_i32 s28, 0, s14
	v_mov_b32_e32 v9, v2
	v_rcp_iflag_f32_e32 v3, v3
	v_mul_f32_e32 v3, 0x4f7ffffe, v3
	v_cvt_u32_f32_e32 v3, v3
	v_mul_lo_u32 v4, s28, v3
	v_mul_hi_u32 v4, v3, v4
	v_add_u32_e32 v3, v3, v4
	v_mul_hi_u32 v3, v6, v3
	v_mul_lo_u32 v4, v3, s14
	v_sub_u32_e32 v4, v6, v4
	v_add_u32_e32 v5, 1, v3
	v_subrev_u32_e32 v8, s14, v4
	v_cmp_le_u32_e32 vcc, s14, v4
	v_cndmask_b32_e32 v4, v4, v8, vcc
	v_cndmask_b32_e32 v3, v3, v5, vcc
	v_add_u32_e32 v5, 1, v3
	v_cmp_le_u32_e32 vcc, s14, v4
	v_cndmask_b32_e32 v8, v3, v5, vcc
.LBB14_11:                              ;   in Loop: Header=BB14_3 Depth=1
	s_or_b64 exec, exec, s[0:1]
	v_mul_lo_u32 v3, v7, s2
	v_mul_lo_u32 v10, v6, s3
	v_mad_u64_u32 v[4:5], s[0:1], v6, s2, 0
	v_add3_u32 v3, v5, v10, v3
	v_sub_co_u32_e32 v4, vcc, v0, v4
	v_subb_co_u32_e32 v5, vcc, v1, v3, vcc
	v_mul_lo_u32 v3, v9, s14
	v_mul_lo_u32 v12, v8, s15
	v_mad_u64_u32 v[10:11], s[0:1], v8, s14, 0
	v_add3_u32 v3, v11, v12, v3
	v_sub_co_u32_e32 v15, vcc, v6, v10
	v_subb_co_u32_e32 v16, vcc, v7, v3, vcc
	v_sub_co_u32_e32 v6, vcc, v4, v15
	v_subb_co_u32_e32 v7, vcc, v5, v16, vcc
	v_add_co_u32_e32 v10, vcc, 2, v6
	v_addc_co_u32_e32 v11, vcc, 0, v7, vcc
	v_cmp_lt_i64_e32 vcc, s[8:9], v[10:11]
	s_and_saveexec_b64 s[28:29], vcc
	s_cbranch_execz .LBB14_2
; %bb.12:                               ;   in Loop: Header=BB14_3 Depth=1
	s_load_dwordx2 s[30:31], s[4:5], 0x0
	s_load_dwordx2 s[0:1], s[16:17], 0x0
	s_and_b64 vcc, exec, s[12:13]
	s_mov_b64 s[36:37], s[22:23]
	s_mov_b64 s[38:39], s[20:21]
	s_waitcnt lgkmcnt(0)
	v_mul_lo_u32 v3, s31, v4
	v_mul_lo_u32 v12, s30, v5
	v_mad_u64_u32 v[10:11], s[34:35], s30, v4, 0
	v_add3_u32 v11, v11, v12, v3
	v_mad_u64_u32 v[10:11], s[34:35], s0, v15, v[10:11]
	v_mul_lo_u32 v3, s0, v16
	v_mul_lo_u32 v12, s1, v15
	v_add3_u32 v11, v12, v11, v3
	s_mov_b64 s[34:35], s[24:25]
	s_cbranch_vccnz .LBB14_19
.LBB14_13:                              ;   in Loop: Header=BB14_3 Depth=1
	s_load_dwordx2 s[0:1], s[18:19], 0x0
	s_waitcnt lgkmcnt(0)
	v_cmp_gt_i64_e32 vcc, s[0:1], v[4:5]
	s_and_b64 exec, exec, vcc
	s_cbranch_execz .LBB14_2
; %bb.14:                               ;   in Loop: Header=BB14_3 Depth=1
	v_lshlrev_b64 v[8:9], 3, v[10:11]
	v_mov_b32_e32 v3, s7
	v_add_co_u32_e32 v8, vcc, s6, v8
	v_addc_co_u32_e32 v9, vcc, v3, v9, vcc
	v_cmp_lt_i64_e32 vcc, s[8:9], v[6:7]
	s_and_saveexec_b64 s[34:35], vcc
	s_cbranch_execz .LBB14_16
; %bb.15:                               ;   in Loop: Header=BB14_3 Depth=1
	v_mov_b32_e32 v3, v2
	global_store_dwordx2 v[8:9], v[2:3], off
.LBB14_16:                              ;   in Loop: Header=BB14_3 Depth=1
	s_or_b64 exec, exec, s[34:35]
	v_add_co_u32_e32 v4, vcc, 1, v4
	v_addc_co_u32_e32 v5, vcc, 0, v5, vcc
	v_cmp_gt_i64_e32 vcc, s[0:1], v[4:5]
	v_sub_co_u32_e64 v4, s[0:1], v4, v15
	v_subb_co_u32_e64 v5, s[0:1], v5, v16, s[0:1]
	v_cmp_lt_i64_e64 s[0:1], s[8:9], v[4:5]
	s_and_b64 s[0:1], vcc, s[0:1]
	s_and_b64 exec, exec, s[0:1]
	s_cbranch_execz .LBB14_2
; %bb.17:                               ;   in Loop: Header=BB14_3 Depth=1
	s_lshl_b64 s[0:1], s[30:31], 3
	v_mov_b32_e32 v3, s1
	v_add_co_u32_e32 v4, vcc, s0, v8
	v_addc_co_u32_e32 v5, vcc, v9, v3, vcc
	v_mov_b32_e32 v3, v2
	global_store_dwordx2 v[4:5], v[2:3], off
	s_branch .LBB14_2
.LBB14_18:                              ;   in Loop: Header=BB14_19 Depth=2
	s_or_b64 exec, exec, s[0:1]
	v_mad_u64_u32 v[18:19], s[0:1], v12, s40, 0
	s_load_dwordx2 s[0:1], s[38:39], 0x0
	s_add_u32 s38, s38, -8
	s_addc_u32 s39, s39, -1
	v_mul_lo_u32 v3, v13, s40
	v_mul_lo_u32 v17, v12, s41
	s_add_u32 s36, s36, -8
	v_add3_u32 v3, v19, v17, v3
	v_sub_co_u32_e32 v8, vcc, v8, v18
	s_addc_u32 s37, s37, -1
	v_subb_co_u32_e32 v3, vcc, v9, v3, vcc
	s_add_u32 s34, s34, -1
	s_waitcnt lgkmcnt(0)
	v_mul_lo_u32 v3, s0, v3
	v_mul_lo_u32 v9, s1, v8
	v_mad_u64_u32 v[10:11], s[0:1], s0, v8, v[10:11]
	s_addc_u32 s35, s35, -1
	v_cmp_lt_i64_e64 s[0:1], s[34:35], 1
	v_add3_u32 v11, v9, v11, v3
	s_and_b64 vcc, exec, s[0:1]
	v_pk_mov_b32 v[8:9], v[12:13], v[12:13] op_sel:[0,1]
	s_cbranch_vccnz .LBB14_13
.LBB14_19:                              ;   Parent Loop BB14_3 Depth=1
                                        ; =>  This Inner Loop Header: Depth=2
	s_load_dwordx2 s[40:41], s[36:37], 0x0
                                        ; implicit-def: $vgpr12_vgpr13
	s_waitcnt lgkmcnt(0)
	v_or_b32_e32 v3, s41, v9
	v_cmp_ne_u64_e32 vcc, 0, v[2:3]
	s_and_saveexec_b64 s[0:1], vcc
	s_xor_b64 s[42:43], exec, s[0:1]
	s_cbranch_execz .LBB14_21
; %bb.20:                               ;   in Loop: Header=BB14_19 Depth=2
	s_ashr_i32 s44, s41, 31
	s_add_u32 s0, s40, s44
	s_mov_b32 s45, s44
	s_addc_u32 s1, s41, s44
	s_xor_b64 s[46:47], s[0:1], s[44:45]
	v_cvt_f32_u32_e32 v3, s46
	v_cvt_f32_u32_e32 v12, s47
	s_sub_u32 s0, 0, s46
	s_subb_u32 s1, 0, s47
	v_mac_f32_e32 v3, 0x4f800000, v12
	v_rcp_f32_e32 v3, v3
	v_mul_f32_e32 v3, 0x5f7ffffc, v3
	v_mul_f32_e32 v12, 0x2f800000, v3
	v_trunc_f32_e32 v12, v12
	v_mac_f32_e32 v3, 0xcf800000, v12
	v_cvt_u32_f32_e32 v12, v12
	v_cvt_u32_f32_e32 v3, v3
	v_mul_lo_u32 v13, s0, v12
	v_mul_hi_u32 v18, s0, v3
	v_mul_lo_u32 v17, s1, v3
	v_add_u32_e32 v13, v18, v13
	v_mul_lo_u32 v19, s0, v3
	v_add_u32_e32 v13, v13, v17
	v_mul_lo_u32 v18, v3, v13
	v_mul_hi_u32 v20, v3, v19
	v_mul_hi_u32 v17, v3, v13
	v_add_co_u32_e32 v18, vcc, v20, v18
	v_addc_co_u32_e32 v17, vcc, 0, v17, vcc
	v_mul_hi_u32 v21, v12, v19
	v_mul_lo_u32 v19, v12, v19
	v_add_co_u32_e32 v18, vcc, v18, v19
	v_mul_hi_u32 v20, v12, v13
	v_addc_co_u32_e32 v17, vcc, v17, v21, vcc
	v_addc_co_u32_e32 v18, vcc, 0, v20, vcc
	v_mul_lo_u32 v13, v12, v13
	v_add_co_u32_e32 v13, vcc, v17, v13
	v_addc_co_u32_e32 v17, vcc, 0, v18, vcc
	v_add_co_u32_e32 v3, vcc, v3, v13
	v_addc_co_u32_e32 v12, vcc, v12, v17, vcc
	v_mul_lo_u32 v13, s0, v12
	v_mul_hi_u32 v17, s0, v3
	v_add_u32_e32 v13, v17, v13
	v_mul_lo_u32 v17, s1, v3
	v_add_u32_e32 v13, v13, v17
	v_mul_lo_u32 v18, s0, v3
	v_mul_hi_u32 v19, v12, v18
	v_mul_lo_u32 v20, v12, v18
	v_mul_lo_u32 v22, v3, v13
	v_mul_hi_u32 v18, v3, v18
	v_mul_hi_u32 v21, v3, v13
	v_add_co_u32_e32 v18, vcc, v18, v22
	v_addc_co_u32_e32 v21, vcc, 0, v21, vcc
	v_add_co_u32_e32 v18, vcc, v18, v20
	v_mul_hi_u32 v17, v12, v13
	v_addc_co_u32_e32 v18, vcc, v21, v19, vcc
	v_addc_co_u32_e32 v17, vcc, 0, v17, vcc
	v_mul_lo_u32 v13, v12, v13
	v_add_co_u32_e32 v13, vcc, v18, v13
	v_addc_co_u32_e32 v17, vcc, 0, v17, vcc
	v_add_co_u32_e32 v3, vcc, v3, v13
	v_addc_co_u32_e32 v17, vcc, v12, v17, vcc
	v_ashrrev_i32_e32 v20, 31, v9
	v_add_co_u32_e32 v12, vcc, v8, v20
	v_addc_co_u32_e32 v13, vcc, v9, v20, vcc
	v_xor_b32_e32 v22, v12, v20
	v_xor_b32_e32 v21, v13, v20
	v_mad_u64_u32 v[12:13], s[0:1], v22, v17, 0
	v_mul_hi_u32 v18, v22, v3
	v_add_co_u32_e32 v23, vcc, v18, v12
	v_addc_co_u32_e32 v24, vcc, 0, v13, vcc
	v_mad_u64_u32 v[18:19], s[0:1], v21, v3, 0
	v_add_co_u32_e32 v3, vcc, v23, v18
	v_mad_u64_u32 v[12:13], s[0:1], v21, v17, 0
	v_addc_co_u32_e32 v3, vcc, v24, v19, vcc
	v_addc_co_u32_e32 v13, vcc, 0, v13, vcc
	v_add_co_u32_e32 v3, vcc, v3, v12
	v_addc_co_u32_e32 v17, vcc, 0, v13, vcc
	v_mul_lo_u32 v18, s47, v3
	v_mul_lo_u32 v19, s46, v17
	v_mad_u64_u32 v[12:13], s[0:1], s46, v3, 0
	v_add3_u32 v13, v13, v19, v18
	v_sub_u32_e32 v18, v21, v13
	v_mov_b32_e32 v19, s47
	v_sub_co_u32_e32 v12, vcc, v22, v12
	v_subb_co_u32_e64 v18, s[0:1], v18, v19, vcc
	v_subrev_co_u32_e64 v19, s[0:1], s46, v12
	v_subbrev_co_u32_e64 v18, s[0:1], 0, v18, s[0:1]
	v_cmp_le_u32_e64 s[0:1], s47, v18
	v_cndmask_b32_e64 v22, 0, -1, s[0:1]
	v_cmp_le_u32_e64 s[0:1], s46, v19
	v_cndmask_b32_e64 v19, 0, -1, s[0:1]
	v_cmp_eq_u32_e64 s[0:1], s47, v18
	v_cndmask_b32_e64 v18, v22, v19, s[0:1]
	v_add_co_u32_e64 v19, s[0:1], 2, v3
	v_subb_co_u32_e32 v13, vcc, v21, v13, vcc
	v_addc_co_u32_e64 v22, s[0:1], 0, v17, s[0:1]
	v_cmp_le_u32_e32 vcc, s47, v13
	v_add_co_u32_e64 v23, s[0:1], 1, v3
	v_cndmask_b32_e64 v21, 0, -1, vcc
	v_cmp_le_u32_e32 vcc, s46, v12
	v_addc_co_u32_e64 v24, s[0:1], 0, v17, s[0:1]
	v_cndmask_b32_e64 v12, 0, -1, vcc
	v_cmp_eq_u32_e32 vcc, s47, v13
	v_cmp_ne_u32_e64 s[0:1], 0, v18
	v_cndmask_b32_e32 v12, v21, v12, vcc
	v_cmp_ne_u32_e32 vcc, 0, v12
	v_cndmask_b32_e64 v13, v23, v19, s[0:1]
	v_cndmask_b32_e64 v18, v24, v22, s[0:1]
	v_cndmask_b32_e32 v3, v3, v13, vcc
	v_xor_b32_e32 v13, s44, v20
	v_cndmask_b32_e32 v12, v17, v18, vcc
	v_xor_b32_e32 v3, v3, v13
	v_xor_b32_e32 v17, v12, v13
	v_sub_co_u32_e32 v12, vcc, v3, v13
	v_subb_co_u32_e32 v13, vcc, v17, v13, vcc
.LBB14_21:                              ;   in Loop: Header=BB14_19 Depth=2
	s_andn2_saveexec_b64 s[0:1], s[42:43]
	s_cbranch_execz .LBB14_18
; %bb.22:                               ;   in Loop: Header=BB14_19 Depth=2
	v_cvt_f32_u32_e32 v3, s40
	s_sub_i32 s42, 0, s40
	v_rcp_iflag_f32_e32 v3, v3
	v_mul_f32_e32 v3, 0x4f7ffffe, v3
	v_cvt_u32_f32_e32 v3, v3
	v_mul_lo_u32 v12, s42, v3
	v_mul_hi_u32 v12, v3, v12
	v_add_u32_e32 v3, v3, v12
	v_mul_hi_u32 v3, v8, v3
	v_mul_lo_u32 v12, v3, s40
	v_sub_u32_e32 v12, v8, v12
	v_add_u32_e32 v13, 1, v3
	v_subrev_u32_e32 v17, s40, v12
	v_cmp_le_u32_e32 vcc, s40, v12
	v_cndmask_b32_e32 v12, v12, v17, vcc
	v_cndmask_b32_e32 v3, v3, v13, vcc
	v_add_u32_e32 v13, 1, v3
	v_cmp_le_u32_e32 vcc, s40, v12
	v_cndmask_b32_e32 v12, v3, v13, vcc
	v_mov_b32_e32 v13, v2
	s_branch .LBB14_18
.LBB14_23:
	s_endpgm
	.section	.rodata,"a",@progbits
	.p2align	6, 0x0
	.amdhsa_kernel _ZN2at6native16triu_tril_kernelIllLb0ELi2ELb1EEEvNS_4cuda6detail10TensorInfoIT_T0_EENS4_IKS5_S6_EEllS6_
		.amdhsa_group_segment_fixed_size 0
		.amdhsa_private_segment_fixed_size 0
		.amdhsa_kernarg_size 1112
		.amdhsa_user_sgpr_count 6
		.amdhsa_user_sgpr_private_segment_buffer 1
		.amdhsa_user_sgpr_dispatch_ptr 0
		.amdhsa_user_sgpr_queue_ptr 0
		.amdhsa_user_sgpr_kernarg_segment_ptr 1
		.amdhsa_user_sgpr_dispatch_id 0
		.amdhsa_user_sgpr_flat_scratch_init 0
		.amdhsa_user_sgpr_kernarg_preload_length 0
		.amdhsa_user_sgpr_kernarg_preload_offset 0
		.amdhsa_user_sgpr_private_segment_size 0
		.amdhsa_uses_dynamic_stack 0
		.amdhsa_system_sgpr_private_segment_wavefront_offset 0
		.amdhsa_system_sgpr_workgroup_id_x 1
		.amdhsa_system_sgpr_workgroup_id_y 0
		.amdhsa_system_sgpr_workgroup_id_z 0
		.amdhsa_system_sgpr_workgroup_info 0
		.amdhsa_system_vgpr_workitem_id 0
		.amdhsa_next_free_vgpr 25
		.amdhsa_next_free_sgpr 49
		.amdhsa_accum_offset 28
		.amdhsa_reserve_vcc 1
		.amdhsa_reserve_flat_scratch 0
		.amdhsa_float_round_mode_32 0
		.amdhsa_float_round_mode_16_64 0
		.amdhsa_float_denorm_mode_32 3
		.amdhsa_float_denorm_mode_16_64 3
		.amdhsa_dx10_clamp 1
		.amdhsa_ieee_mode 1
		.amdhsa_fp16_overflow 0
		.amdhsa_tg_split 0
		.amdhsa_exception_fp_ieee_invalid_op 0
		.amdhsa_exception_fp_denorm_src 0
		.amdhsa_exception_fp_ieee_div_zero 0
		.amdhsa_exception_fp_ieee_overflow 0
		.amdhsa_exception_fp_ieee_underflow 0
		.amdhsa_exception_fp_ieee_inexact 0
		.amdhsa_exception_int_div_zero 0
	.end_amdhsa_kernel
	.section	.text._ZN2at6native16triu_tril_kernelIllLb0ELi2ELb1EEEvNS_4cuda6detail10TensorInfoIT_T0_EENS4_IKS5_S6_EEllS6_,"axG",@progbits,_ZN2at6native16triu_tril_kernelIllLb0ELi2ELb1EEEvNS_4cuda6detail10TensorInfoIT_T0_EENS4_IKS5_S6_EEllS6_,comdat
.Lfunc_end14:
	.size	_ZN2at6native16triu_tril_kernelIllLb0ELi2ELb1EEEvNS_4cuda6detail10TensorInfoIT_T0_EENS4_IKS5_S6_EEllS6_, .Lfunc_end14-_ZN2at6native16triu_tril_kernelIllLb0ELi2ELb1EEEvNS_4cuda6detail10TensorInfoIT_T0_EENS4_IKS5_S6_EEllS6_
                                        ; -- End function
	.section	.AMDGPU.csdata,"",@progbits
; Kernel info:
; codeLenInByte = 3220
; NumSgprs: 53
; NumVgprs: 25
; NumAgprs: 0
; TotalNumVgprs: 25
; ScratchSize: 0
; MemoryBound: 0
; FloatMode: 240
; IeeeMode: 1
; LDSByteSize: 0 bytes/workgroup (compile time only)
; SGPRBlocks: 6
; VGPRBlocks: 3
; NumSGPRsForWavesPerEU: 53
; NumVGPRsForWavesPerEU: 25
; AccumOffset: 28
; Occupancy: 8
; WaveLimiterHint : 0
; COMPUTE_PGM_RSRC2:SCRATCH_EN: 0
; COMPUTE_PGM_RSRC2:USER_SGPR: 6
; COMPUTE_PGM_RSRC2:TRAP_HANDLER: 0
; COMPUTE_PGM_RSRC2:TGID_X_EN: 1
; COMPUTE_PGM_RSRC2:TGID_Y_EN: 0
; COMPUTE_PGM_RSRC2:TGID_Z_EN: 0
; COMPUTE_PGM_RSRC2:TIDIG_COMP_CNT: 0
; COMPUTE_PGM_RSRC3_GFX90A:ACCUM_OFFSET: 6
; COMPUTE_PGM_RSRC3_GFX90A:TG_SPLIT: 0
	.section	.text._ZN2at6native16triu_tril_kernelIllLb0ELi2ELb0EEEvNS_4cuda6detail10TensorInfoIT_T0_EENS4_IKS5_S6_EEllS6_,"axG",@progbits,_ZN2at6native16triu_tril_kernelIllLb0ELi2ELb0EEEvNS_4cuda6detail10TensorInfoIT_T0_EENS4_IKS5_S6_EEllS6_,comdat
	.protected	_ZN2at6native16triu_tril_kernelIllLb0ELi2ELb0EEEvNS_4cuda6detail10TensorInfoIT_T0_EENS4_IKS5_S6_EEllS6_ ; -- Begin function _ZN2at6native16triu_tril_kernelIllLb0ELi2ELb0EEEvNS_4cuda6detail10TensorInfoIT_T0_EENS4_IKS5_S6_EEllS6_
	.globl	_ZN2at6native16triu_tril_kernelIllLb0ELi2ELb0EEEvNS_4cuda6detail10TensorInfoIT_T0_EENS4_IKS5_S6_EEllS6_
	.p2align	8
	.type	_ZN2at6native16triu_tril_kernelIllLb0ELi2ELb0EEEvNS_4cuda6detail10TensorInfoIT_T0_EENS4_IKS5_S6_EEllS6_,@function
_ZN2at6native16triu_tril_kernelIllLb0ELi2ELb0EEEvNS_4cuda6detail10TensorInfoIT_T0_EENS4_IKS5_S6_EEllS6_: ; @_ZN2at6native16triu_tril_kernelIllLb0ELi2ELb0EEEvNS_4cuda6detail10TensorInfoIT_T0_EENS4_IKS5_S6_EEllS6_
; %bb.0:
	s_load_dword s2, s[4:5], 0x364
	s_load_dwordx4 s[8:11], s[4:5], 0x340
	s_add_u32 s0, s4, 0x358
	v_mov_b32_e32 v2, 0
	s_addc_u32 s1, s5, 0
	s_waitcnt lgkmcnt(0)
	s_and_b32 s7, s2, 0xffff
	v_mov_b32_e32 v1, v2
	v_mov_b32_e32 v3, s6
	v_mad_u64_u32 v[0:1], s[2:3], s7, v3, v[0:1]
	v_lshlrev_b64 v[0:1], 1, v[0:1]
	v_cmp_gt_i64_e32 vcc, s[10:11], v[0:1]
	s_and_saveexec_b64 s[2:3], vcc
	s_cbranch_execz .LBB15_26
; %bb.1:
	s_load_dword s6, s[0:1], 0x0
	s_load_dwordx2 s[2:3], s[4:5], 0x350
	s_load_dword s26, s[4:5], 0x338
	s_add_u32 s12, s4, 0x1a0
	s_addc_u32 s13, s5, 0
	s_waitcnt lgkmcnt(0)
	s_mul_i32 s28, s6, s7
	v_cvt_f32_u32_e32 v3, s2
	s_ashr_i32 s27, s26, 31
	s_add_u32 s30, s4, 0x1a8
	s_addc_u32 s31, s5, 0
	s_lshl_b64 s[0:1], s[26:27], 3
	s_add_u32 s22, s0, -16
	s_addc_u32 s23, s1, -1
	s_add_u32 s0, s30, s22
	s_addc_u32 s1, s31, s23
	s_add_u32 s20, s12, s22
	s_addc_u32 s21, s13, s23
	v_cmp_gt_i64_e64 s[24:25], s[26:27], 2
	s_add_u32 s27, s4, 0xd0
	s_addc_u32 s34, s5, 0
	s_load_dwordx4 s[12:15], s[0:1], 0x0
	s_load_dwordx4 s[16:19], s[20:21], 0xd0
	s_add_u32 s0, s27, s22
	s_addc_u32 s1, s34, s23
	s_load_dwordx2 s[6:7], s[4:5], 0x1a0
	s_load_dwordx4 s[20:23], s[0:1], 0x0
	v_rcp_iflag_f32_e32 v3, v3
	s_load_dwordx2 s[4:5], s[4:5], 0x0
	s_add_i32 s0, s26, -3
	s_ashr_i32 s1, s0, 31
	s_lshl_b32 s33, s28, 1
	s_lshl_b64 s[28:29], s[0:1], 3
	s_add_u32 s26, s27, s28
	s_addc_u32 s27, s34, s29
	v_mul_f32_e32 v3, 0x4f7ffffe, v3
	s_add_u32 s28, s30, s28
	v_cvt_u32_f32_e32 v16, v3
	s_addc_u32 s29, s31, s29
	s_add_u32 s30, s0, 1
	s_mov_b32 s50, 0
	s_addc_u32 s31, s1, 0
	s_mov_b64 s[34:35], 0
	s_branch .LBB15_3
.LBB15_2:                               ;   in Loop: Header=BB15_3 Depth=1
	s_or_b64 exec, exec, s[0:1]
	v_mov_b32_e32 v3, s50
	v_add_co_u32_e32 v0, vcc, s33, v0
	v_addc_co_u32_e32 v1, vcc, v1, v3, vcc
	v_cmp_le_i64_e32 vcc, s[10:11], v[0:1]
	s_or_b64 s[34:35], vcc, s[34:35]
	s_andn2_b64 exec, exec, s[34:35]
	s_cbranch_execz .LBB15_26
.LBB15_3:                               ; =>This Loop Header: Depth=1
                                        ;     Child Loop BB15_22 Depth 2
	v_or_b32_e32 v3, s3, v1
	v_cmp_ne_u64_e32 vcc, 0, v[2:3]
                                        ; implicit-def: $vgpr6_vgpr7
	s_and_saveexec_b64 s[0:1], vcc
	s_xor_b64 s[36:37], exec, s[0:1]
	s_cbranch_execz .LBB15_5
; %bb.4:                                ;   in Loop: Header=BB15_3 Depth=1
	s_ashr_i32 s38, s3, 31
	s_add_u32 s0, s2, s38
	s_mov_b32 s39, s38
	s_addc_u32 s1, s3, s38
	s_xor_b64 s[40:41], s[0:1], s[38:39]
	v_cvt_f32_u32_e32 v3, s40
	v_cvt_f32_u32_e32 v4, s41
	s_sub_u32 s0, 0, s40
	s_subb_u32 s1, 0, s41
	v_mac_f32_e32 v3, 0x4f800000, v4
	v_rcp_f32_e32 v3, v3
	v_mul_f32_e32 v3, 0x5f7ffffc, v3
	v_mul_f32_e32 v4, 0x2f800000, v3
	v_trunc_f32_e32 v4, v4
	v_mac_f32_e32 v3, 0xcf800000, v4
	v_cvt_u32_f32_e32 v4, v4
	v_cvt_u32_f32_e32 v3, v3
	v_mul_lo_u32 v5, s0, v4
	v_mul_hi_u32 v7, s0, v3
	v_mul_lo_u32 v6, s1, v3
	v_add_u32_e32 v5, v7, v5
	v_mul_lo_u32 v8, s0, v3
	v_add_u32_e32 v5, v5, v6
	v_mul_lo_u32 v7, v3, v5
	v_mul_hi_u32 v9, v3, v8
	v_mul_hi_u32 v6, v3, v5
	v_add_co_u32_e32 v7, vcc, v9, v7
	v_addc_co_u32_e32 v6, vcc, 0, v6, vcc
	v_mul_hi_u32 v10, v4, v8
	v_mul_lo_u32 v8, v4, v8
	v_add_co_u32_e32 v7, vcc, v7, v8
	v_mul_hi_u32 v9, v4, v5
	v_addc_co_u32_e32 v6, vcc, v6, v10, vcc
	v_addc_co_u32_e32 v7, vcc, 0, v9, vcc
	v_mul_lo_u32 v5, v4, v5
	v_add_co_u32_e32 v5, vcc, v6, v5
	v_addc_co_u32_e32 v6, vcc, 0, v7, vcc
	v_add_co_u32_e32 v3, vcc, v3, v5
	v_addc_co_u32_e32 v4, vcc, v4, v6, vcc
	v_mul_lo_u32 v5, s0, v4
	v_mul_hi_u32 v6, s0, v3
	v_add_u32_e32 v5, v6, v5
	v_mul_lo_u32 v6, s1, v3
	v_add_u32_e32 v5, v5, v6
	v_mul_lo_u32 v7, s0, v3
	v_mul_hi_u32 v8, v4, v7
	v_mul_lo_u32 v9, v4, v7
	v_mul_lo_u32 v11, v3, v5
	v_mul_hi_u32 v7, v3, v7
	v_mul_hi_u32 v10, v3, v5
	v_add_co_u32_e32 v7, vcc, v7, v11
	v_addc_co_u32_e32 v10, vcc, 0, v10, vcc
	v_add_co_u32_e32 v7, vcc, v7, v9
	v_mul_hi_u32 v6, v4, v5
	v_addc_co_u32_e32 v7, vcc, v10, v8, vcc
	v_addc_co_u32_e32 v6, vcc, 0, v6, vcc
	v_mul_lo_u32 v5, v4, v5
	v_add_co_u32_e32 v5, vcc, v7, v5
	v_addc_co_u32_e32 v6, vcc, 0, v6, vcc
	v_add_co_u32_e32 v3, vcc, v3, v5
	v_addc_co_u32_e32 v6, vcc, v4, v6, vcc
	v_ashrrev_i32_e32 v8, 31, v1
	v_add_co_u32_e32 v4, vcc, v0, v8
	v_addc_co_u32_e32 v5, vcc, v1, v8, vcc
	v_xor_b32_e32 v10, v4, v8
	v_xor_b32_e32 v9, v5, v8
	v_mad_u64_u32 v[4:5], s[0:1], v10, v6, 0
	v_mul_hi_u32 v7, v10, v3
	v_add_co_u32_e32 v11, vcc, v7, v4
	v_addc_co_u32_e32 v12, vcc, 0, v5, vcc
	v_mad_u64_u32 v[4:5], s[0:1], v9, v6, 0
	v_mad_u64_u32 v[6:7], s[0:1], v9, v3, 0
	v_add_co_u32_e32 v3, vcc, v11, v6
	v_addc_co_u32_e32 v3, vcc, v12, v7, vcc
	v_addc_co_u32_e32 v5, vcc, 0, v5, vcc
	v_add_co_u32_e32 v3, vcc, v3, v4
	v_addc_co_u32_e32 v6, vcc, 0, v5, vcc
	v_mul_lo_u32 v7, s41, v3
	v_mul_lo_u32 v11, s40, v6
	v_mad_u64_u32 v[4:5], s[0:1], s40, v3, 0
	v_add3_u32 v5, v5, v11, v7
	v_sub_u32_e32 v7, v9, v5
	v_mov_b32_e32 v11, s41
	v_sub_co_u32_e32 v4, vcc, v10, v4
	v_subb_co_u32_e64 v7, s[0:1], v7, v11, vcc
	v_subrev_co_u32_e64 v10, s[0:1], s40, v4
	v_subbrev_co_u32_e64 v7, s[0:1], 0, v7, s[0:1]
	v_cmp_le_u32_e64 s[0:1], s41, v7
	v_cndmask_b32_e64 v11, 0, -1, s[0:1]
	v_cmp_le_u32_e64 s[0:1], s40, v10
	v_cndmask_b32_e64 v10, 0, -1, s[0:1]
	v_cmp_eq_u32_e64 s[0:1], s41, v7
	v_cndmask_b32_e64 v7, v11, v10, s[0:1]
	v_add_co_u32_e64 v10, s[0:1], 2, v3
	v_subb_co_u32_e32 v5, vcc, v9, v5, vcc
	v_addc_co_u32_e64 v11, s[0:1], 0, v6, s[0:1]
	v_cmp_le_u32_e32 vcc, s41, v5
	v_add_co_u32_e64 v12, s[0:1], 1, v3
	v_cndmask_b32_e64 v9, 0, -1, vcc
	v_cmp_le_u32_e32 vcc, s40, v4
	v_addc_co_u32_e64 v13, s[0:1], 0, v6, s[0:1]
	v_cndmask_b32_e64 v4, 0, -1, vcc
	v_cmp_eq_u32_e32 vcc, s41, v5
	v_cmp_ne_u32_e64 s[0:1], 0, v7
	v_cndmask_b32_e32 v4, v9, v4, vcc
	v_cmp_ne_u32_e32 vcc, 0, v4
	v_cndmask_b32_e64 v5, v12, v10, s[0:1]
	v_cndmask_b32_e64 v7, v13, v11, s[0:1]
	v_cndmask_b32_e32 v3, v3, v5, vcc
	v_xor_b32_e32 v5, s38, v8
	v_cndmask_b32_e32 v4, v6, v7, vcc
	v_xor_b32_e32 v3, v3, v5
	v_xor_b32_e32 v4, v4, v5
	v_sub_co_u32_e32 v6, vcc, v3, v5
	v_subb_co_u32_e32 v7, vcc, v4, v5, vcc
.LBB15_5:                               ;   in Loop: Header=BB15_3 Depth=1
	s_andn2_saveexec_b64 s[0:1], s[36:37]
	s_cbranch_execz .LBB15_7
; %bb.6:                                ;   in Loop: Header=BB15_3 Depth=1
	s_sub_i32 s36, 0, s2
	v_mul_lo_u32 v3, s36, v16
	v_mul_hi_u32 v3, v16, v3
	v_add_u32_e32 v3, v16, v3
	v_mul_hi_u32 v3, v0, v3
	v_mul_lo_u32 v4, v3, s2
	v_sub_u32_e32 v4, v0, v4
	v_subrev_u32_e32 v5, s2, v4
	v_cmp_le_u32_e32 vcc, s2, v4
	v_cndmask_b32_e32 v4, v4, v5, vcc
	v_add_u32_e32 v5, 1, v3
	v_cndmask_b32_e32 v3, v3, v5, vcc
	v_add_u32_e32 v5, 1, v3
	v_cmp_le_u32_e32 vcc, s2, v4
	v_cndmask_b32_e32 v6, v3, v5, vcc
	v_mov_b32_e32 v7, v2
.LBB15_7:                               ;   in Loop: Header=BB15_3 Depth=1
	s_or_b64 exec, exec, s[0:1]
	s_waitcnt lgkmcnt(0)
	v_or_b32_e32 v3, s13, v7
	v_cmp_ne_u64_e32 vcc, 0, v[2:3]
                                        ; implicit-def: $vgpr10_vgpr11
	s_and_saveexec_b64 s[0:1], vcc
	s_xor_b64 s[36:37], exec, s[0:1]
	s_cbranch_execz .LBB15_9
; %bb.8:                                ;   in Loop: Header=BB15_3 Depth=1
	s_ashr_i32 s38, s13, 31
	s_add_u32 s0, s12, s38
	s_mov_b32 s39, s38
	s_addc_u32 s1, s13, s38
	s_xor_b64 s[40:41], s[0:1], s[38:39]
	v_cvt_f32_u32_e32 v3, s40
	v_cvt_f32_u32_e32 v4, s41
	s_sub_u32 s0, 0, s40
	s_subb_u32 s1, 0, s41
	v_mac_f32_e32 v3, 0x4f800000, v4
	v_rcp_f32_e32 v3, v3
	v_mul_f32_e32 v3, 0x5f7ffffc, v3
	v_mul_f32_e32 v4, 0x2f800000, v3
	v_trunc_f32_e32 v4, v4
	v_mac_f32_e32 v3, 0xcf800000, v4
	v_cvt_u32_f32_e32 v4, v4
	v_cvt_u32_f32_e32 v3, v3
	v_mul_lo_u32 v5, s0, v4
	v_mul_hi_u32 v9, s0, v3
	v_mul_lo_u32 v8, s1, v3
	v_add_u32_e32 v5, v9, v5
	v_mul_lo_u32 v10, s0, v3
	v_add_u32_e32 v5, v5, v8
	v_mul_lo_u32 v9, v3, v5
	v_mul_hi_u32 v11, v3, v10
	v_mul_hi_u32 v8, v3, v5
	v_add_co_u32_e32 v9, vcc, v11, v9
	v_addc_co_u32_e32 v8, vcc, 0, v8, vcc
	v_mul_hi_u32 v12, v4, v10
	v_mul_lo_u32 v10, v4, v10
	v_add_co_u32_e32 v9, vcc, v9, v10
	v_mul_hi_u32 v11, v4, v5
	v_addc_co_u32_e32 v8, vcc, v8, v12, vcc
	v_addc_co_u32_e32 v9, vcc, 0, v11, vcc
	v_mul_lo_u32 v5, v4, v5
	v_add_co_u32_e32 v5, vcc, v8, v5
	v_addc_co_u32_e32 v8, vcc, 0, v9, vcc
	v_add_co_u32_e32 v3, vcc, v3, v5
	v_addc_co_u32_e32 v4, vcc, v4, v8, vcc
	v_mul_lo_u32 v5, s0, v4
	v_mul_hi_u32 v8, s0, v3
	v_add_u32_e32 v5, v8, v5
	v_mul_lo_u32 v8, s1, v3
	v_add_u32_e32 v5, v5, v8
	v_mul_lo_u32 v9, s0, v3
	v_mul_hi_u32 v10, v4, v9
	v_mul_lo_u32 v11, v4, v9
	v_mul_lo_u32 v13, v3, v5
	v_mul_hi_u32 v9, v3, v9
	v_mul_hi_u32 v12, v3, v5
	v_add_co_u32_e32 v9, vcc, v9, v13
	v_addc_co_u32_e32 v12, vcc, 0, v12, vcc
	v_add_co_u32_e32 v9, vcc, v9, v11
	v_mul_hi_u32 v8, v4, v5
	v_addc_co_u32_e32 v9, vcc, v12, v10, vcc
	v_addc_co_u32_e32 v8, vcc, 0, v8, vcc
	v_mul_lo_u32 v5, v4, v5
	v_add_co_u32_e32 v5, vcc, v9, v5
	v_addc_co_u32_e32 v8, vcc, 0, v8, vcc
	v_add_co_u32_e32 v3, vcc, v3, v5
	v_addc_co_u32_e32 v8, vcc, v4, v8, vcc
	v_ashrrev_i32_e32 v10, 31, v7
	v_add_co_u32_e32 v4, vcc, v6, v10
	v_addc_co_u32_e32 v5, vcc, v7, v10, vcc
	v_xor_b32_e32 v12, v4, v10
	v_xor_b32_e32 v11, v5, v10
	v_mad_u64_u32 v[4:5], s[0:1], v12, v8, 0
	v_mul_hi_u32 v9, v12, v3
	v_add_co_u32_e32 v13, vcc, v9, v4
	v_addc_co_u32_e32 v14, vcc, 0, v5, vcc
	v_mad_u64_u32 v[4:5], s[0:1], v11, v8, 0
	v_mad_u64_u32 v[8:9], s[0:1], v11, v3, 0
	v_add_co_u32_e32 v3, vcc, v13, v8
	v_addc_co_u32_e32 v3, vcc, v14, v9, vcc
	v_addc_co_u32_e32 v5, vcc, 0, v5, vcc
	v_add_co_u32_e32 v3, vcc, v3, v4
	v_addc_co_u32_e32 v8, vcc, 0, v5, vcc
	v_mul_lo_u32 v9, s41, v3
	v_mul_lo_u32 v13, s40, v8
	v_mad_u64_u32 v[4:5], s[0:1], s40, v3, 0
	v_add3_u32 v5, v5, v13, v9
	v_sub_u32_e32 v9, v11, v5
	v_mov_b32_e32 v13, s41
	v_sub_co_u32_e32 v4, vcc, v12, v4
	v_subb_co_u32_e64 v9, s[0:1], v9, v13, vcc
	v_subrev_co_u32_e64 v12, s[0:1], s40, v4
	v_subbrev_co_u32_e64 v9, s[0:1], 0, v9, s[0:1]
	v_cmp_le_u32_e64 s[0:1], s41, v9
	v_cndmask_b32_e64 v13, 0, -1, s[0:1]
	v_cmp_le_u32_e64 s[0:1], s40, v12
	v_cndmask_b32_e64 v12, 0, -1, s[0:1]
	v_cmp_eq_u32_e64 s[0:1], s41, v9
	v_cndmask_b32_e64 v9, v13, v12, s[0:1]
	v_add_co_u32_e64 v12, s[0:1], 2, v3
	v_subb_co_u32_e32 v5, vcc, v11, v5, vcc
	v_addc_co_u32_e64 v13, s[0:1], 0, v8, s[0:1]
	v_cmp_le_u32_e32 vcc, s41, v5
	v_add_co_u32_e64 v14, s[0:1], 1, v3
	v_cndmask_b32_e64 v11, 0, -1, vcc
	v_cmp_le_u32_e32 vcc, s40, v4
	v_addc_co_u32_e64 v15, s[0:1], 0, v8, s[0:1]
	v_cndmask_b32_e64 v4, 0, -1, vcc
	v_cmp_eq_u32_e32 vcc, s41, v5
	v_cmp_ne_u32_e64 s[0:1], 0, v9
	v_cndmask_b32_e32 v4, v11, v4, vcc
	v_cmp_ne_u32_e32 vcc, 0, v4
	v_cndmask_b32_e64 v5, v14, v12, s[0:1]
	v_cndmask_b32_e64 v9, v15, v13, s[0:1]
	v_cndmask_b32_e32 v3, v3, v5, vcc
	v_xor_b32_e32 v5, s38, v10
	v_cndmask_b32_e32 v4, v8, v9, vcc
	v_xor_b32_e32 v3, v3, v5
	v_xor_b32_e32 v4, v4, v5
	v_sub_co_u32_e32 v10, vcc, v3, v5
	v_subb_co_u32_e32 v11, vcc, v4, v5, vcc
.LBB15_9:                               ;   in Loop: Header=BB15_3 Depth=1
	s_andn2_saveexec_b64 s[0:1], s[36:37]
	s_cbranch_execz .LBB15_11
; %bb.10:                               ;   in Loop: Header=BB15_3 Depth=1
	v_cvt_f32_u32_e32 v3, s12
	s_sub_i32 s36, 0, s12
	v_mov_b32_e32 v11, v2
	v_rcp_iflag_f32_e32 v3, v3
	v_mul_f32_e32 v3, 0x4f7ffffe, v3
	v_cvt_u32_f32_e32 v3, v3
	v_mul_lo_u32 v4, s36, v3
	v_mul_hi_u32 v4, v3, v4
	v_add_u32_e32 v3, v3, v4
	v_mul_hi_u32 v3, v6, v3
	v_mul_lo_u32 v4, v3, s12
	v_sub_u32_e32 v4, v6, v4
	v_add_u32_e32 v5, 1, v3
	v_subrev_u32_e32 v8, s12, v4
	v_cmp_le_u32_e32 vcc, s12, v4
	v_cndmask_b32_e32 v4, v4, v8, vcc
	v_cndmask_b32_e32 v3, v3, v5, vcc
	v_add_u32_e32 v5, 1, v3
	v_cmp_le_u32_e32 vcc, s12, v4
	v_cndmask_b32_e32 v10, v3, v5, vcc
.LBB15_11:                              ;   in Loop: Header=BB15_3 Depth=1
	s_or_b64 exec, exec, s[0:1]
	v_mul_lo_u32 v3, v7, s2
	v_mul_lo_u32 v8, v6, s3
	v_mad_u64_u32 v[4:5], s[0:1], v6, s2, 0
	v_add3_u32 v3, v5, v8, v3
	v_sub_co_u32_e32 v4, vcc, v0, v4
	v_subb_co_u32_e32 v5, vcc, v1, v3, vcc
	v_mul_lo_u32 v3, v11, s12
	v_mul_lo_u32 v12, v10, s13
	v_mad_u64_u32 v[8:9], s[0:1], v10, s12, 0
	v_add3_u32 v3, v9, v12, v3
	v_sub_co_u32_e32 v14, vcc, v6, v8
	v_subb_co_u32_e32 v15, vcc, v7, v3, vcc
	v_mul_lo_u32 v3, s19, v4
	v_mul_lo_u32 v8, s18, v5
	v_mad_u64_u32 v[6:7], s[0:1], s18, v4, 0
	v_add3_u32 v7, v7, v8, v3
	v_mul_lo_u32 v3, s23, v4
	v_mul_lo_u32 v8, s22, v5
	v_mad_u64_u32 v[12:13], s[0:1], s22, v4, 0
	v_add3_u32 v13, v13, v8, v3
	v_mad_u64_u32 v[8:9], s[0:1], s16, v14, v[6:7]
	v_mul_lo_u32 v3, s16, v15
	v_mul_lo_u32 v6, s17, v14
	v_add3_u32 v9, v6, v9, v3
	v_mad_u64_u32 v[6:7], s[0:1], s20, v14, v[12:13]
	v_mul_lo_u32 v3, s20, v15
	v_mul_lo_u32 v12, s21, v14
	v_add3_u32 v7, v12, v7, v3
	s_and_b64 vcc, exec, s[24:25]
	s_mov_b64 s[36:37], s[30:31]
	s_mov_b64 s[38:39], s[28:29]
	;; [unrolled: 1-line block ×3, first 2 shown]
	s_cbranch_vccnz .LBB15_22
.LBB15_12:                              ;   in Loop: Header=BB15_3 Depth=1
	v_sub_co_u32_e32 v12, vcc, v4, v14
	v_subb_co_u32_e32 v13, vcc, v5, v15, vcc
	v_pk_mov_b32 v[14:15], 0, 0
	v_cmp_ge_i64_e32 vcc, s[8:9], v[12:13]
	v_pk_mov_b32 v[10:11], v[14:15], v[14:15] op_sel:[0,1]
	s_and_saveexec_b64 s[0:1], vcc
	s_cbranch_execz .LBB15_18
; %bb.13:                               ;   in Loop: Header=BB15_3 Depth=1
	v_pk_mov_b32 v[10:11], 0, 0
	v_cmp_gt_i64_e32 vcc, s[14:15], v[4:5]
	v_pk_mov_b32 v[14:15], v[10:11], v[10:11] op_sel:[0,1]
	s_and_saveexec_b64 s[36:37], vcc
	s_cbranch_execz .LBB15_17
; %bb.14:                               ;   in Loop: Header=BB15_3 Depth=1
	v_lshlrev_b64 v[8:9], 3, v[8:9]
	v_mov_b32_e32 v3, s7
	v_add_co_u32_e32 v8, vcc, s6, v8
	v_addc_co_u32_e32 v9, vcc, v3, v9, vcc
	global_load_dwordx2 v[10:11], v[8:9], off
	v_add_co_u32_e32 v14, vcc, 1, v4
	v_addc_co_u32_e32 v15, vcc, 0, v5, vcc
	v_cmp_gt_i64_e32 vcc, s[14:15], v[14:15]
	v_pk_mov_b32 v[14:15], 0, 0
	s_and_saveexec_b64 s[38:39], vcc
	s_xor_b64 s[38:39], exec, s[38:39]
	s_cbranch_execz .LBB15_16
; %bb.15:                               ;   in Loop: Header=BB15_3 Depth=1
	s_lshl_b64 s[40:41], s[18:19], 3
	v_mov_b32_e32 v3, s41
	v_add_co_u32_e32 v8, vcc, s40, v8
	v_addc_co_u32_e32 v9, vcc, v9, v3, vcc
	global_load_dwordx2 v[14:15], v[8:9], off
.LBB15_16:                              ;   in Loop: Header=BB15_3 Depth=1
	s_or_b64 exec, exec, s[38:39]
.LBB15_17:                              ;   in Loop: Header=BB15_3 Depth=1
	s_or_b64 exec, exec, s[36:37]
	v_add_co_u32_e32 v8, vcc, 1, v12
	v_addc_co_u32_e32 v9, vcc, 0, v13, vcc
	v_cmp_ge_i64_e32 vcc, s[8:9], v[8:9]
	s_waitcnt vmcnt(0)
	v_cndmask_b32_e32 v15, 0, v15, vcc
	v_cndmask_b32_e32 v14, 0, v14, vcc
.LBB15_18:                              ;   in Loop: Header=BB15_3 Depth=1
	s_or_b64 exec, exec, s[0:1]
	v_cmp_gt_i64_e32 vcc, s[14:15], v[4:5]
	s_and_saveexec_b64 s[0:1], vcc
	s_cbranch_execz .LBB15_2
; %bb.19:                               ;   in Loop: Header=BB15_3 Depth=1
	v_lshlrev_b64 v[6:7], 3, v[6:7]
	v_mov_b32_e32 v3, s5
	v_add_co_u32_e32 v6, vcc, s4, v6
	v_addc_co_u32_e32 v7, vcc, v3, v7, vcc
	v_add_co_u32_e32 v4, vcc, 1, v4
	v_addc_co_u32_e32 v5, vcc, 0, v5, vcc
	v_cmp_gt_i64_e32 vcc, s[14:15], v[4:5]
	global_store_dwordx2 v[6:7], v[10:11], off
	s_and_saveexec_b64 s[36:37], vcc
	s_xor_b64 s[36:37], exec, s[36:37]
	s_cbranch_execz .LBB15_2
; %bb.20:                               ;   in Loop: Header=BB15_3 Depth=1
	s_lshl_b64 s[36:37], s[22:23], 3
	v_mov_b32_e32 v3, s37
	v_add_co_u32_e32 v4, vcc, s36, v6
	v_addc_co_u32_e32 v5, vcc, v7, v3, vcc
	global_store_dwordx2 v[4:5], v[14:15], off
	s_branch .LBB15_2
.LBB15_21:                              ;   in Loop: Header=BB15_22 Depth=2
	s_or_b64 exec, exec, s[0:1]
	v_mad_u64_u32 v[18:19], s[0:1], v12, s42, 0
	v_mul_lo_u32 v3, v13, s42
	v_mul_lo_u32 v17, v12, s43
	s_load_dwordx2 s[0:1], s[38:39], 0xc8
	s_load_dwordx2 s[42:43], s[40:41], 0x0
	s_add_u32 s40, s40, -8
	s_addc_u32 s41, s41, -1
	s_add_u32 s38, s38, -8
	v_add3_u32 v3, v19, v17, v3
	v_sub_co_u32_e32 v10, vcc, v10, v18
	s_addc_u32 s39, s39, -1
	v_subb_co_u32_e32 v3, vcc, v11, v3, vcc
	s_add_u32 s36, s36, -1
	s_waitcnt lgkmcnt(0)
	v_mul_lo_u32 v11, s0, v3
	v_mul_lo_u32 v17, s1, v10
	v_mad_u64_u32 v[8:9], s[0:1], s0, v10, v[8:9]
	v_mad_u64_u32 v[6:7], s[0:1], s42, v10, v[6:7]
	s_addc_u32 s37, s37, -1
	v_add3_u32 v9, v17, v9, v11
	v_mul_lo_u32 v3, s42, v3
	v_mul_lo_u32 v11, s43, v10
	v_cmp_lt_i64_e64 s[0:1], s[36:37], 1
	v_add3_u32 v7, v11, v7, v3
	s_and_b64 vcc, exec, s[0:1]
	v_pk_mov_b32 v[10:11], v[12:13], v[12:13] op_sel:[0,1]
	s_cbranch_vccnz .LBB15_12
.LBB15_22:                              ;   Parent Loop BB15_3 Depth=1
                                        ; =>  This Inner Loop Header: Depth=2
	s_load_dwordx2 s[42:43], s[38:39], 0x0
                                        ; implicit-def: $vgpr12_vgpr13
	s_waitcnt lgkmcnt(0)
	v_or_b32_e32 v3, s43, v11
	v_cmp_ne_u64_e32 vcc, 0, v[2:3]
	s_and_saveexec_b64 s[0:1], vcc
	s_xor_b64 s[44:45], exec, s[0:1]
	s_cbranch_execz .LBB15_24
; %bb.23:                               ;   in Loop: Header=BB15_22 Depth=2
	s_ashr_i32 s46, s43, 31
	s_add_u32 s0, s42, s46
	s_mov_b32 s47, s46
	s_addc_u32 s1, s43, s46
	s_xor_b64 s[48:49], s[0:1], s[46:47]
	v_cvt_f32_u32_e32 v3, s48
	v_cvt_f32_u32_e32 v12, s49
	s_sub_u32 s0, 0, s48
	s_subb_u32 s1, 0, s49
	v_mac_f32_e32 v3, 0x4f800000, v12
	v_rcp_f32_e32 v3, v3
	v_mul_f32_e32 v3, 0x5f7ffffc, v3
	v_mul_f32_e32 v12, 0x2f800000, v3
	v_trunc_f32_e32 v12, v12
	v_mac_f32_e32 v3, 0xcf800000, v12
	v_cvt_u32_f32_e32 v12, v12
	v_cvt_u32_f32_e32 v3, v3
	v_mul_lo_u32 v13, s0, v12
	v_mul_hi_u32 v18, s0, v3
	v_mul_lo_u32 v17, s1, v3
	v_add_u32_e32 v13, v18, v13
	v_mul_lo_u32 v19, s0, v3
	v_add_u32_e32 v13, v13, v17
	v_mul_lo_u32 v18, v3, v13
	v_mul_hi_u32 v20, v3, v19
	v_mul_hi_u32 v17, v3, v13
	v_add_co_u32_e32 v18, vcc, v20, v18
	v_addc_co_u32_e32 v17, vcc, 0, v17, vcc
	v_mul_hi_u32 v21, v12, v19
	v_mul_lo_u32 v19, v12, v19
	v_add_co_u32_e32 v18, vcc, v18, v19
	v_mul_hi_u32 v20, v12, v13
	v_addc_co_u32_e32 v17, vcc, v17, v21, vcc
	v_addc_co_u32_e32 v18, vcc, 0, v20, vcc
	v_mul_lo_u32 v13, v12, v13
	v_add_co_u32_e32 v13, vcc, v17, v13
	v_addc_co_u32_e32 v17, vcc, 0, v18, vcc
	v_add_co_u32_e32 v3, vcc, v3, v13
	v_addc_co_u32_e32 v12, vcc, v12, v17, vcc
	v_mul_lo_u32 v13, s0, v12
	v_mul_hi_u32 v17, s0, v3
	v_add_u32_e32 v13, v17, v13
	v_mul_lo_u32 v17, s1, v3
	v_add_u32_e32 v13, v13, v17
	v_mul_lo_u32 v18, s0, v3
	v_mul_hi_u32 v19, v12, v18
	v_mul_lo_u32 v20, v12, v18
	v_mul_lo_u32 v22, v3, v13
	v_mul_hi_u32 v18, v3, v18
	v_mul_hi_u32 v21, v3, v13
	v_add_co_u32_e32 v18, vcc, v18, v22
	v_addc_co_u32_e32 v21, vcc, 0, v21, vcc
	v_add_co_u32_e32 v18, vcc, v18, v20
	v_mul_hi_u32 v17, v12, v13
	v_addc_co_u32_e32 v18, vcc, v21, v19, vcc
	v_addc_co_u32_e32 v17, vcc, 0, v17, vcc
	v_mul_lo_u32 v13, v12, v13
	v_add_co_u32_e32 v13, vcc, v18, v13
	v_addc_co_u32_e32 v17, vcc, 0, v17, vcc
	v_add_co_u32_e32 v3, vcc, v3, v13
	v_addc_co_u32_e32 v17, vcc, v12, v17, vcc
	v_ashrrev_i32_e32 v20, 31, v11
	v_add_co_u32_e32 v12, vcc, v10, v20
	v_addc_co_u32_e32 v13, vcc, v11, v20, vcc
	v_xor_b32_e32 v22, v12, v20
	v_xor_b32_e32 v21, v13, v20
	v_mad_u64_u32 v[12:13], s[0:1], v22, v17, 0
	v_mul_hi_u32 v18, v22, v3
	v_add_co_u32_e32 v23, vcc, v18, v12
	v_addc_co_u32_e32 v24, vcc, 0, v13, vcc
	v_mad_u64_u32 v[18:19], s[0:1], v21, v3, 0
	v_add_co_u32_e32 v3, vcc, v23, v18
	v_mad_u64_u32 v[12:13], s[0:1], v21, v17, 0
	v_addc_co_u32_e32 v3, vcc, v24, v19, vcc
	v_addc_co_u32_e32 v13, vcc, 0, v13, vcc
	v_add_co_u32_e32 v3, vcc, v3, v12
	v_addc_co_u32_e32 v17, vcc, 0, v13, vcc
	v_mul_lo_u32 v18, s49, v3
	v_mul_lo_u32 v19, s48, v17
	v_mad_u64_u32 v[12:13], s[0:1], s48, v3, 0
	v_add3_u32 v13, v13, v19, v18
	v_sub_u32_e32 v18, v21, v13
	v_mov_b32_e32 v19, s49
	v_sub_co_u32_e32 v12, vcc, v22, v12
	v_subb_co_u32_e64 v18, s[0:1], v18, v19, vcc
	v_subrev_co_u32_e64 v19, s[0:1], s48, v12
	v_subbrev_co_u32_e64 v18, s[0:1], 0, v18, s[0:1]
	v_cmp_le_u32_e64 s[0:1], s49, v18
	v_cndmask_b32_e64 v22, 0, -1, s[0:1]
	v_cmp_le_u32_e64 s[0:1], s48, v19
	v_cndmask_b32_e64 v19, 0, -1, s[0:1]
	v_cmp_eq_u32_e64 s[0:1], s49, v18
	v_cndmask_b32_e64 v18, v22, v19, s[0:1]
	v_add_co_u32_e64 v19, s[0:1], 2, v3
	v_subb_co_u32_e32 v13, vcc, v21, v13, vcc
	v_addc_co_u32_e64 v22, s[0:1], 0, v17, s[0:1]
	v_cmp_le_u32_e32 vcc, s49, v13
	v_add_co_u32_e64 v23, s[0:1], 1, v3
	v_cndmask_b32_e64 v21, 0, -1, vcc
	v_cmp_le_u32_e32 vcc, s48, v12
	v_addc_co_u32_e64 v24, s[0:1], 0, v17, s[0:1]
	v_cndmask_b32_e64 v12, 0, -1, vcc
	v_cmp_eq_u32_e32 vcc, s49, v13
	v_cmp_ne_u32_e64 s[0:1], 0, v18
	v_cndmask_b32_e32 v12, v21, v12, vcc
	v_cmp_ne_u32_e32 vcc, 0, v12
	v_cndmask_b32_e64 v13, v23, v19, s[0:1]
	v_cndmask_b32_e64 v18, v24, v22, s[0:1]
	v_cndmask_b32_e32 v3, v3, v13, vcc
	v_xor_b32_e32 v13, s46, v20
	v_cndmask_b32_e32 v12, v17, v18, vcc
	v_xor_b32_e32 v3, v3, v13
	v_xor_b32_e32 v17, v12, v13
	v_sub_co_u32_e32 v12, vcc, v3, v13
	v_subb_co_u32_e32 v13, vcc, v17, v13, vcc
.LBB15_24:                              ;   in Loop: Header=BB15_22 Depth=2
	s_andn2_saveexec_b64 s[0:1], s[44:45]
	s_cbranch_execz .LBB15_21
; %bb.25:                               ;   in Loop: Header=BB15_22 Depth=2
	v_cvt_f32_u32_e32 v3, s42
	s_sub_i32 s44, 0, s42
	v_rcp_iflag_f32_e32 v3, v3
	v_mul_f32_e32 v3, 0x4f7ffffe, v3
	v_cvt_u32_f32_e32 v3, v3
	v_mul_lo_u32 v12, s44, v3
	v_mul_hi_u32 v12, v3, v12
	v_add_u32_e32 v3, v3, v12
	v_mul_hi_u32 v3, v10, v3
	v_mul_lo_u32 v12, v3, s42
	v_sub_u32_e32 v12, v10, v12
	v_add_u32_e32 v13, 1, v3
	v_subrev_u32_e32 v17, s42, v12
	v_cmp_le_u32_e32 vcc, s42, v12
	v_cndmask_b32_e32 v12, v12, v17, vcc
	v_cndmask_b32_e32 v3, v3, v13, vcc
	v_add_u32_e32 v13, 1, v3
	v_cmp_le_u32_e32 vcc, s42, v12
	v_cndmask_b32_e32 v12, v3, v13, vcc
	v_mov_b32_e32 v13, v2
	s_branch .LBB15_21
.LBB15_26:
	s_endpgm
	.section	.rodata,"a",@progbits
	.p2align	6, 0x0
	.amdhsa_kernel _ZN2at6native16triu_tril_kernelIllLb0ELi2ELb0EEEvNS_4cuda6detail10TensorInfoIT_T0_EENS4_IKS5_S6_EEllS6_
		.amdhsa_group_segment_fixed_size 0
		.amdhsa_private_segment_fixed_size 0
		.amdhsa_kernarg_size 1112
		.amdhsa_user_sgpr_count 6
		.amdhsa_user_sgpr_private_segment_buffer 1
		.amdhsa_user_sgpr_dispatch_ptr 0
		.amdhsa_user_sgpr_queue_ptr 0
		.amdhsa_user_sgpr_kernarg_segment_ptr 1
		.amdhsa_user_sgpr_dispatch_id 0
		.amdhsa_user_sgpr_flat_scratch_init 0
		.amdhsa_user_sgpr_kernarg_preload_length 0
		.amdhsa_user_sgpr_kernarg_preload_offset 0
		.amdhsa_user_sgpr_private_segment_size 0
		.amdhsa_uses_dynamic_stack 0
		.amdhsa_system_sgpr_private_segment_wavefront_offset 0
		.amdhsa_system_sgpr_workgroup_id_x 1
		.amdhsa_system_sgpr_workgroup_id_y 0
		.amdhsa_system_sgpr_workgroup_id_z 0
		.amdhsa_system_sgpr_workgroup_info 0
		.amdhsa_system_vgpr_workitem_id 0
		.amdhsa_next_free_vgpr 25
		.amdhsa_next_free_sgpr 51
		.amdhsa_accum_offset 28
		.amdhsa_reserve_vcc 1
		.amdhsa_reserve_flat_scratch 0
		.amdhsa_float_round_mode_32 0
		.amdhsa_float_round_mode_16_64 0
		.amdhsa_float_denorm_mode_32 3
		.amdhsa_float_denorm_mode_16_64 3
		.amdhsa_dx10_clamp 1
		.amdhsa_ieee_mode 1
		.amdhsa_fp16_overflow 0
		.amdhsa_tg_split 0
		.amdhsa_exception_fp_ieee_invalid_op 0
		.amdhsa_exception_fp_denorm_src 0
		.amdhsa_exception_fp_ieee_div_zero 0
		.amdhsa_exception_fp_ieee_overflow 0
		.amdhsa_exception_fp_ieee_underflow 0
		.amdhsa_exception_fp_ieee_inexact 0
		.amdhsa_exception_int_div_zero 0
	.end_amdhsa_kernel
	.section	.text._ZN2at6native16triu_tril_kernelIllLb0ELi2ELb0EEEvNS_4cuda6detail10TensorInfoIT_T0_EENS4_IKS5_S6_EEllS6_,"axG",@progbits,_ZN2at6native16triu_tril_kernelIllLb0ELi2ELb0EEEvNS_4cuda6detail10TensorInfoIT_T0_EENS4_IKS5_S6_EEllS6_,comdat
.Lfunc_end15:
	.size	_ZN2at6native16triu_tril_kernelIllLb0ELi2ELb0EEEvNS_4cuda6detail10TensorInfoIT_T0_EENS4_IKS5_S6_EEllS6_, .Lfunc_end15-_ZN2at6native16triu_tril_kernelIllLb0ELi2ELb0EEEvNS_4cuda6detail10TensorInfoIT_T0_EENS4_IKS5_S6_EEllS6_
                                        ; -- End function
	.section	.AMDGPU.csdata,"",@progbits
; Kernel info:
; codeLenInByte = 3420
; NumSgprs: 55
; NumVgprs: 25
; NumAgprs: 0
; TotalNumVgprs: 25
; ScratchSize: 0
; MemoryBound: 0
; FloatMode: 240
; IeeeMode: 1
; LDSByteSize: 0 bytes/workgroup (compile time only)
; SGPRBlocks: 6
; VGPRBlocks: 3
; NumSGPRsForWavesPerEU: 55
; NumVGPRsForWavesPerEU: 25
; AccumOffset: 28
; Occupancy: 8
; WaveLimiterHint : 0
; COMPUTE_PGM_RSRC2:SCRATCH_EN: 0
; COMPUTE_PGM_RSRC2:USER_SGPR: 6
; COMPUTE_PGM_RSRC2:TRAP_HANDLER: 0
; COMPUTE_PGM_RSRC2:TGID_X_EN: 1
; COMPUTE_PGM_RSRC2:TGID_Y_EN: 0
; COMPUTE_PGM_RSRC2:TGID_Z_EN: 0
; COMPUTE_PGM_RSRC2:TIDIG_COMP_CNT: 0
; COMPUTE_PGM_RSRC3_GFX90A:ACCUM_OFFSET: 6
; COMPUTE_PGM_RSRC3_GFX90A:TG_SPLIT: 0
	.section	.text._ZN2at6native16triu_tril_kernelIsiLb0ELi4ELb1EEEvNS_4cuda6detail10TensorInfoIT_T0_EENS4_IKS5_S6_EEllS6_,"axG",@progbits,_ZN2at6native16triu_tril_kernelIsiLb0ELi4ELb1EEEvNS_4cuda6detail10TensorInfoIT_T0_EENS4_IKS5_S6_EEllS6_,comdat
	.protected	_ZN2at6native16triu_tril_kernelIsiLb0ELi4ELb1EEEvNS_4cuda6detail10TensorInfoIT_T0_EENS4_IKS5_S6_EEllS6_ ; -- Begin function _ZN2at6native16triu_tril_kernelIsiLb0ELi4ELb1EEEvNS_4cuda6detail10TensorInfoIT_T0_EENS4_IKS5_S6_EEllS6_
	.globl	_ZN2at6native16triu_tril_kernelIsiLb0ELi4ELb1EEEvNS_4cuda6detail10TensorInfoIT_T0_EENS4_IKS5_S6_EEllS6_
	.p2align	8
	.type	_ZN2at6native16triu_tril_kernelIsiLb0ELi4ELb1EEEvNS_4cuda6detail10TensorInfoIT_T0_EENS4_IKS5_S6_EEllS6_,@function
_ZN2at6native16triu_tril_kernelIsiLb0ELi4ELb1EEEvNS_4cuda6detail10TensorInfoIT_T0_EENS4_IKS5_S6_EEllS6_: ; @_ZN2at6native16triu_tril_kernelIsiLb0ELi4ELb1EEEvNS_4cuda6detail10TensorInfoIT_T0_EENS4_IKS5_S6_EEllS6_
; %bb.0:
	s_load_dword s2, s[4:5], 0x1d4
	s_load_dwordx4 s[8:11], s[4:5], 0x1b0
	s_add_u32 s0, s4, 0x1c8
	v_mov_b32_e32 v2, 0
	s_addc_u32 s1, s5, 0
	s_waitcnt lgkmcnt(0)
	s_and_b32 s7, s2, 0xffff
	v_mov_b32_e32 v1, v2
	v_mov_b32_e32 v3, s6
	v_mad_u64_u32 v[0:1], s[2:3], s7, v3, v[0:1]
	v_lshlrev_b64 v[0:1], 2, v[0:1]
	v_cmp_gt_i64_e32 vcc, s[10:11], v[0:1]
	s_and_saveexec_b64 s[2:3], vcc
	s_cbranch_execz .LBB16_69
; %bb.1:
	s_load_dword s33, s[4:5], 0x1c0
	s_load_dword s14, s[4:5], 0x1a8
	;; [unrolled: 1-line block ×3, first 2 shown]
	s_load_dwordx2 s[2:3], s[4:5], 0x0
	s_mov_b64 s[22:23], 0
	s_waitcnt lgkmcnt(0)
	s_ashr_i32 s38, s33, 31
	s_ashr_i32 s15, s14, 31
	s_add_u32 s39, s4, 0xe0
	s_addc_u32 s40, s5, 0
	s_add_i32 s0, s14, -2
	s_ashr_i32 s1, s0, 31
	s_lshl_b64 s[12:13], s[0:1], 2
	s_add_u32 s16, s39, s12
	s_addc_u32 s17, s40, s13
	s_load_dword s41, s[16:17], 0x0
	s_lshl_b64 s[16:17], s[14:15], 2
	s_mul_i32 s1, s6, s7
	v_cmp_gt_i64_e64 s[6:7], s[14:15], 2
	v_cvt_f32_u32_e32 v3, s33
	s_waitcnt lgkmcnt(0)
	s_ashr_i32 s42, s41, 31
	s_add_u32 s15, s16, -4
	s_addc_u32 s16, s17, -1
	s_add_u32 s43, s4, 0x6c
	s_addc_u32 s44, s5, 0
	s_add_u32 s4, s43, s15
	v_rcp_iflag_f32_e32 v3, v3
	s_addc_u32 s5, s44, s16
	s_add_u32 s12, s43, s12
	s_addc_u32 s13, s44, s13
	s_add_i32 s45, s14, -3
	s_add_u32 s14, s39, s15
	v_mul_f32_e32 v3, 0x4f7ffffe, v3
	s_addc_u32 s15, s40, s16
	s_lshl_b32 s46, s1, 2
	s_and_b32 s48, s0, 7
	v_cvt_u32_f32_e32 v26, v3
	s_cmp_lg_u32 s48, 0
	s_mov_b32 s17, 0
	s_cselect_b64 s[18:19], -1, 0
	s_cmp_gt_u32 s45, 6
	s_mov_b32 s47, s17
	s_cselect_b64 s[20:21], -1, 0
	s_branch .LBB16_3
.LBB16_2:                               ;   in Loop: Header=BB16_3 Depth=1
	s_or_b64 exec, exec, s[24:25]
	v_mov_b32_e32 v3, s47
	v_add_co_u32_e32 v0, vcc, s46, v0
	v_addc_co_u32_e32 v1, vcc, v1, v3, vcc
	v_cmp_le_i64_e32 vcc, s[10:11], v[0:1]
	s_or_b64 s[22:23], vcc, s[22:23]
	s_andn2_b64 exec, exec, s[22:23]
	s_cbranch_execz .LBB16_69
.LBB16_3:                               ; =>This Loop Header: Depth=1
                                        ;     Child Loop BB16_16 Depth 2
                                        ;     Child Loop BB16_23 Depth 2
	v_or_b32_e32 v3, s38, v1
	v_cmp_ne_u64_e32 vcc, 0, v[2:3]
                                        ; implicit-def: $vgpr4_vgpr5
	s_and_saveexec_b64 s[0:1], vcc
	s_xor_b64 s[24:25], exec, s[0:1]
	s_cbranch_execz .LBB16_5
; %bb.4:                                ;   in Loop: Header=BB16_3 Depth=1
	s_add_u32 s0, s33, s38
	s_mov_b32 s26, s38
	s_mov_b32 s27, s38
	s_addc_u32 s1, s38, s38
	s_xor_b64 s[28:29], s[0:1], s[26:27]
	v_cvt_f32_u32_e32 v3, s28
	v_cvt_f32_u32_e32 v4, s29
	s_sub_u32 s0, 0, s28
	s_subb_u32 s1, 0, s29
	v_mac_f32_e32 v3, 0x4f800000, v4
	v_rcp_f32_e32 v3, v3
	v_mul_f32_e32 v3, 0x5f7ffffc, v3
	v_mul_f32_e32 v4, 0x2f800000, v3
	v_trunc_f32_e32 v4, v4
	v_mac_f32_e32 v3, 0xcf800000, v4
	v_cvt_u32_f32_e32 v4, v4
	v_cvt_u32_f32_e32 v3, v3
	v_mul_lo_u32 v5, s0, v4
	v_mul_hi_u32 v7, s0, v3
	v_mul_lo_u32 v6, s1, v3
	v_add_u32_e32 v5, v7, v5
	v_mul_lo_u32 v8, s0, v3
	v_add_u32_e32 v5, v5, v6
	v_mul_lo_u32 v7, v3, v5
	v_mul_hi_u32 v9, v3, v8
	v_mul_hi_u32 v6, v3, v5
	v_add_co_u32_e32 v7, vcc, v9, v7
	v_addc_co_u32_e32 v6, vcc, 0, v6, vcc
	v_mul_hi_u32 v10, v4, v8
	v_mul_lo_u32 v8, v4, v8
	v_add_co_u32_e32 v7, vcc, v7, v8
	v_mul_hi_u32 v9, v4, v5
	v_addc_co_u32_e32 v6, vcc, v6, v10, vcc
	v_addc_co_u32_e32 v7, vcc, 0, v9, vcc
	v_mul_lo_u32 v5, v4, v5
	v_add_co_u32_e32 v5, vcc, v6, v5
	v_addc_co_u32_e32 v6, vcc, 0, v7, vcc
	v_add_co_u32_e32 v3, vcc, v3, v5
	v_addc_co_u32_e32 v4, vcc, v4, v6, vcc
	v_mul_lo_u32 v5, s0, v4
	v_mul_hi_u32 v6, s0, v3
	v_add_u32_e32 v5, v6, v5
	v_mul_lo_u32 v6, s1, v3
	v_add_u32_e32 v5, v5, v6
	v_mul_lo_u32 v7, s0, v3
	v_mul_hi_u32 v8, v4, v7
	v_mul_lo_u32 v9, v4, v7
	v_mul_lo_u32 v11, v3, v5
	v_mul_hi_u32 v7, v3, v7
	v_mul_hi_u32 v10, v3, v5
	v_add_co_u32_e32 v7, vcc, v7, v11
	v_addc_co_u32_e32 v10, vcc, 0, v10, vcc
	v_add_co_u32_e32 v7, vcc, v7, v9
	v_mul_hi_u32 v6, v4, v5
	v_addc_co_u32_e32 v7, vcc, v10, v8, vcc
	v_addc_co_u32_e32 v6, vcc, 0, v6, vcc
	v_mul_lo_u32 v5, v4, v5
	v_add_co_u32_e32 v5, vcc, v7, v5
	v_addc_co_u32_e32 v6, vcc, 0, v6, vcc
	v_add_co_u32_e32 v3, vcc, v3, v5
	v_addc_co_u32_e32 v6, vcc, v4, v6, vcc
	v_ashrrev_i32_e32 v8, 31, v1
	v_add_co_u32_e32 v4, vcc, v0, v8
	v_addc_co_u32_e32 v5, vcc, v1, v8, vcc
	v_xor_b32_e32 v10, v4, v8
	v_xor_b32_e32 v9, v5, v8
	v_mad_u64_u32 v[4:5], s[0:1], v10, v6, 0
	v_mul_hi_u32 v7, v10, v3
	v_add_co_u32_e32 v11, vcc, v7, v4
	v_addc_co_u32_e32 v12, vcc, 0, v5, vcc
	v_mad_u64_u32 v[4:5], s[0:1], v9, v6, 0
	v_mad_u64_u32 v[6:7], s[0:1], v9, v3, 0
	v_add_co_u32_e32 v3, vcc, v11, v6
	v_addc_co_u32_e32 v3, vcc, v12, v7, vcc
	v_addc_co_u32_e32 v5, vcc, 0, v5, vcc
	v_add_co_u32_e32 v3, vcc, v3, v4
	v_addc_co_u32_e32 v6, vcc, 0, v5, vcc
	v_mul_lo_u32 v7, s29, v3
	v_mul_lo_u32 v11, s28, v6
	v_mad_u64_u32 v[4:5], s[0:1], s28, v3, 0
	v_add3_u32 v5, v5, v11, v7
	v_sub_u32_e32 v7, v9, v5
	v_mov_b32_e32 v11, s29
	v_sub_co_u32_e32 v4, vcc, v10, v4
	v_subb_co_u32_e64 v7, s[0:1], v7, v11, vcc
	v_subrev_co_u32_e64 v10, s[0:1], s28, v4
	v_subbrev_co_u32_e64 v7, s[0:1], 0, v7, s[0:1]
	v_cmp_le_u32_e64 s[0:1], s29, v7
	v_cndmask_b32_e64 v11, 0, -1, s[0:1]
	v_cmp_le_u32_e64 s[0:1], s28, v10
	v_cndmask_b32_e64 v10, 0, -1, s[0:1]
	v_cmp_eq_u32_e64 s[0:1], s29, v7
	v_cndmask_b32_e64 v7, v11, v10, s[0:1]
	v_add_co_u32_e64 v10, s[0:1], 2, v3
	v_subb_co_u32_e32 v5, vcc, v9, v5, vcc
	v_addc_co_u32_e64 v11, s[0:1], 0, v6, s[0:1]
	v_cmp_le_u32_e32 vcc, s29, v5
	v_add_co_u32_e64 v12, s[0:1], 1, v3
	v_cndmask_b32_e64 v9, 0, -1, vcc
	v_cmp_le_u32_e32 vcc, s28, v4
	v_addc_co_u32_e64 v13, s[0:1], 0, v6, s[0:1]
	v_cndmask_b32_e64 v4, 0, -1, vcc
	v_cmp_eq_u32_e32 vcc, s29, v5
	v_cmp_ne_u32_e64 s[0:1], 0, v7
	v_cndmask_b32_e32 v4, v9, v4, vcc
	v_cndmask_b32_e64 v7, v13, v11, s[0:1]
	v_cmp_ne_u32_e32 vcc, 0, v4
	v_cndmask_b32_e64 v5, v12, v10, s[0:1]
	v_cndmask_b32_e32 v4, v6, v7, vcc
	v_cndmask_b32_e32 v3, v3, v5, vcc
	v_xor_b32_e32 v6, s26, v8
	v_xor_b32_e32 v5, s27, v8
	;; [unrolled: 1-line block ×4, first 2 shown]
	v_sub_co_u32_e32 v4, vcc, v3, v6
	v_subb_co_u32_e32 v5, vcc, v7, v5, vcc
.LBB16_5:                               ;   in Loop: Header=BB16_3 Depth=1
	s_andn2_saveexec_b64 s[0:1], s[24:25]
	s_cbranch_execz .LBB16_7
; %bb.6:                                ;   in Loop: Header=BB16_3 Depth=1
	s_sub_i32 s16, 0, s33
	v_mul_lo_u32 v3, s16, v26
	v_mul_hi_u32 v3, v26, v3
	v_add_u32_e32 v3, v26, v3
	v_mul_hi_u32 v3, v0, v3
	v_mul_lo_u32 v4, v3, s33
	v_sub_u32_e32 v4, v0, v4
	v_subrev_u32_e32 v5, s33, v4
	v_cmp_le_u32_e32 vcc, s33, v4
	v_cndmask_b32_e32 v4, v4, v5, vcc
	v_add_u32_e32 v5, 1, v3
	v_cndmask_b32_e32 v3, v3, v5, vcc
	v_add_u32_e32 v5, 1, v3
	v_cmp_le_u32_e32 vcc, s33, v4
	v_cndmask_b32_e32 v4, v3, v5, vcc
	v_mov_b32_e32 v5, v2
.LBB16_7:                               ;   in Loop: Header=BB16_3 Depth=1
	s_or_b64 exec, exec, s[0:1]
	v_or_b32_e32 v3, s42, v5
	v_cmp_ne_u64_e32 vcc, 0, v[2:3]
                                        ; implicit-def: $vgpr8_vgpr9
	s_and_saveexec_b64 s[0:1], vcc
	s_xor_b64 s[24:25], exec, s[0:1]
	s_cbranch_execz .LBB16_9
; %bb.8:                                ;   in Loop: Header=BB16_3 Depth=1
	s_add_u32 s0, s41, s42
	s_mov_b32 s26, s42
	s_mov_b32 s27, s42
	s_addc_u32 s1, s42, s42
	s_xor_b64 s[28:29], s[0:1], s[26:27]
	v_cvt_f32_u32_e32 v3, s28
	v_cvt_f32_u32_e32 v6, s29
	s_sub_u32 s0, 0, s28
	s_subb_u32 s1, 0, s29
	v_mac_f32_e32 v3, 0x4f800000, v6
	v_rcp_f32_e32 v3, v3
	v_mul_f32_e32 v3, 0x5f7ffffc, v3
	v_mul_f32_e32 v6, 0x2f800000, v3
	v_trunc_f32_e32 v6, v6
	v_mac_f32_e32 v3, 0xcf800000, v6
	v_cvt_u32_f32_e32 v6, v6
	v_cvt_u32_f32_e32 v3, v3
	v_mul_lo_u32 v7, s0, v6
	v_mul_hi_u32 v9, s0, v3
	v_mul_lo_u32 v8, s1, v3
	v_add_u32_e32 v7, v9, v7
	v_mul_lo_u32 v10, s0, v3
	v_add_u32_e32 v7, v7, v8
	v_mul_lo_u32 v9, v3, v7
	v_mul_hi_u32 v11, v3, v10
	v_mul_hi_u32 v8, v3, v7
	v_add_co_u32_e32 v9, vcc, v11, v9
	v_addc_co_u32_e32 v8, vcc, 0, v8, vcc
	v_mul_hi_u32 v12, v6, v10
	v_mul_lo_u32 v10, v6, v10
	v_add_co_u32_e32 v9, vcc, v9, v10
	v_mul_hi_u32 v11, v6, v7
	v_addc_co_u32_e32 v8, vcc, v8, v12, vcc
	v_addc_co_u32_e32 v9, vcc, 0, v11, vcc
	v_mul_lo_u32 v7, v6, v7
	v_add_co_u32_e32 v7, vcc, v8, v7
	v_addc_co_u32_e32 v8, vcc, 0, v9, vcc
	v_add_co_u32_e32 v3, vcc, v3, v7
	v_addc_co_u32_e32 v6, vcc, v6, v8, vcc
	v_mul_lo_u32 v7, s0, v6
	v_mul_hi_u32 v8, s0, v3
	v_add_u32_e32 v7, v8, v7
	v_mul_lo_u32 v8, s1, v3
	v_add_u32_e32 v7, v7, v8
	v_mul_lo_u32 v9, s0, v3
	v_mul_hi_u32 v10, v6, v9
	v_mul_lo_u32 v11, v6, v9
	v_mul_lo_u32 v13, v3, v7
	v_mul_hi_u32 v9, v3, v9
	v_mul_hi_u32 v12, v3, v7
	v_add_co_u32_e32 v9, vcc, v9, v13
	v_addc_co_u32_e32 v12, vcc, 0, v12, vcc
	v_add_co_u32_e32 v9, vcc, v9, v11
	v_mul_hi_u32 v8, v6, v7
	v_addc_co_u32_e32 v9, vcc, v12, v10, vcc
	v_addc_co_u32_e32 v8, vcc, 0, v8, vcc
	v_mul_lo_u32 v7, v6, v7
	v_add_co_u32_e32 v7, vcc, v9, v7
	v_addc_co_u32_e32 v8, vcc, 0, v8, vcc
	v_add_co_u32_e32 v3, vcc, v3, v7
	v_addc_co_u32_e32 v8, vcc, v6, v8, vcc
	v_ashrrev_i32_e32 v10, 31, v5
	v_add_co_u32_e32 v6, vcc, v4, v10
	v_xor_b32_e32 v11, v6, v10
	v_addc_co_u32_e32 v5, vcc, v5, v10, vcc
	v_mad_u64_u32 v[6:7], s[0:1], v11, v8, 0
	v_mul_hi_u32 v9, v11, v3
	v_xor_b32_e32 v5, v5, v10
	v_add_co_u32_e32 v12, vcc, v9, v6
	v_addc_co_u32_e32 v13, vcc, 0, v7, vcc
	v_mad_u64_u32 v[6:7], s[0:1], v5, v8, 0
	v_mad_u64_u32 v[8:9], s[0:1], v5, v3, 0
	v_add_co_u32_e32 v3, vcc, v12, v8
	v_addc_co_u32_e32 v3, vcc, v13, v9, vcc
	v_addc_co_u32_e32 v7, vcc, 0, v7, vcc
	v_add_co_u32_e32 v3, vcc, v3, v6
	v_addc_co_u32_e32 v8, vcc, 0, v7, vcc
	v_mul_lo_u32 v9, s29, v3
	v_mul_lo_u32 v12, s28, v8
	v_mad_u64_u32 v[6:7], s[0:1], s28, v3, 0
	v_add3_u32 v7, v7, v12, v9
	v_sub_u32_e32 v9, v5, v7
	v_mov_b32_e32 v12, s29
	v_sub_co_u32_e32 v6, vcc, v11, v6
	v_subb_co_u32_e64 v9, s[0:1], v9, v12, vcc
	v_subrev_co_u32_e64 v11, s[0:1], s28, v6
	v_subbrev_co_u32_e64 v9, s[0:1], 0, v9, s[0:1]
	v_cmp_le_u32_e64 s[0:1], s29, v9
	v_cndmask_b32_e64 v12, 0, -1, s[0:1]
	v_cmp_le_u32_e64 s[0:1], s28, v11
	v_cndmask_b32_e64 v11, 0, -1, s[0:1]
	v_cmp_eq_u32_e64 s[0:1], s29, v9
	v_cndmask_b32_e64 v9, v12, v11, s[0:1]
	v_add_co_u32_e64 v11, s[0:1], 2, v3
	v_subb_co_u32_e32 v5, vcc, v5, v7, vcc
	v_addc_co_u32_e64 v12, s[0:1], 0, v8, s[0:1]
	v_cmp_le_u32_e32 vcc, s29, v5
	v_add_co_u32_e64 v13, s[0:1], 1, v3
	v_cndmask_b32_e64 v7, 0, -1, vcc
	v_cmp_le_u32_e32 vcc, s28, v6
	v_addc_co_u32_e64 v14, s[0:1], 0, v8, s[0:1]
	v_cndmask_b32_e64 v6, 0, -1, vcc
	v_cmp_eq_u32_e32 vcc, s29, v5
	v_cmp_ne_u32_e64 s[0:1], 0, v9
	v_cndmask_b32_e32 v5, v7, v6, vcc
	v_cmp_ne_u32_e32 vcc, 0, v5
	v_cndmask_b32_e64 v6, v13, v11, s[0:1]
	v_cndmask_b32_e64 v9, v14, v12, s[0:1]
	v_cndmask_b32_e32 v3, v3, v6, vcc
	v_xor_b32_e32 v7, s26, v10
	v_cndmask_b32_e32 v5, v8, v9, vcc
	v_xor_b32_e32 v6, s27, v10
	v_xor_b32_e32 v3, v3, v7
	;; [unrolled: 1-line block ×3, first 2 shown]
	v_sub_co_u32_e32 v8, vcc, v3, v7
	v_subb_co_u32_e32 v9, vcc, v5, v6, vcc
.LBB16_9:                               ;   in Loop: Header=BB16_3 Depth=1
	s_andn2_saveexec_b64 s[0:1], s[24:25]
	s_cbranch_execz .LBB16_11
; %bb.10:                               ;   in Loop: Header=BB16_3 Depth=1
	v_cvt_f32_u32_e32 v3, s41
	s_sub_i32 s16, 0, s41
	v_mov_b32_e32 v9, v2
	v_rcp_iflag_f32_e32 v3, v3
	v_mul_f32_e32 v3, 0x4f7ffffe, v3
	v_cvt_u32_f32_e32 v3, v3
	v_mul_lo_u32 v5, s16, v3
	v_mul_hi_u32 v5, v3, v5
	v_add_u32_e32 v3, v3, v5
	v_mul_hi_u32 v3, v4, v3
	v_mul_lo_u32 v5, v3, s41
	v_sub_u32_e32 v5, v4, v5
	v_add_u32_e32 v6, 1, v3
	v_subrev_u32_e32 v7, s41, v5
	v_cmp_le_u32_e32 vcc, s41, v5
	v_cndmask_b32_e32 v5, v5, v7, vcc
	v_cndmask_b32_e32 v3, v3, v6, vcc
	v_add_u32_e32 v6, 1, v3
	v_cmp_le_u32_e32 vcc, s41, v5
	v_cndmask_b32_e32 v8, v3, v6, vcc
.LBB16_11:                              ;   in Loop: Header=BB16_3 Depth=1
	s_or_b64 exec, exec, s[0:1]
	v_mad_u64_u32 v[6:7], s[0:1], v4, s33, 0
	v_sub_co_u32_e32 v28, vcc, v0, v6
	v_mad_u64_u32 v[6:7], s[0:1], v8, s41, 0
	v_sub_co_u32_e32 v27, vcc, v4, v6
	v_sub_u32_e32 v6, v28, v27
	v_add_u32_e32 v4, 4, v6
	v_ashrrev_i32_e32 v5, 31, v4
	v_cmp_lt_i64_e32 vcc, s[8:9], v[4:5]
	s_and_saveexec_b64 s[24:25], vcc
	s_cbranch_execz .LBB16_2
; %bb.12:                               ;   in Loop: Header=BB16_3 Depth=1
	s_load_dword s49, s[4:5], 0x0
	s_load_dword s0, s[12:13], 0x0
	s_andn2_b64 vcc, exec, s[6:7]
	s_waitcnt lgkmcnt(0)
	v_mul_lo_u32 v4, s49, v28
	v_mad_u64_u32 v[4:5], s[0:1], s0, v27, v[4:5]
	s_cbranch_vccnz .LBB16_57
; %bb.13:                               ;   in Loop: Header=BB16_3 Depth=1
	s_andn2_b64 vcc, exec, s[18:19]
	s_cbranch_vccnz .LBB16_20
; %bb.14:                               ;   in Loop: Header=BB16_3 Depth=1
	s_mov_b32 s36, s48
	s_mov_b32 s16, s45
	s_branch .LBB16_16
.LBB16_15:                              ;   in Loop: Header=BB16_16 Depth=2
	s_or_b64 exec, exec, s[0:1]
	s_add_u32 s0, s43, s26
	s_addc_u32 s1, s44, s27
	s_load_dword s0, s[0:1], 0x0
	v_mul_lo_u32 v3, v8, s37
	v_sub_u32_e32 v3, v10, v3
	s_add_i32 s16, s16, -1
	s_add_i32 s36, s36, -1
	s_cmp_lg_u32 s36, 0
	s_waitcnt lgkmcnt(0)
	v_mad_u64_u32 v[4:5], s[0:1], s0, v3, v[4:5]
	s_cbranch_scc0 .LBB16_21
.LBB16_16:                              ;   Parent Loop BB16_3 Depth=1
                                        ; =>  This Inner Loop Header: Depth=2
	s_lshl_b64 s[26:27], s[16:17], 2
	s_add_u32 s0, s39, s26
	s_addc_u32 s1, s40, s27
	s_load_dword s37, s[0:1], 0x0
	v_pk_mov_b32 v[10:11], v[8:9], v[8:9] op_sel:[0,1]
                                        ; implicit-def: $vgpr8_vgpr9
	s_waitcnt lgkmcnt(0)
	s_ashr_i32 s0, s37, 31
	v_or_b32_e32 v3, s0, v11
	v_cmp_ne_u64_e32 vcc, 0, v[2:3]
	s_and_saveexec_b64 s[28:29], vcc
	s_xor_b64 s[28:29], exec, s[28:29]
	s_cbranch_execz .LBB16_18
; %bb.17:                               ;   in Loop: Header=BB16_16 Depth=2
	s_add_u32 s34, s37, s0
	s_mov_b32 s30, s0
	s_mov_b32 s31, s0
	s_addc_u32 s35, s0, s0
	s_xor_b64 s[34:35], s[34:35], s[30:31]
	v_cvt_f32_u32_e32 v3, s34
	v_cvt_f32_u32_e32 v5, s35
	s_sub_u32 s0, 0, s34
	s_subb_u32 s1, 0, s35
	v_mac_f32_e32 v3, 0x4f800000, v5
	v_rcp_f32_e32 v3, v3
	v_mul_f32_e32 v3, 0x5f7ffffc, v3
	v_mul_f32_e32 v5, 0x2f800000, v3
	v_trunc_f32_e32 v5, v5
	v_mac_f32_e32 v3, 0xcf800000, v5
	v_cvt_u32_f32_e32 v5, v5
	v_cvt_u32_f32_e32 v3, v3
	v_mul_lo_u32 v7, s0, v5
	v_mul_hi_u32 v9, s0, v3
	v_mul_lo_u32 v8, s1, v3
	v_add_u32_e32 v7, v9, v7
	v_mul_lo_u32 v12, s0, v3
	v_add_u32_e32 v7, v7, v8
	v_mul_lo_u32 v9, v3, v7
	v_mul_hi_u32 v13, v3, v12
	v_mul_hi_u32 v8, v3, v7
	v_add_co_u32_e32 v9, vcc, v13, v9
	v_addc_co_u32_e32 v8, vcc, 0, v8, vcc
	v_mul_hi_u32 v14, v5, v12
	v_mul_lo_u32 v12, v5, v12
	v_add_co_u32_e32 v9, vcc, v9, v12
	v_mul_hi_u32 v13, v5, v7
	v_addc_co_u32_e32 v8, vcc, v8, v14, vcc
	v_addc_co_u32_e32 v9, vcc, 0, v13, vcc
	v_mul_lo_u32 v7, v5, v7
	v_add_co_u32_e32 v7, vcc, v8, v7
	v_addc_co_u32_e32 v8, vcc, 0, v9, vcc
	v_add_co_u32_e32 v3, vcc, v3, v7
	v_addc_co_u32_e32 v5, vcc, v5, v8, vcc
	v_mul_lo_u32 v7, s0, v5
	v_mul_hi_u32 v8, s0, v3
	v_add_u32_e32 v7, v8, v7
	v_mul_lo_u32 v8, s1, v3
	v_add_u32_e32 v7, v7, v8
	v_mul_lo_u32 v9, s0, v3
	v_mul_hi_u32 v12, v5, v9
	v_mul_lo_u32 v13, v5, v9
	v_mul_lo_u32 v15, v3, v7
	v_mul_hi_u32 v9, v3, v9
	v_mul_hi_u32 v14, v3, v7
	v_add_co_u32_e32 v9, vcc, v9, v15
	v_addc_co_u32_e32 v14, vcc, 0, v14, vcc
	v_add_co_u32_e32 v9, vcc, v9, v13
	v_mul_hi_u32 v8, v5, v7
	v_addc_co_u32_e32 v9, vcc, v14, v12, vcc
	v_addc_co_u32_e32 v8, vcc, 0, v8, vcc
	v_mul_lo_u32 v7, v5, v7
	v_add_co_u32_e32 v7, vcc, v9, v7
	v_addc_co_u32_e32 v8, vcc, 0, v8, vcc
	v_add_co_u32_e32 v3, vcc, v3, v7
	v_addc_co_u32_e32 v5, vcc, v5, v8, vcc
	v_ashrrev_i32_e32 v7, 31, v11
	v_add_co_u32_e32 v8, vcc, v10, v7
	v_addc_co_u32_e32 v9, vcc, v11, v7, vcc
	v_xor_b32_e32 v14, v8, v7
	v_xor_b32_e32 v11, v9, v7
	v_mad_u64_u32 v[8:9], s[0:1], v14, v5, 0
	v_mul_hi_u32 v12, v14, v3
	v_add_co_u32_e32 v15, vcc, v12, v8
	v_addc_co_u32_e32 v16, vcc, 0, v9, vcc
	v_mad_u64_u32 v[12:13], s[0:1], v11, v3, 0
	v_add_co_u32_e32 v3, vcc, v15, v12
	v_mad_u64_u32 v[8:9], s[0:1], v11, v5, 0
	v_addc_co_u32_e32 v3, vcc, v16, v13, vcc
	v_addc_co_u32_e32 v5, vcc, 0, v9, vcc
	v_add_co_u32_e32 v3, vcc, v3, v8
	v_addc_co_u32_e32 v5, vcc, 0, v5, vcc
	v_mul_lo_u32 v12, s35, v3
	v_mul_lo_u32 v13, s34, v5
	v_mad_u64_u32 v[8:9], s[0:1], s34, v3, 0
	v_add3_u32 v9, v9, v13, v12
	v_sub_u32_e32 v12, v11, v9
	v_mov_b32_e32 v13, s35
	v_sub_co_u32_e32 v8, vcc, v14, v8
	v_subb_co_u32_e64 v12, s[0:1], v12, v13, vcc
	v_subrev_co_u32_e64 v13, s[0:1], s34, v8
	v_subbrev_co_u32_e64 v12, s[0:1], 0, v12, s[0:1]
	v_cmp_le_u32_e64 s[0:1], s35, v12
	v_cndmask_b32_e64 v14, 0, -1, s[0:1]
	v_cmp_le_u32_e64 s[0:1], s34, v13
	v_cndmask_b32_e64 v13, 0, -1, s[0:1]
	v_cmp_eq_u32_e64 s[0:1], s35, v12
	v_cndmask_b32_e64 v12, v14, v13, s[0:1]
	v_add_co_u32_e64 v13, s[0:1], 2, v3
	v_subb_co_u32_e32 v9, vcc, v11, v9, vcc
	v_addc_co_u32_e64 v14, s[0:1], 0, v5, s[0:1]
	v_cmp_le_u32_e32 vcc, s35, v9
	v_add_co_u32_e64 v15, s[0:1], 1, v3
	v_cndmask_b32_e64 v11, 0, -1, vcc
	v_cmp_le_u32_e32 vcc, s34, v8
	v_addc_co_u32_e64 v16, s[0:1], 0, v5, s[0:1]
	v_cndmask_b32_e64 v8, 0, -1, vcc
	v_cmp_eq_u32_e32 vcc, s35, v9
	v_cmp_ne_u32_e64 s[0:1], 0, v12
	v_cndmask_b32_e32 v8, v11, v8, vcc
	v_cmp_ne_u32_e32 vcc, 0, v8
	v_cndmask_b32_e64 v8, v15, v13, s[0:1]
	v_cndmask_b32_e64 v12, v16, v14, s[0:1]
	v_cndmask_b32_e32 v3, v3, v8, vcc
	v_xor_b32_e32 v9, s31, v7
	v_xor_b32_e32 v7, s30, v7
	v_cndmask_b32_e32 v5, v5, v12, vcc
	v_xor_b32_e32 v3, v3, v7
	v_xor_b32_e32 v5, v5, v9
	v_sub_co_u32_e32 v8, vcc, v3, v7
	v_subb_co_u32_e32 v9, vcc, v5, v9, vcc
.LBB16_18:                              ;   in Loop: Header=BB16_16 Depth=2
	s_andn2_saveexec_b64 s[0:1], s[28:29]
	s_cbranch_execz .LBB16_15
; %bb.19:                               ;   in Loop: Header=BB16_16 Depth=2
	v_cvt_f32_u32_e32 v3, s37
	s_sub_i32 s28, 0, s37
	v_mov_b32_e32 v9, v2
	v_rcp_iflag_f32_e32 v3, v3
	v_mul_f32_e32 v3, 0x4f7ffffe, v3
	v_cvt_u32_f32_e32 v3, v3
	v_mul_lo_u32 v5, s28, v3
	v_mul_hi_u32 v5, v3, v5
	v_add_u32_e32 v3, v3, v5
	v_mul_hi_u32 v3, v10, v3
	v_mul_lo_u32 v5, v3, s37
	v_sub_u32_e32 v5, v10, v5
	v_add_u32_e32 v7, 1, v3
	v_subrev_u32_e32 v8, s37, v5
	v_cmp_le_u32_e32 vcc, s37, v5
	v_cndmask_b32_e32 v5, v5, v8, vcc
	v_cndmask_b32_e32 v3, v3, v7, vcc
	v_add_u32_e32 v7, 1, v3
	v_cmp_le_u32_e32 vcc, s37, v5
	v_cndmask_b32_e32 v8, v3, v7, vcc
	s_branch .LBB16_15
.LBB16_20:                              ;   in Loop: Header=BB16_3 Depth=1
	s_mov_b32 s16, s45
.LBB16_21:                              ;   in Loop: Header=BB16_3 Depth=1
	s_andn2_b64 vcc, exec, s[20:21]
	s_cbranch_vccnz .LBB16_57
; %bb.22:                               ;   in Loop: Header=BB16_3 Depth=1
	s_add_i32 s26, s16, -7
.LBB16_23:                              ;   Parent Loop BB16_3 Depth=1
                                        ; =>  This Inner Loop Header: Depth=2
	s_add_i32 s16, s26, 7
	s_lshl_b64 s[28:29], s[16:17], 2
	s_add_u32 s0, s39, s28
	s_addc_u32 s1, s40, s29
	s_load_dword s50, s[0:1], 0x0
                                        ; implicit-def: $vgpr10_vgpr11
	s_waitcnt lgkmcnt(0)
	s_ashr_i32 s0, s50, 31
	v_or_b32_e32 v3, s0, v9
	v_cmp_ne_u64_e32 vcc, 0, v[2:3]
	s_and_saveexec_b64 s[30:31], vcc
	s_xor_b64 s[30:31], exec, s[30:31]
	s_cbranch_execz .LBB16_25
; %bb.24:                               ;   in Loop: Header=BB16_23 Depth=2
	s_add_u32 s36, s50, s0
	s_mov_b32 s34, s0
	s_mov_b32 s35, s0
	s_addc_u32 s37, s0, s0
	s_xor_b64 s[36:37], s[36:37], s[34:35]
	v_cvt_f32_u32_e32 v3, s36
	v_cvt_f32_u32_e32 v5, s37
	s_sub_u32 s0, 0, s36
	s_subb_u32 s1, 0, s37
	v_mac_f32_e32 v3, 0x4f800000, v5
	v_rcp_f32_e32 v3, v3
	v_mul_f32_e32 v3, 0x5f7ffffc, v3
	v_mul_f32_e32 v5, 0x2f800000, v3
	v_trunc_f32_e32 v5, v5
	v_mac_f32_e32 v3, 0xcf800000, v5
	v_cvt_u32_f32_e32 v5, v5
	v_cvt_u32_f32_e32 v3, v3
	v_mul_lo_u32 v7, s0, v5
	v_mul_hi_u32 v11, s0, v3
	v_mul_lo_u32 v10, s1, v3
	v_add_u32_e32 v7, v11, v7
	v_mul_lo_u32 v12, s0, v3
	v_add_u32_e32 v7, v7, v10
	v_mul_lo_u32 v11, v3, v7
	v_mul_hi_u32 v13, v3, v12
	v_mul_hi_u32 v10, v3, v7
	v_add_co_u32_e32 v11, vcc, v13, v11
	v_addc_co_u32_e32 v10, vcc, 0, v10, vcc
	v_mul_hi_u32 v14, v5, v12
	v_mul_lo_u32 v12, v5, v12
	v_add_co_u32_e32 v11, vcc, v11, v12
	v_mul_hi_u32 v13, v5, v7
	v_addc_co_u32_e32 v10, vcc, v10, v14, vcc
	v_addc_co_u32_e32 v11, vcc, 0, v13, vcc
	v_mul_lo_u32 v7, v5, v7
	v_add_co_u32_e32 v7, vcc, v10, v7
	v_addc_co_u32_e32 v10, vcc, 0, v11, vcc
	v_add_co_u32_e32 v3, vcc, v3, v7
	v_addc_co_u32_e32 v5, vcc, v5, v10, vcc
	v_mul_lo_u32 v7, s0, v5
	v_mul_hi_u32 v10, s0, v3
	v_add_u32_e32 v7, v10, v7
	v_mul_lo_u32 v10, s1, v3
	v_add_u32_e32 v7, v7, v10
	v_mul_lo_u32 v11, s0, v3
	v_mul_hi_u32 v12, v5, v11
	v_mul_lo_u32 v13, v5, v11
	v_mul_lo_u32 v15, v3, v7
	v_mul_hi_u32 v11, v3, v11
	v_mul_hi_u32 v14, v3, v7
	v_add_co_u32_e32 v11, vcc, v11, v15
	v_addc_co_u32_e32 v14, vcc, 0, v14, vcc
	v_add_co_u32_e32 v11, vcc, v11, v13
	v_mul_hi_u32 v10, v5, v7
	v_addc_co_u32_e32 v11, vcc, v14, v12, vcc
	v_addc_co_u32_e32 v10, vcc, 0, v10, vcc
	v_mul_lo_u32 v7, v5, v7
	v_add_co_u32_e32 v7, vcc, v11, v7
	v_addc_co_u32_e32 v10, vcc, 0, v10, vcc
	v_add_co_u32_e32 v3, vcc, v3, v7
	v_addc_co_u32_e32 v5, vcc, v5, v10, vcc
	v_ashrrev_i32_e32 v7, 31, v9
	v_add_co_u32_e32 v10, vcc, v8, v7
	v_xor_b32_e32 v14, v10, v7
	v_addc_co_u32_e32 v9, vcc, v9, v7, vcc
	v_mad_u64_u32 v[10:11], s[0:1], v14, v5, 0
	v_mul_hi_u32 v12, v14, v3
	v_xor_b32_e32 v9, v9, v7
	v_add_co_u32_e32 v15, vcc, v12, v10
	v_addc_co_u32_e32 v16, vcc, 0, v11, vcc
	v_mad_u64_u32 v[12:13], s[0:1], v9, v3, 0
	v_add_co_u32_e32 v3, vcc, v15, v12
	v_mad_u64_u32 v[10:11], s[0:1], v9, v5, 0
	v_addc_co_u32_e32 v3, vcc, v16, v13, vcc
	v_addc_co_u32_e32 v5, vcc, 0, v11, vcc
	v_add_co_u32_e32 v3, vcc, v3, v10
	v_addc_co_u32_e32 v5, vcc, 0, v5, vcc
	v_mul_lo_u32 v12, s37, v3
	v_mul_lo_u32 v13, s36, v5
	v_mad_u64_u32 v[10:11], s[0:1], s36, v3, 0
	v_add3_u32 v11, v11, v13, v12
	v_sub_u32_e32 v12, v9, v11
	v_mov_b32_e32 v13, s37
	v_sub_co_u32_e32 v10, vcc, v14, v10
	v_subb_co_u32_e64 v12, s[0:1], v12, v13, vcc
	v_subrev_co_u32_e64 v13, s[0:1], s36, v10
	v_subbrev_co_u32_e64 v12, s[0:1], 0, v12, s[0:1]
	v_cmp_le_u32_e64 s[0:1], s37, v12
	v_cndmask_b32_e64 v14, 0, -1, s[0:1]
	v_cmp_le_u32_e64 s[0:1], s36, v13
	v_cndmask_b32_e64 v13, 0, -1, s[0:1]
	v_cmp_eq_u32_e64 s[0:1], s37, v12
	v_cndmask_b32_e64 v12, v14, v13, s[0:1]
	v_add_co_u32_e64 v13, s[0:1], 2, v3
	v_subb_co_u32_e32 v9, vcc, v9, v11, vcc
	v_addc_co_u32_e64 v14, s[0:1], 0, v5, s[0:1]
	v_cmp_le_u32_e32 vcc, s37, v9
	v_add_co_u32_e64 v15, s[0:1], 1, v3
	v_cndmask_b32_e64 v11, 0, -1, vcc
	v_cmp_le_u32_e32 vcc, s36, v10
	v_addc_co_u32_e64 v16, s[0:1], 0, v5, s[0:1]
	v_cndmask_b32_e64 v10, 0, -1, vcc
	v_cmp_eq_u32_e32 vcc, s37, v9
	v_cmp_ne_u32_e64 s[0:1], 0, v12
	v_cndmask_b32_e32 v9, v11, v10, vcc
	v_cmp_ne_u32_e32 vcc, 0, v9
	v_cndmask_b32_e64 v9, v15, v13, s[0:1]
	v_cndmask_b32_e64 v12, v16, v14, s[0:1]
	v_cndmask_b32_e32 v3, v3, v9, vcc
	v_xor_b32_e32 v9, s35, v7
	v_xor_b32_e32 v7, s34, v7
	v_cndmask_b32_e32 v5, v5, v12, vcc
	v_xor_b32_e32 v3, v3, v7
	v_xor_b32_e32 v5, v5, v9
	v_sub_co_u32_e32 v10, vcc, v3, v7
	v_subb_co_u32_e32 v11, vcc, v5, v9, vcc
.LBB16_25:                              ;   in Loop: Header=BB16_23 Depth=2
	s_andn2_saveexec_b64 s[0:1], s[30:31]
	s_cbranch_execz .LBB16_27
; %bb.26:                               ;   in Loop: Header=BB16_23 Depth=2
	v_cvt_f32_u32_e32 v3, s50
	s_sub_i32 s16, 0, s50
	v_mov_b32_e32 v11, v2
	v_rcp_iflag_f32_e32 v3, v3
	v_mul_f32_e32 v3, 0x4f7ffffe, v3
	v_cvt_u32_f32_e32 v3, v3
	v_mul_lo_u32 v5, s16, v3
	v_mul_hi_u32 v5, v3, v5
	v_add_u32_e32 v3, v3, v5
	v_mul_hi_u32 v3, v8, v3
	v_mul_lo_u32 v5, v3, s50
	v_sub_u32_e32 v5, v8, v5
	v_add_u32_e32 v7, 1, v3
	v_subrev_u32_e32 v9, s50, v5
	v_cmp_le_u32_e32 vcc, s50, v5
	v_cndmask_b32_e32 v5, v5, v9, vcc
	v_cndmask_b32_e32 v3, v3, v7, vcc
	v_add_u32_e32 v7, 1, v3
	v_cmp_le_u32_e32 vcc, s50, v5
	v_cndmask_b32_e32 v10, v3, v7, vcc
.LBB16_27:                              ;   in Loop: Header=BB16_23 Depth=2
	s_or_b64 exec, exec, s[0:1]
	s_add_u32 s0, s43, s28
	s_addc_u32 s1, s44, s29
	s_add_i32 s16, s26, 6
	s_lshl_b64 s[28:29], s[16:17], 2
	s_add_u32 s30, s39, s28
	s_addc_u32 s31, s40, s29
	s_load_dword s51, s[30:31], 0x0
	s_load_dword s52, s[0:1], 0x0
                                        ; implicit-def: $vgpr12_vgpr13
	s_waitcnt lgkmcnt(0)
	s_ashr_i32 s0, s51, 31
	v_or_b32_e32 v3, s0, v11
	v_cmp_ne_u64_e32 vcc, 0, v[2:3]
	s_and_saveexec_b64 s[30:31], vcc
	s_xor_b64 s[30:31], exec, s[30:31]
	s_cbranch_execz .LBB16_29
; %bb.28:                               ;   in Loop: Header=BB16_23 Depth=2
	s_add_u32 s36, s51, s0
	s_mov_b32 s34, s0
	s_mov_b32 s35, s0
	s_addc_u32 s37, s0, s0
	s_xor_b64 s[36:37], s[36:37], s[34:35]
	v_cvt_f32_u32_e32 v3, s36
	v_cvt_f32_u32_e32 v5, s37
	s_sub_u32 s0, 0, s36
	s_subb_u32 s1, 0, s37
	v_mac_f32_e32 v3, 0x4f800000, v5
	v_rcp_f32_e32 v3, v3
	v_mul_f32_e32 v3, 0x5f7ffffc, v3
	v_mul_f32_e32 v5, 0x2f800000, v3
	v_trunc_f32_e32 v5, v5
	v_mac_f32_e32 v3, 0xcf800000, v5
	v_cvt_u32_f32_e32 v5, v5
	v_cvt_u32_f32_e32 v3, v3
	v_mul_lo_u32 v7, s0, v5
	v_mul_hi_u32 v12, s0, v3
	v_mul_lo_u32 v9, s1, v3
	v_add_u32_e32 v7, v12, v7
	v_mul_lo_u32 v13, s0, v3
	v_add_u32_e32 v7, v7, v9
	v_mul_lo_u32 v12, v3, v7
	v_mul_hi_u32 v14, v3, v13
	v_mul_hi_u32 v9, v3, v7
	v_add_co_u32_e32 v12, vcc, v14, v12
	v_addc_co_u32_e32 v9, vcc, 0, v9, vcc
	v_mul_hi_u32 v15, v5, v13
	v_mul_lo_u32 v13, v5, v13
	v_add_co_u32_e32 v12, vcc, v12, v13
	v_mul_hi_u32 v14, v5, v7
	v_addc_co_u32_e32 v9, vcc, v9, v15, vcc
	v_addc_co_u32_e32 v12, vcc, 0, v14, vcc
	v_mul_lo_u32 v7, v5, v7
	v_add_co_u32_e32 v7, vcc, v9, v7
	v_addc_co_u32_e32 v9, vcc, 0, v12, vcc
	v_add_co_u32_e32 v3, vcc, v3, v7
	v_addc_co_u32_e32 v5, vcc, v5, v9, vcc
	v_mul_lo_u32 v7, s0, v5
	v_mul_hi_u32 v9, s0, v3
	v_add_u32_e32 v7, v9, v7
	v_mul_lo_u32 v9, s1, v3
	v_add_u32_e32 v7, v7, v9
	v_mul_lo_u32 v12, s0, v3
	v_mul_hi_u32 v13, v5, v12
	v_mul_lo_u32 v14, v5, v12
	v_mul_lo_u32 v16, v3, v7
	v_mul_hi_u32 v12, v3, v12
	v_mul_hi_u32 v15, v3, v7
	v_add_co_u32_e32 v12, vcc, v12, v16
	v_addc_co_u32_e32 v15, vcc, 0, v15, vcc
	v_add_co_u32_e32 v12, vcc, v12, v14
	v_mul_hi_u32 v9, v5, v7
	v_addc_co_u32_e32 v12, vcc, v15, v13, vcc
	v_addc_co_u32_e32 v9, vcc, 0, v9, vcc
	v_mul_lo_u32 v7, v5, v7
	v_add_co_u32_e32 v7, vcc, v12, v7
	v_addc_co_u32_e32 v9, vcc, 0, v9, vcc
	v_add_co_u32_e32 v3, vcc, v3, v7
	v_addc_co_u32_e32 v5, vcc, v5, v9, vcc
	v_ashrrev_i32_e32 v7, 31, v11
	v_add_co_u32_e32 v9, vcc, v10, v7
	v_xor_b32_e32 v9, v9, v7
	v_addc_co_u32_e32 v11, vcc, v11, v7, vcc
	v_mad_u64_u32 v[12:13], s[0:1], v9, v5, 0
	v_mul_hi_u32 v14, v9, v3
	v_xor_b32_e32 v11, v11, v7
	v_add_co_u32_e32 v16, vcc, v14, v12
	v_addc_co_u32_e32 v17, vcc, 0, v13, vcc
	v_mad_u64_u32 v[14:15], s[0:1], v11, v3, 0
	v_add_co_u32_e32 v3, vcc, v16, v14
	v_mad_u64_u32 v[12:13], s[0:1], v11, v5, 0
	v_addc_co_u32_e32 v3, vcc, v17, v15, vcc
	v_addc_co_u32_e32 v5, vcc, 0, v13, vcc
	v_add_co_u32_e32 v3, vcc, v3, v12
	v_addc_co_u32_e32 v5, vcc, 0, v5, vcc
	v_mul_lo_u32 v14, s37, v3
	v_mul_lo_u32 v15, s36, v5
	v_mad_u64_u32 v[12:13], s[0:1], s36, v3, 0
	v_add3_u32 v13, v13, v15, v14
	v_sub_u32_e32 v14, v11, v13
	v_mov_b32_e32 v15, s37
	v_sub_co_u32_e32 v9, vcc, v9, v12
	v_subb_co_u32_e64 v12, s[0:1], v14, v15, vcc
	v_subrev_co_u32_e64 v14, s[0:1], s36, v9
	v_subbrev_co_u32_e64 v12, s[0:1], 0, v12, s[0:1]
	v_cmp_le_u32_e64 s[0:1], s37, v12
	v_cndmask_b32_e64 v15, 0, -1, s[0:1]
	v_cmp_le_u32_e64 s[0:1], s36, v14
	v_cndmask_b32_e64 v14, 0, -1, s[0:1]
	v_cmp_eq_u32_e64 s[0:1], s37, v12
	v_cndmask_b32_e64 v12, v15, v14, s[0:1]
	v_add_co_u32_e64 v14, s[0:1], 2, v3
	v_subb_co_u32_e32 v11, vcc, v11, v13, vcc
	v_addc_co_u32_e64 v15, s[0:1], 0, v5, s[0:1]
	v_cmp_le_u32_e32 vcc, s37, v11
	v_add_co_u32_e64 v16, s[0:1], 1, v3
	v_cndmask_b32_e64 v13, 0, -1, vcc
	v_cmp_le_u32_e32 vcc, s36, v9
	v_addc_co_u32_e64 v17, s[0:1], 0, v5, s[0:1]
	v_cndmask_b32_e64 v9, 0, -1, vcc
	v_cmp_eq_u32_e32 vcc, s37, v11
	v_cmp_ne_u32_e64 s[0:1], 0, v12
	v_cndmask_b32_e32 v9, v13, v9, vcc
	v_cmp_ne_u32_e32 vcc, 0, v9
	v_cndmask_b32_e64 v9, v16, v14, s[0:1]
	v_cndmask_b32_e64 v12, v17, v15, s[0:1]
	v_cndmask_b32_e32 v3, v3, v9, vcc
	v_xor_b32_e32 v9, s35, v7
	v_xor_b32_e32 v7, s34, v7
	v_cndmask_b32_e32 v5, v5, v12, vcc
	v_xor_b32_e32 v3, v3, v7
	v_xor_b32_e32 v5, v5, v9
	v_sub_co_u32_e32 v12, vcc, v3, v7
	v_subb_co_u32_e32 v13, vcc, v5, v9, vcc
.LBB16_29:                              ;   in Loop: Header=BB16_23 Depth=2
	s_andn2_saveexec_b64 s[0:1], s[30:31]
	s_cbranch_execz .LBB16_31
; %bb.30:                               ;   in Loop: Header=BB16_23 Depth=2
	v_cvt_f32_u32_e32 v3, s51
	s_sub_i32 s16, 0, s51
	v_mov_b32_e32 v13, v2
	v_rcp_iflag_f32_e32 v3, v3
	v_mul_f32_e32 v3, 0x4f7ffffe, v3
	v_cvt_u32_f32_e32 v3, v3
	v_mul_lo_u32 v5, s16, v3
	v_mul_hi_u32 v5, v3, v5
	v_add_u32_e32 v3, v3, v5
	v_mul_hi_u32 v3, v10, v3
	v_mul_lo_u32 v5, v3, s51
	v_sub_u32_e32 v5, v10, v5
	v_add_u32_e32 v7, 1, v3
	v_subrev_u32_e32 v9, s51, v5
	v_cmp_le_u32_e32 vcc, s51, v5
	v_cndmask_b32_e32 v5, v5, v9, vcc
	v_cndmask_b32_e32 v3, v3, v7, vcc
	v_add_u32_e32 v7, 1, v3
	v_cmp_le_u32_e32 vcc, s51, v5
	v_cndmask_b32_e32 v12, v3, v7, vcc
.LBB16_31:                              ;   in Loop: Header=BB16_23 Depth=2
	s_or_b64 exec, exec, s[0:1]
	s_add_u32 s0, s43, s28
	s_addc_u32 s1, s44, s29
	s_add_i32 s16, s26, 5
	s_lshl_b64 s[28:29], s[16:17], 2
	s_add_u32 s30, s39, s28
	s_addc_u32 s31, s40, s29
	s_load_dword s53, s[30:31], 0x0
	s_load_dword s54, s[0:1], 0x0
                                        ; implicit-def: $vgpr14_vgpr15
	s_waitcnt lgkmcnt(0)
	s_ashr_i32 s0, s53, 31
	v_or_b32_e32 v3, s0, v13
	v_cmp_ne_u64_e32 vcc, 0, v[2:3]
	s_and_saveexec_b64 s[30:31], vcc
	s_xor_b64 s[30:31], exec, s[30:31]
	s_cbranch_execz .LBB16_33
; %bb.32:                               ;   in Loop: Header=BB16_23 Depth=2
	s_add_u32 s36, s53, s0
	s_mov_b32 s34, s0
	s_mov_b32 s35, s0
	s_addc_u32 s37, s0, s0
	s_xor_b64 s[36:37], s[36:37], s[34:35]
	v_cvt_f32_u32_e32 v3, s36
	v_cvt_f32_u32_e32 v5, s37
	s_sub_u32 s0, 0, s36
	s_subb_u32 s1, 0, s37
	v_mac_f32_e32 v3, 0x4f800000, v5
	v_rcp_f32_e32 v3, v3
	v_mul_f32_e32 v3, 0x5f7ffffc, v3
	v_mul_f32_e32 v5, 0x2f800000, v3
	v_trunc_f32_e32 v5, v5
	v_mac_f32_e32 v3, 0xcf800000, v5
	v_cvt_u32_f32_e32 v5, v5
	v_cvt_u32_f32_e32 v3, v3
	v_mul_lo_u32 v7, s0, v5
	v_mul_hi_u32 v11, s0, v3
	v_mul_lo_u32 v9, s1, v3
	v_add_u32_e32 v7, v11, v7
	v_mul_lo_u32 v14, s0, v3
	v_add_u32_e32 v7, v7, v9
	v_mul_lo_u32 v11, v3, v7
	v_mul_hi_u32 v15, v3, v14
	v_mul_hi_u32 v9, v3, v7
	v_add_co_u32_e32 v11, vcc, v15, v11
	v_addc_co_u32_e32 v9, vcc, 0, v9, vcc
	v_mul_hi_u32 v16, v5, v14
	v_mul_lo_u32 v14, v5, v14
	v_add_co_u32_e32 v11, vcc, v11, v14
	v_mul_hi_u32 v15, v5, v7
	v_addc_co_u32_e32 v9, vcc, v9, v16, vcc
	v_addc_co_u32_e32 v11, vcc, 0, v15, vcc
	v_mul_lo_u32 v7, v5, v7
	v_add_co_u32_e32 v7, vcc, v9, v7
	v_addc_co_u32_e32 v9, vcc, 0, v11, vcc
	v_add_co_u32_e32 v3, vcc, v3, v7
	v_addc_co_u32_e32 v5, vcc, v5, v9, vcc
	v_mul_lo_u32 v7, s0, v5
	v_mul_hi_u32 v9, s0, v3
	v_add_u32_e32 v7, v9, v7
	v_mul_lo_u32 v9, s1, v3
	v_add_u32_e32 v7, v7, v9
	v_mul_lo_u32 v11, s0, v3
	v_mul_hi_u32 v14, v5, v11
	v_mul_lo_u32 v15, v5, v11
	v_mul_lo_u32 v17, v3, v7
	v_mul_hi_u32 v11, v3, v11
	v_mul_hi_u32 v16, v3, v7
	v_add_co_u32_e32 v11, vcc, v11, v17
	v_addc_co_u32_e32 v16, vcc, 0, v16, vcc
	v_add_co_u32_e32 v11, vcc, v11, v15
	v_mul_hi_u32 v9, v5, v7
	v_addc_co_u32_e32 v11, vcc, v16, v14, vcc
	v_addc_co_u32_e32 v9, vcc, 0, v9, vcc
	v_mul_lo_u32 v7, v5, v7
	v_add_co_u32_e32 v7, vcc, v11, v7
	v_addc_co_u32_e32 v9, vcc, 0, v9, vcc
	v_add_co_u32_e32 v3, vcc, v3, v7
	v_addc_co_u32_e32 v5, vcc, v5, v9, vcc
	v_ashrrev_i32_e32 v7, 31, v13
	v_add_co_u32_e32 v9, vcc, v12, v7
	v_xor_b32_e32 v9, v9, v7
	v_addc_co_u32_e32 v11, vcc, v13, v7, vcc
	v_mad_u64_u32 v[14:15], s[0:1], v9, v5, 0
	v_mul_hi_u32 v13, v9, v3
	v_xor_b32_e32 v11, v11, v7
	v_add_co_u32_e32 v13, vcc, v13, v14
	v_addc_co_u32_e32 v18, vcc, 0, v15, vcc
	v_mad_u64_u32 v[16:17], s[0:1], v11, v3, 0
	v_add_co_u32_e32 v3, vcc, v13, v16
	v_mad_u64_u32 v[14:15], s[0:1], v11, v5, 0
	v_addc_co_u32_e32 v3, vcc, v18, v17, vcc
	v_addc_co_u32_e32 v5, vcc, 0, v15, vcc
	v_add_co_u32_e32 v3, vcc, v3, v14
	v_addc_co_u32_e32 v5, vcc, 0, v5, vcc
	v_mul_lo_u32 v13, s37, v3
	v_mul_lo_u32 v16, s36, v5
	v_mad_u64_u32 v[14:15], s[0:1], s36, v3, 0
	v_add3_u32 v13, v15, v16, v13
	v_sub_u32_e32 v15, v11, v13
	v_mov_b32_e32 v16, s37
	v_sub_co_u32_e32 v9, vcc, v9, v14
	v_subb_co_u32_e64 v14, s[0:1], v15, v16, vcc
	v_subrev_co_u32_e64 v15, s[0:1], s36, v9
	v_subbrev_co_u32_e64 v14, s[0:1], 0, v14, s[0:1]
	v_cmp_le_u32_e64 s[0:1], s37, v14
	v_cndmask_b32_e64 v16, 0, -1, s[0:1]
	v_cmp_le_u32_e64 s[0:1], s36, v15
	v_cndmask_b32_e64 v15, 0, -1, s[0:1]
	v_cmp_eq_u32_e64 s[0:1], s37, v14
	v_cndmask_b32_e64 v14, v16, v15, s[0:1]
	v_add_co_u32_e64 v15, s[0:1], 2, v3
	v_subb_co_u32_e32 v11, vcc, v11, v13, vcc
	v_addc_co_u32_e64 v16, s[0:1], 0, v5, s[0:1]
	v_cmp_le_u32_e32 vcc, s37, v11
	v_add_co_u32_e64 v17, s[0:1], 1, v3
	v_cndmask_b32_e64 v13, 0, -1, vcc
	v_cmp_le_u32_e32 vcc, s36, v9
	v_addc_co_u32_e64 v18, s[0:1], 0, v5, s[0:1]
	v_cndmask_b32_e64 v9, 0, -1, vcc
	v_cmp_eq_u32_e32 vcc, s37, v11
	v_cmp_ne_u32_e64 s[0:1], 0, v14
	v_cndmask_b32_e32 v9, v13, v9, vcc
	v_cmp_ne_u32_e32 vcc, 0, v9
	v_cndmask_b32_e64 v9, v17, v15, s[0:1]
	v_cndmask_b32_e64 v14, v18, v16, s[0:1]
	v_cndmask_b32_e32 v3, v3, v9, vcc
	v_xor_b32_e32 v9, s35, v7
	v_xor_b32_e32 v7, s34, v7
	v_cndmask_b32_e32 v5, v5, v14, vcc
	v_xor_b32_e32 v3, v3, v7
	v_xor_b32_e32 v5, v5, v9
	v_sub_co_u32_e32 v14, vcc, v3, v7
	v_subb_co_u32_e32 v15, vcc, v5, v9, vcc
.LBB16_33:                              ;   in Loop: Header=BB16_23 Depth=2
	s_andn2_saveexec_b64 s[0:1], s[30:31]
	s_cbranch_execz .LBB16_35
; %bb.34:                               ;   in Loop: Header=BB16_23 Depth=2
	v_cvt_f32_u32_e32 v3, s53
	s_sub_i32 s16, 0, s53
	v_mov_b32_e32 v15, v2
	v_rcp_iflag_f32_e32 v3, v3
	v_mul_f32_e32 v3, 0x4f7ffffe, v3
	v_cvt_u32_f32_e32 v3, v3
	v_mul_lo_u32 v5, s16, v3
	v_mul_hi_u32 v5, v3, v5
	v_add_u32_e32 v3, v3, v5
	v_mul_hi_u32 v3, v12, v3
	v_mul_lo_u32 v5, v3, s53
	v_sub_u32_e32 v5, v12, v5
	v_add_u32_e32 v7, 1, v3
	v_subrev_u32_e32 v9, s53, v5
	v_cmp_le_u32_e32 vcc, s53, v5
	v_cndmask_b32_e32 v5, v5, v9, vcc
	v_cndmask_b32_e32 v3, v3, v7, vcc
	v_add_u32_e32 v7, 1, v3
	v_cmp_le_u32_e32 vcc, s53, v5
	v_cndmask_b32_e32 v14, v3, v7, vcc
.LBB16_35:                              ;   in Loop: Header=BB16_23 Depth=2
	s_or_b64 exec, exec, s[0:1]
	s_add_u32 s0, s43, s28
	s_addc_u32 s1, s44, s29
	s_add_i32 s16, s26, 4
	s_lshl_b64 s[28:29], s[16:17], 2
	s_add_u32 s30, s39, s28
	s_addc_u32 s31, s40, s29
	s_load_dword s55, s[30:31], 0x0
	s_load_dword s56, s[0:1], 0x0
                                        ; implicit-def: $vgpr16_vgpr17
	s_waitcnt lgkmcnt(0)
	s_ashr_i32 s0, s55, 31
	v_or_b32_e32 v3, s0, v15
	v_cmp_ne_u64_e32 vcc, 0, v[2:3]
	s_and_saveexec_b64 s[30:31], vcc
	s_xor_b64 s[30:31], exec, s[30:31]
	s_cbranch_execz .LBB16_37
; %bb.36:                               ;   in Loop: Header=BB16_23 Depth=2
	s_add_u32 s36, s55, s0
	s_mov_b32 s34, s0
	s_mov_b32 s35, s0
	s_addc_u32 s37, s0, s0
	s_xor_b64 s[36:37], s[36:37], s[34:35]
	v_cvt_f32_u32_e32 v3, s36
	v_cvt_f32_u32_e32 v5, s37
	s_sub_u32 s0, 0, s36
	s_subb_u32 s1, 0, s37
	v_mac_f32_e32 v3, 0x4f800000, v5
	v_rcp_f32_e32 v3, v3
	v_mul_f32_e32 v3, 0x5f7ffffc, v3
	v_mul_f32_e32 v5, 0x2f800000, v3
	v_trunc_f32_e32 v5, v5
	v_mac_f32_e32 v3, 0xcf800000, v5
	v_cvt_u32_f32_e32 v5, v5
	v_cvt_u32_f32_e32 v3, v3
	v_mul_lo_u32 v7, s0, v5
	v_mul_hi_u32 v11, s0, v3
	v_mul_lo_u32 v9, s1, v3
	v_add_u32_e32 v7, v11, v7
	v_mul_lo_u32 v13, s0, v3
	v_add_u32_e32 v7, v7, v9
	v_mul_lo_u32 v11, v3, v7
	v_mul_hi_u32 v16, v3, v13
	v_mul_hi_u32 v9, v3, v7
	v_add_co_u32_e32 v11, vcc, v16, v11
	v_addc_co_u32_e32 v9, vcc, 0, v9, vcc
	v_mul_hi_u32 v17, v5, v13
	v_mul_lo_u32 v13, v5, v13
	v_add_co_u32_e32 v11, vcc, v11, v13
	v_mul_hi_u32 v16, v5, v7
	v_addc_co_u32_e32 v9, vcc, v9, v17, vcc
	v_addc_co_u32_e32 v11, vcc, 0, v16, vcc
	v_mul_lo_u32 v7, v5, v7
	v_add_co_u32_e32 v7, vcc, v9, v7
	v_addc_co_u32_e32 v9, vcc, 0, v11, vcc
	v_add_co_u32_e32 v3, vcc, v3, v7
	v_addc_co_u32_e32 v5, vcc, v5, v9, vcc
	v_mul_lo_u32 v7, s0, v5
	v_mul_hi_u32 v9, s0, v3
	v_add_u32_e32 v7, v9, v7
	v_mul_lo_u32 v9, s1, v3
	v_add_u32_e32 v7, v7, v9
	v_mul_lo_u32 v11, s0, v3
	v_mul_hi_u32 v13, v5, v11
	v_mul_lo_u32 v16, v5, v11
	v_mul_lo_u32 v18, v3, v7
	v_mul_hi_u32 v11, v3, v11
	v_mul_hi_u32 v17, v3, v7
	v_add_co_u32_e32 v11, vcc, v11, v18
	v_addc_co_u32_e32 v17, vcc, 0, v17, vcc
	v_add_co_u32_e32 v11, vcc, v11, v16
	v_mul_hi_u32 v9, v5, v7
	v_addc_co_u32_e32 v11, vcc, v17, v13, vcc
	v_addc_co_u32_e32 v9, vcc, 0, v9, vcc
	v_mul_lo_u32 v7, v5, v7
	v_add_co_u32_e32 v7, vcc, v11, v7
	v_addc_co_u32_e32 v9, vcc, 0, v9, vcc
	v_add_co_u32_e32 v3, vcc, v3, v7
	v_addc_co_u32_e32 v5, vcc, v5, v9, vcc
	v_ashrrev_i32_e32 v7, 31, v15
	v_add_co_u32_e32 v9, vcc, v14, v7
	v_xor_b32_e32 v9, v9, v7
	v_addc_co_u32_e32 v11, vcc, v15, v7, vcc
	v_mad_u64_u32 v[16:17], s[0:1], v9, v5, 0
	v_mul_hi_u32 v13, v9, v3
	v_xor_b32_e32 v11, v11, v7
	v_add_co_u32_e32 v13, vcc, v13, v16
	v_addc_co_u32_e32 v15, vcc, 0, v17, vcc
	v_mad_u64_u32 v[18:19], s[0:1], v11, v3, 0
	v_add_co_u32_e32 v3, vcc, v13, v18
	v_mad_u64_u32 v[16:17], s[0:1], v11, v5, 0
	v_addc_co_u32_e32 v3, vcc, v15, v19, vcc
	v_addc_co_u32_e32 v5, vcc, 0, v17, vcc
	v_add_co_u32_e32 v3, vcc, v3, v16
	v_addc_co_u32_e32 v5, vcc, 0, v5, vcc
	v_mul_lo_u32 v13, s37, v3
	v_mul_lo_u32 v15, s36, v5
	v_mad_u64_u32 v[16:17], s[0:1], s36, v3, 0
	v_add3_u32 v13, v17, v15, v13
	v_sub_u32_e32 v15, v11, v13
	v_mov_b32_e32 v17, s37
	v_sub_co_u32_e32 v9, vcc, v9, v16
	v_subb_co_u32_e64 v15, s[0:1], v15, v17, vcc
	v_subrev_co_u32_e64 v16, s[0:1], s36, v9
	v_subbrev_co_u32_e64 v15, s[0:1], 0, v15, s[0:1]
	v_cmp_le_u32_e64 s[0:1], s37, v15
	v_cndmask_b32_e64 v17, 0, -1, s[0:1]
	v_cmp_le_u32_e64 s[0:1], s36, v16
	v_cndmask_b32_e64 v16, 0, -1, s[0:1]
	v_cmp_eq_u32_e64 s[0:1], s37, v15
	v_cndmask_b32_e64 v15, v17, v16, s[0:1]
	v_add_co_u32_e64 v16, s[0:1], 2, v3
	v_subb_co_u32_e32 v11, vcc, v11, v13, vcc
	v_addc_co_u32_e64 v17, s[0:1], 0, v5, s[0:1]
	v_cmp_le_u32_e32 vcc, s37, v11
	v_add_co_u32_e64 v18, s[0:1], 1, v3
	v_cndmask_b32_e64 v13, 0, -1, vcc
	v_cmp_le_u32_e32 vcc, s36, v9
	v_addc_co_u32_e64 v19, s[0:1], 0, v5, s[0:1]
	v_cndmask_b32_e64 v9, 0, -1, vcc
	v_cmp_eq_u32_e32 vcc, s37, v11
	v_cmp_ne_u32_e64 s[0:1], 0, v15
	v_cndmask_b32_e32 v9, v13, v9, vcc
	v_cmp_ne_u32_e32 vcc, 0, v9
	v_cndmask_b32_e64 v9, v18, v16, s[0:1]
	v_cndmask_b32_e64 v15, v19, v17, s[0:1]
	v_cndmask_b32_e32 v3, v3, v9, vcc
	v_xor_b32_e32 v9, s35, v7
	v_xor_b32_e32 v7, s34, v7
	v_cndmask_b32_e32 v5, v5, v15, vcc
	v_xor_b32_e32 v3, v3, v7
	v_xor_b32_e32 v5, v5, v9
	v_sub_co_u32_e32 v16, vcc, v3, v7
	v_subb_co_u32_e32 v17, vcc, v5, v9, vcc
.LBB16_37:                              ;   in Loop: Header=BB16_23 Depth=2
	s_andn2_saveexec_b64 s[0:1], s[30:31]
	s_cbranch_execz .LBB16_39
; %bb.38:                               ;   in Loop: Header=BB16_23 Depth=2
	v_cvt_f32_u32_e32 v3, s55
	s_sub_i32 s16, 0, s55
	v_mov_b32_e32 v17, v2
	v_rcp_iflag_f32_e32 v3, v3
	v_mul_f32_e32 v3, 0x4f7ffffe, v3
	v_cvt_u32_f32_e32 v3, v3
	v_mul_lo_u32 v5, s16, v3
	v_mul_hi_u32 v5, v3, v5
	v_add_u32_e32 v3, v3, v5
	v_mul_hi_u32 v3, v14, v3
	v_mul_lo_u32 v5, v3, s55
	v_sub_u32_e32 v5, v14, v5
	v_add_u32_e32 v7, 1, v3
	v_subrev_u32_e32 v9, s55, v5
	v_cmp_le_u32_e32 vcc, s55, v5
	v_cndmask_b32_e32 v5, v5, v9, vcc
	v_cndmask_b32_e32 v3, v3, v7, vcc
	v_add_u32_e32 v7, 1, v3
	v_cmp_le_u32_e32 vcc, s55, v5
	v_cndmask_b32_e32 v16, v3, v7, vcc
.LBB16_39:                              ;   in Loop: Header=BB16_23 Depth=2
	s_or_b64 exec, exec, s[0:1]
	s_add_u32 s0, s43, s28
	s_addc_u32 s1, s44, s29
	s_add_i32 s16, s26, 3
	s_lshl_b64 s[28:29], s[16:17], 2
	s_add_u32 s30, s39, s28
	s_addc_u32 s31, s40, s29
	s_load_dword s57, s[30:31], 0x0
	s_load_dword s58, s[0:1], 0x0
                                        ; implicit-def: $vgpr18_vgpr19
	s_waitcnt lgkmcnt(0)
	s_ashr_i32 s0, s57, 31
	v_or_b32_e32 v3, s0, v17
	v_cmp_ne_u64_e32 vcc, 0, v[2:3]
	s_and_saveexec_b64 s[30:31], vcc
	s_xor_b64 s[30:31], exec, s[30:31]
	s_cbranch_execz .LBB16_41
; %bb.40:                               ;   in Loop: Header=BB16_23 Depth=2
	s_add_u32 s36, s57, s0
	s_mov_b32 s34, s0
	s_mov_b32 s35, s0
	s_addc_u32 s37, s0, s0
	s_xor_b64 s[36:37], s[36:37], s[34:35]
	v_cvt_f32_u32_e32 v3, s36
	v_cvt_f32_u32_e32 v5, s37
	s_sub_u32 s0, 0, s36
	s_subb_u32 s1, 0, s37
	v_mac_f32_e32 v3, 0x4f800000, v5
	v_rcp_f32_e32 v3, v3
	v_mul_f32_e32 v3, 0x5f7ffffc, v3
	v_mul_f32_e32 v5, 0x2f800000, v3
	v_trunc_f32_e32 v5, v5
	v_mac_f32_e32 v3, 0xcf800000, v5
	v_cvt_u32_f32_e32 v5, v5
	v_cvt_u32_f32_e32 v3, v3
	v_mul_lo_u32 v7, s0, v5
	v_mul_hi_u32 v11, s0, v3
	v_mul_lo_u32 v9, s1, v3
	v_add_u32_e32 v7, v11, v7
	v_mul_lo_u32 v13, s0, v3
	v_add_u32_e32 v7, v7, v9
	v_mul_lo_u32 v11, v3, v7
	v_mul_hi_u32 v15, v3, v13
	v_mul_hi_u32 v9, v3, v7
	v_add_co_u32_e32 v11, vcc, v15, v11
	v_addc_co_u32_e32 v9, vcc, 0, v9, vcc
	v_mul_hi_u32 v18, v5, v13
	v_mul_lo_u32 v13, v5, v13
	v_add_co_u32_e32 v11, vcc, v11, v13
	v_mul_hi_u32 v15, v5, v7
	v_addc_co_u32_e32 v9, vcc, v9, v18, vcc
	v_addc_co_u32_e32 v11, vcc, 0, v15, vcc
	v_mul_lo_u32 v7, v5, v7
	v_add_co_u32_e32 v7, vcc, v9, v7
	v_addc_co_u32_e32 v9, vcc, 0, v11, vcc
	v_add_co_u32_e32 v3, vcc, v3, v7
	v_addc_co_u32_e32 v5, vcc, v5, v9, vcc
	v_mul_lo_u32 v7, s0, v5
	v_mul_hi_u32 v9, s0, v3
	v_add_u32_e32 v7, v9, v7
	v_mul_lo_u32 v9, s1, v3
	v_add_u32_e32 v7, v7, v9
	v_mul_lo_u32 v11, s0, v3
	v_mul_hi_u32 v13, v5, v11
	v_mul_lo_u32 v15, v5, v11
	v_mul_lo_u32 v19, v3, v7
	v_mul_hi_u32 v11, v3, v11
	v_mul_hi_u32 v18, v3, v7
	v_add_co_u32_e32 v11, vcc, v11, v19
	v_addc_co_u32_e32 v18, vcc, 0, v18, vcc
	v_add_co_u32_e32 v11, vcc, v11, v15
	v_mul_hi_u32 v9, v5, v7
	v_addc_co_u32_e32 v11, vcc, v18, v13, vcc
	v_addc_co_u32_e32 v9, vcc, 0, v9, vcc
	v_mul_lo_u32 v7, v5, v7
	v_add_co_u32_e32 v7, vcc, v11, v7
	v_addc_co_u32_e32 v9, vcc, 0, v9, vcc
	v_add_co_u32_e32 v3, vcc, v3, v7
	v_addc_co_u32_e32 v5, vcc, v5, v9, vcc
	v_ashrrev_i32_e32 v7, 31, v17
	v_add_co_u32_e32 v9, vcc, v16, v7
	v_xor_b32_e32 v9, v9, v7
	v_addc_co_u32_e32 v11, vcc, v17, v7, vcc
	v_mad_u64_u32 v[18:19], s[0:1], v9, v5, 0
	v_mul_hi_u32 v13, v9, v3
	v_xor_b32_e32 v11, v11, v7
	v_add_co_u32_e32 v13, vcc, v13, v18
	v_addc_co_u32_e32 v15, vcc, 0, v19, vcc
	v_mad_u64_u32 v[20:21], s[0:1], v11, v3, 0
	v_add_co_u32_e32 v3, vcc, v13, v20
	v_mad_u64_u32 v[18:19], s[0:1], v11, v5, 0
	v_addc_co_u32_e32 v3, vcc, v15, v21, vcc
	v_addc_co_u32_e32 v5, vcc, 0, v19, vcc
	v_add_co_u32_e32 v3, vcc, v3, v18
	v_addc_co_u32_e32 v5, vcc, 0, v5, vcc
	v_mul_lo_u32 v13, s37, v3
	v_mul_lo_u32 v15, s36, v5
	v_mad_u64_u32 v[18:19], s[0:1], s36, v3, 0
	v_add3_u32 v13, v19, v15, v13
	v_sub_u32_e32 v15, v11, v13
	v_mov_b32_e32 v17, s37
	v_sub_co_u32_e32 v9, vcc, v9, v18
	v_subb_co_u32_e64 v15, s[0:1], v15, v17, vcc
	v_subrev_co_u32_e64 v17, s[0:1], s36, v9
	v_subbrev_co_u32_e64 v15, s[0:1], 0, v15, s[0:1]
	v_cmp_le_u32_e64 s[0:1], s37, v15
	v_cndmask_b32_e64 v18, 0, -1, s[0:1]
	v_cmp_le_u32_e64 s[0:1], s36, v17
	v_cndmask_b32_e64 v17, 0, -1, s[0:1]
	v_cmp_eq_u32_e64 s[0:1], s37, v15
	v_cndmask_b32_e64 v15, v18, v17, s[0:1]
	v_add_co_u32_e64 v17, s[0:1], 2, v3
	v_subb_co_u32_e32 v11, vcc, v11, v13, vcc
	v_addc_co_u32_e64 v18, s[0:1], 0, v5, s[0:1]
	v_cmp_le_u32_e32 vcc, s37, v11
	v_add_co_u32_e64 v19, s[0:1], 1, v3
	v_cndmask_b32_e64 v13, 0, -1, vcc
	v_cmp_le_u32_e32 vcc, s36, v9
	v_addc_co_u32_e64 v20, s[0:1], 0, v5, s[0:1]
	v_cndmask_b32_e64 v9, 0, -1, vcc
	v_cmp_eq_u32_e32 vcc, s37, v11
	v_cmp_ne_u32_e64 s[0:1], 0, v15
	v_cndmask_b32_e32 v9, v13, v9, vcc
	v_cmp_ne_u32_e32 vcc, 0, v9
	v_cndmask_b32_e64 v9, v19, v17, s[0:1]
	v_cndmask_b32_e64 v15, v20, v18, s[0:1]
	v_cndmask_b32_e32 v3, v3, v9, vcc
	v_xor_b32_e32 v9, s35, v7
	v_xor_b32_e32 v7, s34, v7
	v_cndmask_b32_e32 v5, v5, v15, vcc
	v_xor_b32_e32 v3, v3, v7
	v_xor_b32_e32 v5, v5, v9
	v_sub_co_u32_e32 v18, vcc, v3, v7
	v_subb_co_u32_e32 v19, vcc, v5, v9, vcc
.LBB16_41:                              ;   in Loop: Header=BB16_23 Depth=2
	s_andn2_saveexec_b64 s[0:1], s[30:31]
	s_cbranch_execz .LBB16_43
; %bb.42:                               ;   in Loop: Header=BB16_23 Depth=2
	v_cvt_f32_u32_e32 v3, s57
	s_sub_i32 s16, 0, s57
	v_mov_b32_e32 v19, v2
	v_rcp_iflag_f32_e32 v3, v3
	v_mul_f32_e32 v3, 0x4f7ffffe, v3
	v_cvt_u32_f32_e32 v3, v3
	v_mul_lo_u32 v5, s16, v3
	v_mul_hi_u32 v5, v3, v5
	v_add_u32_e32 v3, v3, v5
	v_mul_hi_u32 v3, v16, v3
	v_mul_lo_u32 v5, v3, s57
	v_sub_u32_e32 v5, v16, v5
	v_add_u32_e32 v7, 1, v3
	v_subrev_u32_e32 v9, s57, v5
	v_cmp_le_u32_e32 vcc, s57, v5
	v_cndmask_b32_e32 v5, v5, v9, vcc
	v_cndmask_b32_e32 v3, v3, v7, vcc
	v_add_u32_e32 v7, 1, v3
	v_cmp_le_u32_e32 vcc, s57, v5
	v_cndmask_b32_e32 v18, v3, v7, vcc
.LBB16_43:                              ;   in Loop: Header=BB16_23 Depth=2
	s_or_b64 exec, exec, s[0:1]
	s_add_u32 s0, s43, s28
	s_addc_u32 s1, s44, s29
	s_add_i32 s16, s26, 2
	s_lshl_b64 s[28:29], s[16:17], 2
	s_add_u32 s30, s39, s28
	s_addc_u32 s31, s40, s29
	s_load_dword s59, s[30:31], 0x0
	s_load_dword s60, s[0:1], 0x0
                                        ; implicit-def: $vgpr20_vgpr21
	s_waitcnt lgkmcnt(0)
	s_ashr_i32 s0, s59, 31
	v_or_b32_e32 v3, s0, v19
	v_cmp_ne_u64_e32 vcc, 0, v[2:3]
	s_and_saveexec_b64 s[30:31], vcc
	s_xor_b64 s[30:31], exec, s[30:31]
	s_cbranch_execz .LBB16_45
; %bb.44:                               ;   in Loop: Header=BB16_23 Depth=2
	s_add_u32 s36, s59, s0
	s_mov_b32 s34, s0
	s_mov_b32 s35, s0
	s_addc_u32 s37, s0, s0
	s_xor_b64 s[36:37], s[36:37], s[34:35]
	v_cvt_f32_u32_e32 v3, s36
	v_cvt_f32_u32_e32 v5, s37
	s_sub_u32 s0, 0, s36
	s_subb_u32 s1, 0, s37
	v_mac_f32_e32 v3, 0x4f800000, v5
	v_rcp_f32_e32 v3, v3
	v_mul_f32_e32 v3, 0x5f7ffffc, v3
	v_mul_f32_e32 v5, 0x2f800000, v3
	v_trunc_f32_e32 v5, v5
	v_mac_f32_e32 v3, 0xcf800000, v5
	v_cvt_u32_f32_e32 v5, v5
	v_cvt_u32_f32_e32 v3, v3
	v_mul_lo_u32 v7, s0, v5
	v_mul_hi_u32 v11, s0, v3
	v_mul_lo_u32 v9, s1, v3
	v_add_u32_e32 v7, v11, v7
	v_mul_lo_u32 v13, s0, v3
	v_add_u32_e32 v7, v7, v9
	v_mul_lo_u32 v11, v3, v7
	v_mul_hi_u32 v15, v3, v13
	v_mul_hi_u32 v9, v3, v7
	v_add_co_u32_e32 v11, vcc, v15, v11
	v_addc_co_u32_e32 v9, vcc, 0, v9, vcc
	v_mul_hi_u32 v17, v5, v13
	v_mul_lo_u32 v13, v5, v13
	v_add_co_u32_e32 v11, vcc, v11, v13
	v_mul_hi_u32 v15, v5, v7
	v_addc_co_u32_e32 v9, vcc, v9, v17, vcc
	v_addc_co_u32_e32 v11, vcc, 0, v15, vcc
	v_mul_lo_u32 v7, v5, v7
	v_add_co_u32_e32 v7, vcc, v9, v7
	v_addc_co_u32_e32 v9, vcc, 0, v11, vcc
	v_add_co_u32_e32 v3, vcc, v3, v7
	v_addc_co_u32_e32 v5, vcc, v5, v9, vcc
	v_mul_lo_u32 v7, s0, v5
	v_mul_hi_u32 v9, s0, v3
	v_add_u32_e32 v7, v9, v7
	v_mul_lo_u32 v9, s1, v3
	v_add_u32_e32 v7, v7, v9
	v_mul_lo_u32 v11, s0, v3
	v_mul_hi_u32 v13, v5, v11
	v_mul_lo_u32 v15, v5, v11
	v_mul_lo_u32 v20, v3, v7
	v_mul_hi_u32 v11, v3, v11
	v_mul_hi_u32 v17, v3, v7
	v_add_co_u32_e32 v11, vcc, v11, v20
	v_addc_co_u32_e32 v17, vcc, 0, v17, vcc
	v_add_co_u32_e32 v11, vcc, v11, v15
	v_mul_hi_u32 v9, v5, v7
	v_addc_co_u32_e32 v11, vcc, v17, v13, vcc
	v_addc_co_u32_e32 v9, vcc, 0, v9, vcc
	v_mul_lo_u32 v7, v5, v7
	v_add_co_u32_e32 v7, vcc, v11, v7
	v_addc_co_u32_e32 v9, vcc, 0, v9, vcc
	v_add_co_u32_e32 v3, vcc, v3, v7
	v_addc_co_u32_e32 v5, vcc, v5, v9, vcc
	v_ashrrev_i32_e32 v7, 31, v19
	v_add_co_u32_e32 v9, vcc, v18, v7
	v_xor_b32_e32 v9, v9, v7
	v_addc_co_u32_e32 v11, vcc, v19, v7, vcc
	v_mad_u64_u32 v[20:21], s[0:1], v9, v5, 0
	v_mul_hi_u32 v13, v9, v3
	v_xor_b32_e32 v11, v11, v7
	v_add_co_u32_e32 v13, vcc, v13, v20
	v_addc_co_u32_e32 v15, vcc, 0, v21, vcc
	v_mad_u64_u32 v[22:23], s[0:1], v11, v3, 0
	v_add_co_u32_e32 v3, vcc, v13, v22
	v_mad_u64_u32 v[20:21], s[0:1], v11, v5, 0
	v_addc_co_u32_e32 v3, vcc, v15, v23, vcc
	v_addc_co_u32_e32 v5, vcc, 0, v21, vcc
	v_add_co_u32_e32 v3, vcc, v3, v20
	v_addc_co_u32_e32 v5, vcc, 0, v5, vcc
	v_mul_lo_u32 v13, s37, v3
	v_mul_lo_u32 v15, s36, v5
	v_mad_u64_u32 v[20:21], s[0:1], s36, v3, 0
	v_add3_u32 v13, v21, v15, v13
	v_sub_u32_e32 v15, v11, v13
	v_mov_b32_e32 v17, s37
	v_sub_co_u32_e32 v9, vcc, v9, v20
	v_subb_co_u32_e64 v15, s[0:1], v15, v17, vcc
	v_subrev_co_u32_e64 v17, s[0:1], s36, v9
	v_subbrev_co_u32_e64 v15, s[0:1], 0, v15, s[0:1]
	v_cmp_le_u32_e64 s[0:1], s37, v15
	v_cndmask_b32_e64 v19, 0, -1, s[0:1]
	v_cmp_le_u32_e64 s[0:1], s36, v17
	v_cndmask_b32_e64 v17, 0, -1, s[0:1]
	v_cmp_eq_u32_e64 s[0:1], s37, v15
	v_cndmask_b32_e64 v15, v19, v17, s[0:1]
	v_add_co_u32_e64 v17, s[0:1], 2, v3
	v_subb_co_u32_e32 v11, vcc, v11, v13, vcc
	v_addc_co_u32_e64 v19, s[0:1], 0, v5, s[0:1]
	v_cmp_le_u32_e32 vcc, s37, v11
	v_add_co_u32_e64 v20, s[0:1], 1, v3
	v_cndmask_b32_e64 v13, 0, -1, vcc
	v_cmp_le_u32_e32 vcc, s36, v9
	v_addc_co_u32_e64 v21, s[0:1], 0, v5, s[0:1]
	v_cndmask_b32_e64 v9, 0, -1, vcc
	v_cmp_eq_u32_e32 vcc, s37, v11
	v_cmp_ne_u32_e64 s[0:1], 0, v15
	v_cndmask_b32_e32 v9, v13, v9, vcc
	v_cmp_ne_u32_e32 vcc, 0, v9
	v_cndmask_b32_e64 v9, v20, v17, s[0:1]
	v_cndmask_b32_e64 v15, v21, v19, s[0:1]
	v_cndmask_b32_e32 v3, v3, v9, vcc
	v_xor_b32_e32 v9, s35, v7
	v_xor_b32_e32 v7, s34, v7
	v_cndmask_b32_e32 v5, v5, v15, vcc
	v_xor_b32_e32 v3, v3, v7
	v_xor_b32_e32 v5, v5, v9
	v_sub_co_u32_e32 v20, vcc, v3, v7
	v_subb_co_u32_e32 v21, vcc, v5, v9, vcc
.LBB16_45:                              ;   in Loop: Header=BB16_23 Depth=2
	s_andn2_saveexec_b64 s[0:1], s[30:31]
	s_cbranch_execz .LBB16_47
; %bb.46:                               ;   in Loop: Header=BB16_23 Depth=2
	v_cvt_f32_u32_e32 v3, s59
	s_sub_i32 s16, 0, s59
	v_mov_b32_e32 v21, v2
	v_rcp_iflag_f32_e32 v3, v3
	v_mul_f32_e32 v3, 0x4f7ffffe, v3
	v_cvt_u32_f32_e32 v3, v3
	v_mul_lo_u32 v5, s16, v3
	v_mul_hi_u32 v5, v3, v5
	v_add_u32_e32 v3, v3, v5
	v_mul_hi_u32 v3, v18, v3
	v_mul_lo_u32 v5, v3, s59
	v_sub_u32_e32 v5, v18, v5
	v_add_u32_e32 v7, 1, v3
	v_subrev_u32_e32 v9, s59, v5
	v_cmp_le_u32_e32 vcc, s59, v5
	v_cndmask_b32_e32 v5, v5, v9, vcc
	v_cndmask_b32_e32 v3, v3, v7, vcc
	v_add_u32_e32 v7, 1, v3
	v_cmp_le_u32_e32 vcc, s59, v5
	v_cndmask_b32_e32 v20, v3, v7, vcc
.LBB16_47:                              ;   in Loop: Header=BB16_23 Depth=2
	s_or_b64 exec, exec, s[0:1]
	s_add_u32 s0, s43, s28
	s_addc_u32 s1, s44, s29
	s_add_i32 s16, s26, 1
	s_lshl_b64 s[28:29], s[16:17], 2
	s_add_u32 s30, s39, s28
	s_addc_u32 s31, s40, s29
	s_load_dword s16, s[30:31], 0x0
	s_load_dword s61, s[0:1], 0x0
                                        ; implicit-def: $vgpr22_vgpr23
	s_waitcnt lgkmcnt(0)
	s_ashr_i32 s0, s16, 31
	v_or_b32_e32 v3, s0, v21
	v_cmp_ne_u64_e32 vcc, 0, v[2:3]
	s_and_saveexec_b64 s[30:31], vcc
	s_xor_b64 s[30:31], exec, s[30:31]
	s_cbranch_execz .LBB16_49
; %bb.48:                               ;   in Loop: Header=BB16_23 Depth=2
	s_add_u32 s36, s16, s0
	s_mov_b32 s34, s0
	s_mov_b32 s35, s0
	s_addc_u32 s37, s0, s0
	s_xor_b64 s[36:37], s[36:37], s[34:35]
	v_cvt_f32_u32_e32 v3, s36
	v_cvt_f32_u32_e32 v5, s37
	s_sub_u32 s0, 0, s36
	s_subb_u32 s1, 0, s37
	v_mac_f32_e32 v3, 0x4f800000, v5
	v_rcp_f32_e32 v3, v3
	v_mul_f32_e32 v3, 0x5f7ffffc, v3
	v_mul_f32_e32 v5, 0x2f800000, v3
	v_trunc_f32_e32 v5, v5
	v_mac_f32_e32 v3, 0xcf800000, v5
	v_cvt_u32_f32_e32 v5, v5
	v_cvt_u32_f32_e32 v3, v3
	v_mul_lo_u32 v7, s0, v5
	v_mul_hi_u32 v11, s0, v3
	v_mul_lo_u32 v9, s1, v3
	v_add_u32_e32 v7, v11, v7
	v_mul_lo_u32 v13, s0, v3
	v_add_u32_e32 v7, v7, v9
	v_mul_lo_u32 v11, v3, v7
	v_mul_hi_u32 v15, v3, v13
	v_mul_hi_u32 v9, v3, v7
	v_add_co_u32_e32 v11, vcc, v15, v11
	v_addc_co_u32_e32 v9, vcc, 0, v9, vcc
	v_mul_hi_u32 v17, v5, v13
	v_mul_lo_u32 v13, v5, v13
	v_add_co_u32_e32 v11, vcc, v11, v13
	v_mul_hi_u32 v15, v5, v7
	v_addc_co_u32_e32 v9, vcc, v9, v17, vcc
	v_addc_co_u32_e32 v11, vcc, 0, v15, vcc
	v_mul_lo_u32 v7, v5, v7
	v_add_co_u32_e32 v7, vcc, v9, v7
	v_addc_co_u32_e32 v9, vcc, 0, v11, vcc
	v_add_co_u32_e32 v3, vcc, v3, v7
	v_addc_co_u32_e32 v5, vcc, v5, v9, vcc
	v_mul_lo_u32 v7, s0, v5
	v_mul_hi_u32 v9, s0, v3
	v_add_u32_e32 v7, v9, v7
	v_mul_lo_u32 v9, s1, v3
	v_add_u32_e32 v7, v7, v9
	v_mul_lo_u32 v11, s0, v3
	v_mul_hi_u32 v13, v5, v11
	v_mul_lo_u32 v15, v5, v11
	v_mul_lo_u32 v19, v3, v7
	v_mul_hi_u32 v11, v3, v11
	v_mul_hi_u32 v17, v3, v7
	v_add_co_u32_e32 v11, vcc, v11, v19
	v_addc_co_u32_e32 v17, vcc, 0, v17, vcc
	v_add_co_u32_e32 v11, vcc, v11, v15
	v_mul_hi_u32 v9, v5, v7
	v_addc_co_u32_e32 v11, vcc, v17, v13, vcc
	v_addc_co_u32_e32 v9, vcc, 0, v9, vcc
	v_mul_lo_u32 v7, v5, v7
	v_add_co_u32_e32 v7, vcc, v11, v7
	v_addc_co_u32_e32 v9, vcc, 0, v9, vcc
	v_add_co_u32_e32 v3, vcc, v3, v7
	v_addc_co_u32_e32 v5, vcc, v5, v9, vcc
	v_ashrrev_i32_e32 v7, 31, v21
	v_add_co_u32_e32 v9, vcc, v20, v7
	v_xor_b32_e32 v9, v9, v7
	v_addc_co_u32_e32 v11, vcc, v21, v7, vcc
	v_mad_u64_u32 v[22:23], s[0:1], v9, v5, 0
	v_mul_hi_u32 v13, v9, v3
	v_xor_b32_e32 v11, v11, v7
	v_add_co_u32_e32 v13, vcc, v13, v22
	v_addc_co_u32_e32 v15, vcc, 0, v23, vcc
	v_mad_u64_u32 v[24:25], s[0:1], v11, v3, 0
	v_add_co_u32_e32 v3, vcc, v13, v24
	v_mad_u64_u32 v[22:23], s[0:1], v11, v5, 0
	v_addc_co_u32_e32 v3, vcc, v15, v25, vcc
	v_addc_co_u32_e32 v5, vcc, 0, v23, vcc
	v_add_co_u32_e32 v3, vcc, v3, v22
	v_addc_co_u32_e32 v5, vcc, 0, v5, vcc
	v_mul_lo_u32 v13, s37, v3
	v_mul_lo_u32 v15, s36, v5
	v_mad_u64_u32 v[22:23], s[0:1], s36, v3, 0
	v_add3_u32 v13, v23, v15, v13
	v_sub_u32_e32 v15, v11, v13
	v_mov_b32_e32 v17, s37
	v_sub_co_u32_e32 v9, vcc, v9, v22
	v_subb_co_u32_e64 v15, s[0:1], v15, v17, vcc
	v_subrev_co_u32_e64 v17, s[0:1], s36, v9
	v_subbrev_co_u32_e64 v15, s[0:1], 0, v15, s[0:1]
	v_cmp_le_u32_e64 s[0:1], s37, v15
	v_cndmask_b32_e64 v19, 0, -1, s[0:1]
	v_cmp_le_u32_e64 s[0:1], s36, v17
	v_cndmask_b32_e64 v17, 0, -1, s[0:1]
	v_cmp_eq_u32_e64 s[0:1], s37, v15
	v_cndmask_b32_e64 v15, v19, v17, s[0:1]
	v_add_co_u32_e64 v17, s[0:1], 2, v3
	v_subb_co_u32_e32 v11, vcc, v11, v13, vcc
	v_addc_co_u32_e64 v19, s[0:1], 0, v5, s[0:1]
	v_cmp_le_u32_e32 vcc, s37, v11
	v_add_co_u32_e64 v21, s[0:1], 1, v3
	v_cndmask_b32_e64 v13, 0, -1, vcc
	v_cmp_le_u32_e32 vcc, s36, v9
	v_addc_co_u32_e64 v22, s[0:1], 0, v5, s[0:1]
	v_cndmask_b32_e64 v9, 0, -1, vcc
	v_cmp_eq_u32_e32 vcc, s37, v11
	v_cmp_ne_u32_e64 s[0:1], 0, v15
	v_cndmask_b32_e32 v9, v13, v9, vcc
	v_cmp_ne_u32_e32 vcc, 0, v9
	v_cndmask_b32_e64 v9, v21, v17, s[0:1]
	v_cndmask_b32_e64 v15, v22, v19, s[0:1]
	v_cndmask_b32_e32 v3, v3, v9, vcc
	v_xor_b32_e32 v9, s35, v7
	v_xor_b32_e32 v7, s34, v7
	v_cndmask_b32_e32 v5, v5, v15, vcc
	v_xor_b32_e32 v3, v3, v7
	v_xor_b32_e32 v5, v5, v9
	v_sub_co_u32_e32 v22, vcc, v3, v7
	v_subb_co_u32_e32 v23, vcc, v5, v9, vcc
.LBB16_49:                              ;   in Loop: Header=BB16_23 Depth=2
	s_andn2_saveexec_b64 s[0:1], s[30:31]
	s_cbranch_execz .LBB16_51
; %bb.50:                               ;   in Loop: Header=BB16_23 Depth=2
	v_cvt_f32_u32_e32 v3, s16
	s_sub_i32 s27, 0, s16
	v_mov_b32_e32 v23, v2
	v_rcp_iflag_f32_e32 v3, v3
	v_mul_f32_e32 v3, 0x4f7ffffe, v3
	v_cvt_u32_f32_e32 v3, v3
	v_mul_lo_u32 v5, s27, v3
	v_mul_hi_u32 v5, v3, v5
	v_add_u32_e32 v3, v3, v5
	v_mul_hi_u32 v3, v20, v3
	v_mul_lo_u32 v5, v3, s16
	v_sub_u32_e32 v5, v20, v5
	v_add_u32_e32 v7, 1, v3
	v_subrev_u32_e32 v9, s16, v5
	v_cmp_le_u32_e32 vcc, s16, v5
	v_cndmask_b32_e32 v5, v5, v9, vcc
	v_cndmask_b32_e32 v3, v3, v7, vcc
	v_add_u32_e32 v7, 1, v3
	v_cmp_le_u32_e32 vcc, s16, v5
	v_cndmask_b32_e32 v22, v3, v7, vcc
.LBB16_51:                              ;   in Loop: Header=BB16_23 Depth=2
	s_or_b64 exec, exec, s[0:1]
	s_add_u32 s0, s43, s28
	s_mov_b32 s27, s17
	s_addc_u32 s1, s44, s29
	s_lshl_b64 s[28:29], s[26:27], 2
	s_add_u32 s30, s39, s28
	s_addc_u32 s31, s40, s29
	s_load_dword s27, s[30:31], 0x0
	s_load_dword s62, s[0:1], 0x0
                                        ; implicit-def: $vgpr24_vgpr25
	s_waitcnt lgkmcnt(0)
	s_ashr_i32 s0, s27, 31
	v_or_b32_e32 v3, s0, v23
	v_cmp_ne_u64_e32 vcc, 0, v[2:3]
	s_and_saveexec_b64 s[30:31], vcc
	s_xor_b64 s[30:31], exec, s[30:31]
	s_cbranch_execz .LBB16_53
; %bb.52:                               ;   in Loop: Header=BB16_23 Depth=2
	s_add_u32 s36, s27, s0
	s_mov_b32 s34, s0
	s_mov_b32 s35, s0
	s_addc_u32 s37, s0, s0
	s_xor_b64 s[36:37], s[36:37], s[34:35]
	v_cvt_f32_u32_e32 v3, s36
	v_cvt_f32_u32_e32 v5, s37
	s_sub_u32 s0, 0, s36
	s_subb_u32 s1, 0, s37
	v_mac_f32_e32 v3, 0x4f800000, v5
	v_rcp_f32_e32 v3, v3
	v_mul_f32_e32 v3, 0x5f7ffffc, v3
	v_mul_f32_e32 v5, 0x2f800000, v3
	v_trunc_f32_e32 v5, v5
	v_mac_f32_e32 v3, 0xcf800000, v5
	v_cvt_u32_f32_e32 v5, v5
	v_cvt_u32_f32_e32 v3, v3
	v_mul_lo_u32 v7, s0, v5
	v_mul_hi_u32 v11, s0, v3
	v_mul_lo_u32 v9, s1, v3
	v_add_u32_e32 v7, v11, v7
	v_mul_lo_u32 v13, s0, v3
	v_add_u32_e32 v7, v7, v9
	v_mul_lo_u32 v11, v3, v7
	v_mul_hi_u32 v15, v3, v13
	v_mul_hi_u32 v9, v3, v7
	v_add_co_u32_e32 v11, vcc, v15, v11
	v_addc_co_u32_e32 v9, vcc, 0, v9, vcc
	v_mul_hi_u32 v17, v5, v13
	v_mul_lo_u32 v13, v5, v13
	v_add_co_u32_e32 v11, vcc, v11, v13
	v_mul_hi_u32 v15, v5, v7
	v_addc_co_u32_e32 v9, vcc, v9, v17, vcc
	v_addc_co_u32_e32 v11, vcc, 0, v15, vcc
	v_mul_lo_u32 v7, v5, v7
	v_add_co_u32_e32 v7, vcc, v9, v7
	v_addc_co_u32_e32 v9, vcc, 0, v11, vcc
	v_add_co_u32_e32 v3, vcc, v3, v7
	v_addc_co_u32_e32 v5, vcc, v5, v9, vcc
	v_mul_lo_u32 v7, s0, v5
	v_mul_hi_u32 v9, s0, v3
	v_add_u32_e32 v7, v9, v7
	v_mul_lo_u32 v9, s1, v3
	v_add_u32_e32 v7, v7, v9
	v_mul_lo_u32 v11, s0, v3
	v_mul_hi_u32 v13, v5, v11
	v_mul_lo_u32 v15, v5, v11
	v_mul_lo_u32 v19, v3, v7
	v_mul_hi_u32 v11, v3, v11
	v_mul_hi_u32 v17, v3, v7
	v_add_co_u32_e32 v11, vcc, v11, v19
	v_addc_co_u32_e32 v17, vcc, 0, v17, vcc
	v_add_co_u32_e32 v11, vcc, v11, v15
	v_mul_hi_u32 v9, v5, v7
	v_addc_co_u32_e32 v11, vcc, v17, v13, vcc
	v_addc_co_u32_e32 v9, vcc, 0, v9, vcc
	v_mul_lo_u32 v7, v5, v7
	v_add_co_u32_e32 v7, vcc, v11, v7
	v_addc_co_u32_e32 v9, vcc, 0, v9, vcc
	v_add_co_u32_e32 v3, vcc, v3, v7
	v_addc_co_u32_e32 v5, vcc, v5, v9, vcc
	v_ashrrev_i32_e32 v7, 31, v23
	v_add_co_u32_e32 v9, vcc, v22, v7
	v_xor_b32_e32 v9, v9, v7
	v_addc_co_u32_e32 v11, vcc, v23, v7, vcc
	v_mad_u64_u32 v[24:25], s[0:1], v9, v5, 0
	v_mul_hi_u32 v13, v9, v3
	v_xor_b32_e32 v11, v11, v7
	v_add_co_u32_e32 v13, vcc, v13, v24
	v_addc_co_u32_e32 v15, vcc, 0, v25, vcc
	v_mad_u64_u32 v[30:31], s[0:1], v11, v3, 0
	v_add_co_u32_e32 v3, vcc, v13, v30
	v_mad_u64_u32 v[24:25], s[0:1], v11, v5, 0
	v_addc_co_u32_e32 v3, vcc, v15, v31, vcc
	v_addc_co_u32_e32 v5, vcc, 0, v25, vcc
	v_add_co_u32_e32 v3, vcc, v3, v24
	v_addc_co_u32_e32 v5, vcc, 0, v5, vcc
	v_mul_lo_u32 v13, s37, v3
	v_mul_lo_u32 v15, s36, v5
	v_mad_u64_u32 v[24:25], s[0:1], s36, v3, 0
	v_add3_u32 v13, v25, v15, v13
	v_sub_u32_e32 v15, v11, v13
	v_mov_b32_e32 v17, s37
	v_sub_co_u32_e32 v9, vcc, v9, v24
	v_subb_co_u32_e64 v15, s[0:1], v15, v17, vcc
	v_subrev_co_u32_e64 v17, s[0:1], s36, v9
	v_subbrev_co_u32_e64 v15, s[0:1], 0, v15, s[0:1]
	v_cmp_le_u32_e64 s[0:1], s37, v15
	v_cndmask_b32_e64 v19, 0, -1, s[0:1]
	v_cmp_le_u32_e64 s[0:1], s36, v17
	v_cndmask_b32_e64 v17, 0, -1, s[0:1]
	v_cmp_eq_u32_e64 s[0:1], s37, v15
	v_cndmask_b32_e64 v15, v19, v17, s[0:1]
	v_add_co_u32_e64 v17, s[0:1], 2, v3
	v_subb_co_u32_e32 v11, vcc, v11, v13, vcc
	v_addc_co_u32_e64 v19, s[0:1], 0, v5, s[0:1]
	v_cmp_le_u32_e32 vcc, s37, v11
	v_add_co_u32_e64 v21, s[0:1], 1, v3
	v_cndmask_b32_e64 v13, 0, -1, vcc
	v_cmp_le_u32_e32 vcc, s36, v9
	v_addc_co_u32_e64 v23, s[0:1], 0, v5, s[0:1]
	v_cndmask_b32_e64 v9, 0, -1, vcc
	v_cmp_eq_u32_e32 vcc, s37, v11
	v_cmp_ne_u32_e64 s[0:1], 0, v15
	v_cndmask_b32_e32 v9, v13, v9, vcc
	v_cmp_ne_u32_e32 vcc, 0, v9
	v_cndmask_b32_e64 v9, v21, v17, s[0:1]
	v_cndmask_b32_e64 v15, v23, v19, s[0:1]
	v_cndmask_b32_e32 v3, v3, v9, vcc
	v_xor_b32_e32 v9, s35, v7
	v_xor_b32_e32 v7, s34, v7
	v_cndmask_b32_e32 v5, v5, v15, vcc
	v_xor_b32_e32 v3, v3, v7
	v_xor_b32_e32 v5, v5, v9
	v_sub_co_u32_e32 v24, vcc, v3, v7
	v_subb_co_u32_e32 v25, vcc, v5, v9, vcc
.LBB16_53:                              ;   in Loop: Header=BB16_23 Depth=2
	s_andn2_saveexec_b64 s[0:1], s[30:31]
	s_cbranch_execz .LBB16_55
; %bb.54:                               ;   in Loop: Header=BB16_23 Depth=2
	v_cvt_f32_u32_e32 v3, s27
	s_sub_i32 s30, 0, s27
	v_mov_b32_e32 v25, v2
	v_rcp_iflag_f32_e32 v3, v3
	v_mul_f32_e32 v3, 0x4f7ffffe, v3
	v_cvt_u32_f32_e32 v3, v3
	v_mul_lo_u32 v5, s30, v3
	v_mul_hi_u32 v5, v3, v5
	v_add_u32_e32 v3, v3, v5
	v_mul_hi_u32 v3, v22, v3
	v_mul_lo_u32 v5, v3, s27
	v_sub_u32_e32 v5, v22, v5
	v_add_u32_e32 v7, 1, v3
	v_subrev_u32_e32 v9, s27, v5
	v_cmp_le_u32_e32 vcc, s27, v5
	v_cndmask_b32_e32 v5, v5, v9, vcc
	v_cndmask_b32_e32 v3, v3, v7, vcc
	v_add_u32_e32 v7, 1, v3
	v_cmp_le_u32_e32 vcc, s27, v5
	v_cndmask_b32_e32 v24, v3, v7, vcc
.LBB16_55:                              ;   in Loop: Header=BB16_23 Depth=2
	s_or_b64 exec, exec, s[0:1]
	v_mul_lo_u32 v3, v10, s50
	v_mul_lo_u32 v5, v12, s51
	v_sub_u32_e32 v3, v8, v3
	v_sub_u32_e32 v5, v10, v5
	v_mul_lo_u32 v3, s52, v3
	v_mul_lo_u32 v5, s54, v5
	v_add3_u32 v3, v3, v4, v5
	v_mul_lo_u32 v4, v14, s53
	v_mul_lo_u32 v5, v16, s55
	v_sub_u32_e32 v4, v12, v4
	v_sub_u32_e32 v5, v14, v5
	s_add_u32 s0, s43, s28
	v_mul_lo_u32 v4, s56, v4
	v_mul_lo_u32 v5, s58, v5
	s_addc_u32 s1, s44, s29
	v_add3_u32 v3, v4, v3, v5
	v_mul_lo_u32 v4, v18, s57
	v_mul_lo_u32 v5, v20, s59
	s_load_dword s0, s[0:1], 0x0
	v_sub_u32_e32 v4, v16, v4
	v_sub_u32_e32 v5, v18, v5
	v_mul_lo_u32 v4, s60, v4
	v_mul_lo_u32 v5, s61, v5
	v_add3_u32 v3, v4, v3, v5
	v_mul_lo_u32 v4, v22, s16
	v_mul_lo_u32 v5, v24, s27
	v_sub_u32_e32 v4, v20, v4
	v_sub_u32_e32 v5, v22, v5
	v_mul_lo_u32 v4, s62, v4
	s_waitcnt lgkmcnt(0)
	v_mul_lo_u32 v5, s0, v5
	s_add_i32 s26, s26, -8
	s_cmp_eq_u32 s26, -8
	v_add3_u32 v4, v4, v3, v5
	s_cbranch_scc1 .LBB16_57
; %bb.56:                               ;   in Loop: Header=BB16_23 Depth=2
	v_pk_mov_b32 v[8:9], v[24:25], v[24:25] op_sel:[0,1]
	s_branch .LBB16_23
.LBB16_57:                              ;   in Loop: Header=BB16_3 Depth=1
	s_load_dword s16, s[14:15], 0x0
	s_waitcnt lgkmcnt(0)
	v_cmp_gt_i32_e32 vcc, s16, v28
	s_and_b64 exec, exec, vcc
	s_cbranch_execz .LBB16_2
; %bb.58:                               ;   in Loop: Header=BB16_3 Depth=1
	v_ashrrev_i32_e32 v7, 31, v6
	v_cmp_lt_i64_e32 vcc, s[8:9], v[6:7]
	s_and_saveexec_b64 s[0:1], vcc
	s_cbranch_execz .LBB16_60
; %bb.59:                               ;   in Loop: Header=BB16_3 Depth=1
	v_ashrrev_i32_e32 v5, 31, v4
	v_lshlrev_b64 v[6:7], 1, v[4:5]
	v_mov_b32_e32 v3, s3
	v_add_co_u32_e32 v6, vcc, s2, v6
	v_addc_co_u32_e32 v7, vcc, v3, v7, vcc
	global_store_short v[6:7], v2, off
.LBB16_60:                              ;   in Loop: Header=BB16_3 Depth=1
	s_or_b64 exec, exec, s[0:1]
	v_add_u32_e32 v3, 1, v28
	v_cmp_gt_i32_e32 vcc, s16, v3
	s_and_b64 exec, exec, vcc
	s_cbranch_execz .LBB16_2
; %bb.61:                               ;   in Loop: Header=BB16_3 Depth=1
	v_sub_u32_e32 v6, v3, v27
	v_ashrrev_i32_e32 v7, 31, v6
	v_cmp_lt_i64_e32 vcc, s[8:9], v[6:7]
	s_and_saveexec_b64 s[0:1], vcc
	s_cbranch_execz .LBB16_63
; %bb.62:                               ;   in Loop: Header=BB16_3 Depth=1
	v_add_u32_e32 v6, s49, v4
	v_ashrrev_i32_e32 v7, 31, v6
	v_lshlrev_b64 v[6:7], 1, v[6:7]
	v_mov_b32_e32 v3, s3
	v_add_co_u32_e32 v6, vcc, s2, v6
	v_addc_co_u32_e32 v7, vcc, v3, v7, vcc
	global_store_short v[6:7], v2, off
.LBB16_63:                              ;   in Loop: Header=BB16_3 Depth=1
	s_or_b64 exec, exec, s[0:1]
	v_add_u32_e32 v3, 2, v28
	v_cmp_gt_i32_e32 vcc, s16, v3
	s_and_b64 exec, exec, vcc
	s_cbranch_execz .LBB16_2
; %bb.64:                               ;   in Loop: Header=BB16_3 Depth=1
	v_sub_u32_e32 v6, v3, v27
	v_ashrrev_i32_e32 v7, 31, v6
	v_cmp_lt_i64_e32 vcc, s[8:9], v[6:7]
	s_and_saveexec_b64 s[0:1], vcc
	s_cbranch_execz .LBB16_66
; %bb.65:                               ;   in Loop: Header=BB16_3 Depth=1
	v_lshl_add_u32 v6, s49, 1, v4
	v_ashrrev_i32_e32 v7, 31, v6
	v_lshlrev_b64 v[6:7], 1, v[6:7]
	v_mov_b32_e32 v3, s3
	v_add_co_u32_e32 v6, vcc, s2, v6
	v_addc_co_u32_e32 v7, vcc, v3, v7, vcc
	global_store_short v[6:7], v2, off
.LBB16_66:                              ;   in Loop: Header=BB16_3 Depth=1
	s_or_b64 exec, exec, s[0:1]
	v_add_u32_e32 v3, 3, v28
	v_cmp_gt_i32_e32 vcc, s16, v3
	s_and_b64 exec, exec, vcc
	s_cbranch_execz .LBB16_2
; %bb.67:                               ;   in Loop: Header=BB16_3 Depth=1
	v_sub_u32_e32 v6, v3, v27
	v_ashrrev_i32_e32 v7, 31, v6
	v_cmp_lt_i64_e32 vcc, s[8:9], v[6:7]
	s_and_b64 exec, exec, vcc
	s_cbranch_execz .LBB16_2
; %bb.68:                               ;   in Loop: Header=BB16_3 Depth=1
	v_mad_u64_u32 v[4:5], s[0:1], s49, 3, v[4:5]
	v_ashrrev_i32_e32 v5, 31, v4
	v_lshlrev_b64 v[4:5], 1, v[4:5]
	v_mov_b32_e32 v3, s3
	v_add_co_u32_e32 v4, vcc, s2, v4
	v_addc_co_u32_e32 v5, vcc, v3, v5, vcc
	global_store_short v[4:5], v2, off
	s_branch .LBB16_2
.LBB16_69:
	s_endpgm
	.section	.rodata,"a",@progbits
	.p2align	6, 0x0
	.amdhsa_kernel _ZN2at6native16triu_tril_kernelIsiLb0ELi4ELb1EEEvNS_4cuda6detail10TensorInfoIT_T0_EENS4_IKS5_S6_EEllS6_
		.amdhsa_group_segment_fixed_size 0
		.amdhsa_private_segment_fixed_size 0
		.amdhsa_kernarg_size 712
		.amdhsa_user_sgpr_count 6
		.amdhsa_user_sgpr_private_segment_buffer 1
		.amdhsa_user_sgpr_dispatch_ptr 0
		.amdhsa_user_sgpr_queue_ptr 0
		.amdhsa_user_sgpr_kernarg_segment_ptr 1
		.amdhsa_user_sgpr_dispatch_id 0
		.amdhsa_user_sgpr_flat_scratch_init 0
		.amdhsa_user_sgpr_kernarg_preload_length 0
		.amdhsa_user_sgpr_kernarg_preload_offset 0
		.amdhsa_user_sgpr_private_segment_size 0
		.amdhsa_uses_dynamic_stack 0
		.amdhsa_system_sgpr_private_segment_wavefront_offset 0
		.amdhsa_system_sgpr_workgroup_id_x 1
		.amdhsa_system_sgpr_workgroup_id_y 0
		.amdhsa_system_sgpr_workgroup_id_z 0
		.amdhsa_system_sgpr_workgroup_info 0
		.amdhsa_system_vgpr_workitem_id 0
		.amdhsa_next_free_vgpr 32
		.amdhsa_next_free_sgpr 63
		.amdhsa_accum_offset 32
		.amdhsa_reserve_vcc 1
		.amdhsa_reserve_flat_scratch 0
		.amdhsa_float_round_mode_32 0
		.amdhsa_float_round_mode_16_64 0
		.amdhsa_float_denorm_mode_32 3
		.amdhsa_float_denorm_mode_16_64 3
		.amdhsa_dx10_clamp 1
		.amdhsa_ieee_mode 1
		.amdhsa_fp16_overflow 0
		.amdhsa_tg_split 0
		.amdhsa_exception_fp_ieee_invalid_op 0
		.amdhsa_exception_fp_denorm_src 0
		.amdhsa_exception_fp_ieee_div_zero 0
		.amdhsa_exception_fp_ieee_overflow 0
		.amdhsa_exception_fp_ieee_underflow 0
		.amdhsa_exception_fp_ieee_inexact 0
		.amdhsa_exception_int_div_zero 0
	.end_amdhsa_kernel
	.section	.text._ZN2at6native16triu_tril_kernelIsiLb0ELi4ELb1EEEvNS_4cuda6detail10TensorInfoIT_T0_EENS4_IKS5_S6_EEllS6_,"axG",@progbits,_ZN2at6native16triu_tril_kernelIsiLb0ELi4ELb1EEEvNS_4cuda6detail10TensorInfoIT_T0_EENS4_IKS5_S6_EEllS6_,comdat
.Lfunc_end16:
	.size	_ZN2at6native16triu_tril_kernelIsiLb0ELi4ELb1EEEvNS_4cuda6detail10TensorInfoIT_T0_EENS4_IKS5_S6_EEllS6_, .Lfunc_end16-_ZN2at6native16triu_tril_kernelIsiLb0ELi4ELb1EEEvNS_4cuda6detail10TensorInfoIT_T0_EENS4_IKS5_S6_EEllS6_
                                        ; -- End function
	.section	.AMDGPU.csdata,"",@progbits
; Kernel info:
; codeLenInByte = 10296
; NumSgprs: 67
; NumVgprs: 32
; NumAgprs: 0
; TotalNumVgprs: 32
; ScratchSize: 0
; MemoryBound: 0
; FloatMode: 240
; IeeeMode: 1
; LDSByteSize: 0 bytes/workgroup (compile time only)
; SGPRBlocks: 8
; VGPRBlocks: 3
; NumSGPRsForWavesPerEU: 67
; NumVGPRsForWavesPerEU: 32
; AccumOffset: 32
; Occupancy: 8
; WaveLimiterHint : 0
; COMPUTE_PGM_RSRC2:SCRATCH_EN: 0
; COMPUTE_PGM_RSRC2:USER_SGPR: 6
; COMPUTE_PGM_RSRC2:TRAP_HANDLER: 0
; COMPUTE_PGM_RSRC2:TGID_X_EN: 1
; COMPUTE_PGM_RSRC2:TGID_Y_EN: 0
; COMPUTE_PGM_RSRC2:TGID_Z_EN: 0
; COMPUTE_PGM_RSRC2:TIDIG_COMP_CNT: 0
; COMPUTE_PGM_RSRC3_GFX90A:ACCUM_OFFSET: 7
; COMPUTE_PGM_RSRC3_GFX90A:TG_SPLIT: 0
	.section	.text._ZN2at6native16triu_tril_kernelIsiLb0ELi4ELb0EEEvNS_4cuda6detail10TensorInfoIT_T0_EENS4_IKS5_S6_EEllS6_,"axG",@progbits,_ZN2at6native16triu_tril_kernelIsiLb0ELi4ELb0EEEvNS_4cuda6detail10TensorInfoIT_T0_EENS4_IKS5_S6_EEllS6_,comdat
	.protected	_ZN2at6native16triu_tril_kernelIsiLb0ELi4ELb0EEEvNS_4cuda6detail10TensorInfoIT_T0_EENS4_IKS5_S6_EEllS6_ ; -- Begin function _ZN2at6native16triu_tril_kernelIsiLb0ELi4ELb0EEEvNS_4cuda6detail10TensorInfoIT_T0_EENS4_IKS5_S6_EEllS6_
	.globl	_ZN2at6native16triu_tril_kernelIsiLb0ELi4ELb0EEEvNS_4cuda6detail10TensorInfoIT_T0_EENS4_IKS5_S6_EEllS6_
	.p2align	8
	.type	_ZN2at6native16triu_tril_kernelIsiLb0ELi4ELb0EEEvNS_4cuda6detail10TensorInfoIT_T0_EENS4_IKS5_S6_EEllS6_,@function
_ZN2at6native16triu_tril_kernelIsiLb0ELi4ELb0EEEvNS_4cuda6detail10TensorInfoIT_T0_EENS4_IKS5_S6_EEllS6_: ; @_ZN2at6native16triu_tril_kernelIsiLb0ELi4ELb0EEEvNS_4cuda6detail10TensorInfoIT_T0_EENS4_IKS5_S6_EEllS6_
; %bb.0:
	s_load_dword s2, s[4:5], 0x1d4
	s_load_dwordx4 s[8:11], s[4:5], 0x1b0
	s_add_u32 s0, s4, 0x1c8
	v_mov_b32_e32 v2, 0
	s_addc_u32 s1, s5, 0
	s_waitcnt lgkmcnt(0)
	s_and_b32 s2, s2, 0xffff
	v_mov_b32_e32 v1, v2
	v_mov_b32_e32 v3, s6
	v_mad_u64_u32 v[0:1], s[6:7], s2, v3, v[0:1]
	v_lshlrev_b64 v[0:1], 2, v[0:1]
	s_mov_b32 s33, 0xffff
	v_cmp_gt_i64_e32 vcc, s[10:11], v[0:1]
	s_and_saveexec_b64 s[6:7], vcc
	s_cbranch_execz .LBB17_58
; %bb.1:
	s_load_dword s20, s[4:5], 0x1a8
	s_add_u32 s50, s4, 0xd8
	s_addc_u32 s51, s5, 0
	s_load_dword s3, s[0:1], 0x0
	s_load_dwordx2 s[6:7], s[4:5], 0xd8
	s_mov_b32 s26, s8
	s_waitcnt lgkmcnt(0)
	s_ashr_i32 s21, s20, 31
	s_lshl_b64 s[0:1], s[20:21], 2
	s_add_u32 s18, s0, -8
	s_addc_u32 s19, s1, -1
	s_add_u32 s0, s50, s18
	s_addc_u32 s1, s51, s19
	s_load_dwordx2 s[12:13], s[0:1], 0x8
	s_load_dword s52, s[4:5], 0x1c0
	s_load_dwordx2 s[16:17], s[0:1], 0x6c
	s_mul_i32 s3, s3, s2
	v_cmp_gt_i64_e64 s[14:15], s[20:21], 2
	s_waitcnt lgkmcnt(0)
	s_ashr_i32 s53, s12, 31
	v_cvt_f32_u32_e32 v3, s52
	s_ashr_i32 s54, s52, 31
	s_add_u32 s55, s4, 0x6c
	s_addc_u32 s56, s5, 0
	v_rcp_iflag_f32_e32 v3, v3
	s_add_u32 s0, s55, s18
	s_addc_u32 s1, s56, s19
	s_load_dwordx2 s[18:19], s[0:1], 0x0
	v_mul_f32_e32 v3, 0x4f7ffffe, v3
	s_load_dwordx2 s[4:5], s[4:5], 0x0
	s_add_i32 s57, s20, -3
	s_lshl_b32 s58, s3, 2
	s_and_b32 s60, s20, 3
	v_cvt_u32_f32_e32 v22, v3
	s_cmp_lg_u32 s60, 2
	s_mov_b32 s21, 0
	s_cselect_b64 s[22:23], -1, 0
	s_cmp_gt_u32 s57, 2
	s_mov_b32 s59, s21
	s_cselect_b64 s[24:25], -1, 0
	s_mov_b32 s27, s9
	s_mov_b32 s28, s8
	;; [unrolled: 1-line block ×7, first 2 shown]
	s_ashr_i32 s37, s17, 31
	s_mov_b32 s36, s17
	s_waitcnt lgkmcnt(0)
	s_ashr_i32 s39, s19, 31
	s_mov_b32 s38, s19
	s_mov_b64 s[40:41], 0
	s_mov_b32 s61, 0x5040100
	s_branch .LBB17_3
.LBB17_2:                               ;   in Loop: Header=BB17_3 Depth=1
	s_or_b64 exec, exec, s[0:1]
	v_mov_b32_e32 v3, s59
	v_add_co_u32_e32 v0, vcc, s58, v0
	v_addc_co_u32_e32 v1, vcc, v1, v3, vcc
	v_cmp_le_i64_e32 vcc, s[10:11], v[0:1]
	s_or_b64 s[40:41], vcc, s[40:41]
	s_andn2_b64 exec, exec, s[40:41]
	s_cbranch_execz .LBB17_58
.LBB17_3:                               ; =>This Loop Header: Depth=1
                                        ;     Child Loop BB17_37 Depth 2
                                        ;     Child Loop BB17_18 Depth 2
	v_or_b32_e32 v3, s54, v1
	v_cmp_ne_u64_e32 vcc, 0, v[2:3]
                                        ; implicit-def: $vgpr6_vgpr7
                                        ; implicit-def: $vgpr14_vgpr15
	s_and_saveexec_b64 s[0:1], vcc
	s_xor_b64 s[42:43], exec, s[0:1]
	s_cbranch_execz .LBB17_5
; %bb.4:                                ;   in Loop: Header=BB17_3 Depth=1
	s_add_u32 s0, s52, s54
	s_mov_b32 s2, s54
	s_mov_b32 s3, s54
	s_addc_u32 s1, s54, s54
	s_xor_b64 s[44:45], s[0:1], s[2:3]
	v_cvt_f32_u32_e32 v3, s44
	v_cvt_f32_u32_e32 v4, s45
	s_sub_u32 s0, 0, s44
	s_subb_u32 s1, 0, s45
	v_mac_f32_e32 v3, 0x4f800000, v4
	v_rcp_f32_e32 v3, v3
	v_mul_f32_e32 v3, 0x5f7ffffc, v3
	v_mul_f32_e32 v4, 0x2f800000, v3
	v_trunc_f32_e32 v4, v4
	v_mac_f32_e32 v3, 0xcf800000, v4
	v_cvt_u32_f32_e32 v4, v4
	v_cvt_u32_f32_e32 v3, v3
	v_mul_lo_u32 v5, s0, v4
	v_mul_hi_u32 v7, s0, v3
	v_mul_lo_u32 v6, s1, v3
	v_add_u32_e32 v5, v7, v5
	v_mul_lo_u32 v8, s0, v3
	v_add_u32_e32 v5, v5, v6
	v_mul_lo_u32 v7, v3, v5
	v_mul_hi_u32 v9, v3, v8
	v_mul_hi_u32 v6, v3, v5
	v_add_co_u32_e32 v7, vcc, v9, v7
	v_addc_co_u32_e32 v6, vcc, 0, v6, vcc
	v_mul_hi_u32 v10, v4, v8
	v_mul_lo_u32 v8, v4, v8
	v_add_co_u32_e32 v7, vcc, v7, v8
	v_mul_hi_u32 v9, v4, v5
	v_addc_co_u32_e32 v6, vcc, v6, v10, vcc
	v_addc_co_u32_e32 v7, vcc, 0, v9, vcc
	v_mul_lo_u32 v5, v4, v5
	v_add_co_u32_e32 v5, vcc, v6, v5
	v_addc_co_u32_e32 v6, vcc, 0, v7, vcc
	v_add_co_u32_e32 v3, vcc, v3, v5
	v_addc_co_u32_e32 v4, vcc, v4, v6, vcc
	v_mul_lo_u32 v5, s0, v4
	v_mul_hi_u32 v6, s0, v3
	v_add_u32_e32 v5, v6, v5
	v_mul_lo_u32 v6, s1, v3
	v_add_u32_e32 v5, v5, v6
	v_mul_lo_u32 v7, s0, v3
	v_mul_hi_u32 v8, v4, v7
	v_mul_lo_u32 v9, v4, v7
	v_mul_lo_u32 v11, v3, v5
	v_mul_hi_u32 v7, v3, v7
	v_mul_hi_u32 v10, v3, v5
	v_add_co_u32_e32 v7, vcc, v7, v11
	v_addc_co_u32_e32 v10, vcc, 0, v10, vcc
	v_add_co_u32_e32 v7, vcc, v7, v9
	v_mul_hi_u32 v6, v4, v5
	v_addc_co_u32_e32 v7, vcc, v10, v8, vcc
	v_addc_co_u32_e32 v6, vcc, 0, v6, vcc
	v_mul_lo_u32 v5, v4, v5
	v_add_co_u32_e32 v5, vcc, v7, v5
	v_addc_co_u32_e32 v6, vcc, 0, v6, vcc
	v_add_co_u32_e32 v3, vcc, v3, v5
	v_addc_co_u32_e32 v6, vcc, v4, v6, vcc
	v_ashrrev_i32_e32 v8, 31, v1
	v_add_co_u32_e32 v4, vcc, v0, v8
	v_addc_co_u32_e32 v5, vcc, v1, v8, vcc
	v_xor_b32_e32 v10, v4, v8
	v_xor_b32_e32 v9, v5, v8
	v_mad_u64_u32 v[4:5], s[0:1], v10, v6, 0
	v_mul_hi_u32 v7, v10, v3
	v_add_co_u32_e32 v11, vcc, v7, v4
	v_addc_co_u32_e32 v12, vcc, 0, v5, vcc
	v_mad_u64_u32 v[4:5], s[0:1], v9, v6, 0
	v_mad_u64_u32 v[6:7], s[0:1], v9, v3, 0
	v_add_co_u32_e32 v3, vcc, v11, v6
	v_addc_co_u32_e32 v3, vcc, v12, v7, vcc
	v_addc_co_u32_e32 v5, vcc, 0, v5, vcc
	v_add_co_u32_e32 v3, vcc, v3, v4
	v_addc_co_u32_e32 v6, vcc, 0, v5, vcc
	v_mul_lo_u32 v7, s45, v3
	v_mul_lo_u32 v11, s44, v6
	v_mad_u64_u32 v[4:5], s[0:1], s44, v3, 0
	v_add3_u32 v5, v5, v11, v7
	v_sub_u32_e32 v7, v9, v5
	v_mov_b32_e32 v11, s45
	v_sub_co_u32_e32 v4, vcc, v10, v4
	v_subb_co_u32_e64 v7, s[0:1], v7, v11, vcc
	v_subrev_co_u32_e64 v10, s[0:1], s44, v4
	v_subbrev_co_u32_e64 v7, s[0:1], 0, v7, s[0:1]
	v_cmp_le_u32_e64 s[0:1], s45, v7
	v_cndmask_b32_e64 v11, 0, -1, s[0:1]
	v_cmp_le_u32_e64 s[0:1], s44, v10
	v_cndmask_b32_e64 v12, 0, -1, s[0:1]
	v_cmp_eq_u32_e64 s[0:1], s45, v7
	v_cndmask_b32_e64 v7, v11, v12, s[0:1]
	v_add_co_u32_e64 v11, s[0:1], 2, v3
	v_addc_co_u32_e64 v12, s[0:1], 0, v6, s[0:1]
	v_add_co_u32_e64 v13, s[0:1], 1, v3
	v_subb_co_u32_e32 v5, vcc, v9, v5, vcc
	v_addc_co_u32_e64 v14, s[0:1], 0, v6, s[0:1]
	v_cmp_le_u32_e32 vcc, s45, v5
	v_cmp_ne_u32_e64 s[0:1], 0, v7
	v_cndmask_b32_e64 v9, 0, -1, vcc
	v_cmp_le_u32_e32 vcc, s44, v4
	v_cndmask_b32_e64 v7, v14, v12, s[0:1]
	v_cndmask_b32_e64 v12, 0, -1, vcc
	v_cmp_eq_u32_e32 vcc, s45, v5
	v_cndmask_b32_e32 v5, v9, v12, vcc
	v_cmp_ne_u32_e32 vcc, 0, v5
	v_cndmask_b32_e32 v5, v6, v7, vcc
	v_cndmask_b32_e64 v6, v13, v11, s[0:1]
	v_cndmask_b32_e32 v3, v3, v6, vcc
	v_xor_b32_e32 v7, s2, v8
	v_xor_b32_e32 v6, s3, v8
	;; [unrolled: 1-line block ×4, first 2 shown]
	v_sub_co_u32_e64 v14, s[2:3], v3, v7
	v_subb_co_u32_e64 v15, s[2:3], v5, v6, s[2:3]
	v_subrev_co_u32_e64 v3, s[2:3], s44, v10
	v_cndmask_b32_e64 v3, v10, v3, s[0:1]
	v_cndmask_b32_e32 v3, v4, v3, vcc
	v_xor_b32_e32 v3, v3, v8
	v_sub_co_u32_e32 v6, vcc, v3, v8
.LBB17_5:                               ;   in Loop: Header=BB17_3 Depth=1
	s_andn2_saveexec_b64 s[2:3], s[42:43]
	s_cbranch_execz .LBB17_7
; %bb.6:                                ;   in Loop: Header=BB17_3 Depth=1
	s_sub_i32 s0, 0, s52
	v_mul_lo_u32 v3, s0, v22
	v_mul_hi_u32 v3, v22, v3
	v_add_u32_e32 v3, v22, v3
	v_mul_hi_u32 v3, v0, v3
	v_mul_lo_u32 v4, v3, s52
	v_sub_u32_e32 v4, v0, v4
	v_subrev_u32_e32 v5, s52, v4
	v_cmp_le_u32_e32 vcc, s52, v4
	v_cndmask_b32_e32 v4, v4, v5, vcc
	v_subrev_u32_e32 v5, s52, v4
	v_cmp_le_u32_e64 s[0:1], s52, v4
	v_cndmask_b32_e64 v6, v4, v5, s[0:1]
	v_add_u32_e32 v4, 1, v3
	v_cndmask_b32_e32 v3, v3, v4, vcc
	v_add_u32_e32 v4, 1, v3
	v_cndmask_b32_e64 v14, v3, v4, s[0:1]
	v_mov_b32_e32 v15, v2
.LBB17_7:                               ;   in Loop: Header=BB17_3 Depth=1
	s_or_b64 exec, exec, s[2:3]
	v_or_b32_e32 v3, s53, v15
	v_cmp_ne_u64_e32 vcc, 0, v[2:3]
                                        ; implicit-def: $vgpr8_vgpr9
	s_and_saveexec_b64 s[0:1], vcc
	s_xor_b64 s[2:3], exec, s[0:1]
	s_cbranch_execz .LBB17_9
; %bb.8:                                ;   in Loop: Header=BB17_3 Depth=1
	s_add_u32 s42, s12, s53
	s_mov_b32 s0, s53
	s_mov_b32 s1, s53
	s_addc_u32 s43, s53, s53
	s_xor_b64 s[42:43], s[42:43], s[0:1]
	v_cvt_f32_u32_e32 v4, s42
	v_cvt_f32_u32_e32 v5, s43
	s_sub_u32 s0, 0, s42
	s_subb_u32 s1, 0, s43
	v_mac_f32_e32 v4, 0x4f800000, v5
	v_rcp_f32_e32 v4, v4
	v_mul_f32_e32 v4, 0x5f7ffffc, v4
	v_mul_f32_e32 v5, 0x2f800000, v4
	v_trunc_f32_e32 v5, v5
	v_mac_f32_e32 v4, 0xcf800000, v5
	v_cvt_u32_f32_e32 v5, v5
	v_cvt_u32_f32_e32 v4, v4
	v_mul_lo_u32 v7, s0, v5
	v_mul_hi_u32 v9, s0, v4
	v_mul_lo_u32 v8, s1, v4
	v_add_u32_e32 v7, v9, v7
	v_mul_lo_u32 v10, s0, v4
	v_add_u32_e32 v7, v7, v8
	v_mul_lo_u32 v9, v4, v7
	v_mul_hi_u32 v11, v4, v10
	v_mul_hi_u32 v8, v4, v7
	v_add_co_u32_e32 v9, vcc, v11, v9
	v_addc_co_u32_e32 v8, vcc, 0, v8, vcc
	v_mul_hi_u32 v12, v5, v10
	v_mul_lo_u32 v10, v5, v10
	v_add_co_u32_e32 v9, vcc, v9, v10
	v_mul_hi_u32 v11, v5, v7
	v_addc_co_u32_e32 v8, vcc, v8, v12, vcc
	v_addc_co_u32_e32 v9, vcc, 0, v11, vcc
	v_mul_lo_u32 v7, v5, v7
	v_add_co_u32_e32 v7, vcc, v8, v7
	v_addc_co_u32_e32 v8, vcc, 0, v9, vcc
	v_add_co_u32_e32 v4, vcc, v4, v7
	v_addc_co_u32_e32 v5, vcc, v5, v8, vcc
	v_mul_lo_u32 v7, s0, v5
	v_mul_hi_u32 v8, s0, v4
	v_add_u32_e32 v7, v8, v7
	v_mul_lo_u32 v8, s1, v4
	v_add_u32_e32 v7, v7, v8
	v_mul_lo_u32 v9, s0, v4
	v_mul_hi_u32 v10, v5, v9
	v_mul_lo_u32 v11, v5, v9
	v_mul_lo_u32 v13, v4, v7
	v_mul_hi_u32 v9, v4, v9
	v_mul_hi_u32 v12, v4, v7
	v_add_co_u32_e32 v9, vcc, v9, v13
	v_addc_co_u32_e32 v12, vcc, 0, v12, vcc
	v_add_co_u32_e32 v9, vcc, v9, v11
	v_mul_hi_u32 v8, v5, v7
	v_addc_co_u32_e32 v9, vcc, v12, v10, vcc
	v_addc_co_u32_e32 v8, vcc, 0, v8, vcc
	v_mul_lo_u32 v7, v5, v7
	v_add_co_u32_e32 v7, vcc, v9, v7
	v_addc_co_u32_e32 v8, vcc, 0, v8, vcc
	v_add_co_u32_e32 v7, vcc, v4, v7
	v_addc_co_u32_e32 v8, vcc, v5, v8, vcc
	v_ashrrev_i32_e32 v10, 31, v15
	v_add_co_u32_e32 v4, vcc, v14, v10
	v_addc_co_u32_e32 v5, vcc, v15, v10, vcc
	v_xor_b32_e32 v12, v4, v10
	v_xor_b32_e32 v11, v5, v10
	v_mad_u64_u32 v[4:5], s[0:1], v12, v8, 0
	v_mul_hi_u32 v9, v12, v7
	v_add_co_u32_e32 v13, vcc, v9, v4
	v_addc_co_u32_e32 v16, vcc, 0, v5, vcc
	v_mad_u64_u32 v[4:5], s[0:1], v11, v8, 0
	v_mad_u64_u32 v[8:9], s[0:1], v11, v7, 0
	v_add_co_u32_e32 v7, vcc, v13, v8
	v_addc_co_u32_e32 v7, vcc, v16, v9, vcc
	v_addc_co_u32_e32 v5, vcc, 0, v5, vcc
	v_add_co_u32_e32 v4, vcc, v7, v4
	v_addc_co_u32_e32 v5, vcc, 0, v5, vcc
	v_mul_lo_u32 v7, s43, v4
	v_mul_lo_u32 v8, s42, v5
	v_mad_u64_u32 v[4:5], s[0:1], s42, v4, 0
	v_add3_u32 v5, v5, v8, v7
	v_sub_u32_e32 v7, v11, v5
	v_mov_b32_e32 v8, s43
	v_sub_co_u32_e32 v4, vcc, v12, v4
	v_subb_co_u32_e64 v7, s[0:1], v7, v8, vcc
	v_subrev_co_u32_e64 v8, s[0:1], s42, v4
	v_subbrev_co_u32_e64 v7, s[0:1], 0, v7, s[0:1]
	v_cmp_le_u32_e64 s[0:1], s43, v7
	v_subb_co_u32_e32 v5, vcc, v11, v5, vcc
	v_cndmask_b32_e64 v9, 0, -1, s[0:1]
	v_cmp_le_u32_e64 s[0:1], s42, v8
	v_cmp_le_u32_e32 vcc, s43, v5
	v_cndmask_b32_e64 v12, 0, -1, s[0:1]
	v_cmp_eq_u32_e64 s[0:1], s43, v7
	v_cndmask_b32_e64 v11, 0, -1, vcc
	v_cmp_le_u32_e32 vcc, s42, v4
	v_cndmask_b32_e64 v7, v9, v12, s[0:1]
	v_cndmask_b32_e64 v12, 0, -1, vcc
	v_cmp_eq_u32_e32 vcc, s43, v5
	v_subrev_co_u32_e64 v9, s[0:1], s42, v8
	v_cndmask_b32_e32 v5, v11, v12, vcc
	v_cmp_ne_u32_e32 vcc, 0, v7
	v_cndmask_b32_e32 v7, v8, v9, vcc
	v_cmp_ne_u32_e32 vcc, 0, v5
	v_cndmask_b32_e32 v4, v4, v7, vcc
	v_xor_b32_e32 v4, v4, v10
	v_sub_co_u32_e32 v8, vcc, v4, v10
.LBB17_9:                               ;   in Loop: Header=BB17_3 Depth=1
	s_andn2_saveexec_b64 s[0:1], s[2:3]
	s_cbranch_execz .LBB17_11
; %bb.10:                               ;   in Loop: Header=BB17_3 Depth=1
	v_cvt_f32_u32_e32 v4, s12
	s_sub_i32 s2, 0, s12
	v_rcp_iflag_f32_e32 v4, v4
	v_mul_f32_e32 v4, 0x4f7ffffe, v4
	v_cvt_u32_f32_e32 v4, v4
	v_mul_lo_u32 v5, s2, v4
	v_mul_hi_u32 v5, v4, v5
	v_add_u32_e32 v4, v4, v5
	v_mul_hi_u32 v4, v14, v4
	v_mul_lo_u32 v4, v4, s12
	v_sub_u32_e32 v4, v14, v4
	v_subrev_u32_e32 v5, s12, v4
	v_cmp_le_u32_e32 vcc, s12, v4
	v_cndmask_b32_e32 v4, v4, v5, vcc
	v_subrev_u32_e32 v5, s12, v4
	v_cmp_le_u32_e32 vcc, s12, v4
	v_cndmask_b32_e32 v8, v4, v5, vcc
.LBB17_11:                              ;   in Loop: Header=BB17_3 Depth=1
	s_or_b64 exec, exec, s[0:1]
	v_mul_lo_u32 v4, s17, v6
	v_mad_u64_u32 v[10:11], s[0:1], s16, v8, v[4:5]
	v_mul_lo_u32 v4, s19, v6
	s_andn2_b64 vcc, exec, s[14:15]
	v_mad_u64_u32 v[4:5], s[0:1], s18, v8, v[4:5]
	s_cbranch_vccnz .LBB17_41
; %bb.12:                               ;   in Loop: Header=BB17_3 Depth=1
	v_cmp_ne_u64_e32 vcc, 0, v[2:3]
                                        ; implicit-def: $vgpr12_vgpr13
	s_and_saveexec_b64 s[0:1], vcc
	s_xor_b64 s[2:3], exec, s[0:1]
	s_cbranch_execz .LBB17_14
; %bb.13:                               ;   in Loop: Header=BB17_3 Depth=1
	s_add_u32 s0, s12, s53
	s_mov_b32 s42, s53
	s_mov_b32 s43, s53
	s_addc_u32 s1, s53, s53
	s_xor_b64 s[44:45], s[0:1], s[42:43]
	v_cvt_f32_u32_e32 v3, s44
	v_cvt_f32_u32_e32 v5, s45
	s_sub_u32 s0, 0, s44
	s_subb_u32 s1, 0, s45
	v_mac_f32_e32 v3, 0x4f800000, v5
	v_rcp_f32_e32 v3, v3
	v_mul_f32_e32 v3, 0x5f7ffffc, v3
	v_mul_f32_e32 v5, 0x2f800000, v3
	v_trunc_f32_e32 v5, v5
	v_mac_f32_e32 v3, 0xcf800000, v5
	v_cvt_u32_f32_e32 v5, v5
	v_cvt_u32_f32_e32 v3, v3
	v_mul_lo_u32 v7, s0, v5
	v_mul_hi_u32 v11, s0, v3
	v_mul_lo_u32 v9, s1, v3
	v_add_u32_e32 v7, v11, v7
	v_mul_lo_u32 v12, s0, v3
	v_add_u32_e32 v7, v7, v9
	v_mul_lo_u32 v11, v3, v7
	v_mul_hi_u32 v13, v3, v12
	v_mul_hi_u32 v9, v3, v7
	v_add_co_u32_e32 v11, vcc, v13, v11
	v_addc_co_u32_e32 v9, vcc, 0, v9, vcc
	v_mul_hi_u32 v16, v5, v12
	v_mul_lo_u32 v12, v5, v12
	v_add_co_u32_e32 v11, vcc, v11, v12
	v_mul_hi_u32 v13, v5, v7
	v_addc_co_u32_e32 v9, vcc, v9, v16, vcc
	v_addc_co_u32_e32 v11, vcc, 0, v13, vcc
	v_mul_lo_u32 v7, v5, v7
	v_add_co_u32_e32 v7, vcc, v9, v7
	v_addc_co_u32_e32 v9, vcc, 0, v11, vcc
	v_add_co_u32_e32 v3, vcc, v3, v7
	v_addc_co_u32_e32 v5, vcc, v5, v9, vcc
	v_mul_lo_u32 v7, s0, v5
	v_mul_hi_u32 v9, s0, v3
	v_add_u32_e32 v7, v9, v7
	v_mul_lo_u32 v9, s1, v3
	v_add_u32_e32 v7, v7, v9
	v_mul_lo_u32 v11, s0, v3
	v_mul_hi_u32 v12, v5, v11
	v_mul_lo_u32 v13, v5, v11
	v_mul_lo_u32 v17, v3, v7
	v_mul_hi_u32 v11, v3, v11
	v_mul_hi_u32 v16, v3, v7
	v_add_co_u32_e32 v11, vcc, v11, v17
	v_addc_co_u32_e32 v16, vcc, 0, v16, vcc
	v_add_co_u32_e32 v11, vcc, v11, v13
	v_mul_hi_u32 v9, v5, v7
	v_addc_co_u32_e32 v11, vcc, v16, v12, vcc
	v_addc_co_u32_e32 v9, vcc, 0, v9, vcc
	v_mul_lo_u32 v7, v5, v7
	v_add_co_u32_e32 v7, vcc, v11, v7
	v_addc_co_u32_e32 v9, vcc, 0, v9, vcc
	v_add_co_u32_e32 v3, vcc, v3, v7
	v_addc_co_u32_e32 v5, vcc, v5, v9, vcc
	v_ashrrev_i32_e32 v7, 31, v15
	v_add_co_u32_e32 v9, vcc, v14, v7
	v_xor_b32_e32 v9, v9, v7
	v_addc_co_u32_e32 v11, vcc, v15, v7, vcc
	v_mad_u64_u32 v[12:13], s[0:1], v9, v5, 0
	v_mul_hi_u32 v14, v9, v3
	v_xor_b32_e32 v11, v11, v7
	v_add_co_u32_e32 v16, vcc, v14, v12
	v_addc_co_u32_e32 v17, vcc, 0, v13, vcc
	v_mad_u64_u32 v[14:15], s[0:1], v11, v3, 0
	v_add_co_u32_e32 v3, vcc, v16, v14
	v_mad_u64_u32 v[12:13], s[0:1], v11, v5, 0
	v_addc_co_u32_e32 v3, vcc, v17, v15, vcc
	v_addc_co_u32_e32 v5, vcc, 0, v13, vcc
	v_add_co_u32_e32 v3, vcc, v3, v12
	v_addc_co_u32_e32 v5, vcc, 0, v5, vcc
	v_mul_lo_u32 v14, s45, v3
	v_mul_lo_u32 v15, s44, v5
	v_mad_u64_u32 v[12:13], s[0:1], s44, v3, 0
	v_add3_u32 v13, v13, v15, v14
	v_sub_u32_e32 v14, v11, v13
	v_mov_b32_e32 v15, s45
	v_sub_co_u32_e32 v9, vcc, v9, v12
	v_subb_co_u32_e64 v12, s[0:1], v14, v15, vcc
	v_subrev_co_u32_e64 v14, s[0:1], s44, v9
	v_subbrev_co_u32_e64 v12, s[0:1], 0, v12, s[0:1]
	v_cmp_le_u32_e64 s[0:1], s45, v12
	v_cndmask_b32_e64 v15, 0, -1, s[0:1]
	v_cmp_le_u32_e64 s[0:1], s44, v14
	v_cndmask_b32_e64 v14, 0, -1, s[0:1]
	v_cmp_eq_u32_e64 s[0:1], s45, v12
	v_cndmask_b32_e64 v12, v15, v14, s[0:1]
	v_add_co_u32_e64 v14, s[0:1], 2, v3
	v_subb_co_u32_e32 v11, vcc, v11, v13, vcc
	v_addc_co_u32_e64 v15, s[0:1], 0, v5, s[0:1]
	v_cmp_le_u32_e32 vcc, s45, v11
	v_add_co_u32_e64 v16, s[0:1], 1, v3
	v_cndmask_b32_e64 v13, 0, -1, vcc
	v_cmp_le_u32_e32 vcc, s44, v9
	v_addc_co_u32_e64 v17, s[0:1], 0, v5, s[0:1]
	v_cndmask_b32_e64 v9, 0, -1, vcc
	v_cmp_eq_u32_e32 vcc, s45, v11
	v_cmp_ne_u32_e64 s[0:1], 0, v12
	v_cndmask_b32_e32 v9, v13, v9, vcc
	v_cmp_ne_u32_e32 vcc, 0, v9
	v_cndmask_b32_e64 v9, v16, v14, s[0:1]
	v_cndmask_b32_e64 v12, v17, v15, s[0:1]
	v_cndmask_b32_e32 v3, v3, v9, vcc
	v_xor_b32_e32 v9, s43, v7
	v_xor_b32_e32 v7, s42, v7
	v_cndmask_b32_e32 v5, v5, v12, vcc
	v_xor_b32_e32 v3, v3, v7
	v_xor_b32_e32 v5, v5, v9
	v_sub_co_u32_e32 v12, vcc, v3, v7
	v_subb_co_u32_e32 v13, vcc, v5, v9, vcc
                                        ; implicit-def: $vgpr14_vgpr15
.LBB17_14:                              ;   in Loop: Header=BB17_3 Depth=1
	s_andn2_saveexec_b64 s[0:1], s[2:3]
	s_cbranch_execz .LBB17_16
; %bb.15:                               ;   in Loop: Header=BB17_3 Depth=1
	v_cvt_f32_u32_e32 v3, s12
	s_sub_i32 s2, 0, s12
	v_mov_b32_e32 v13, v2
	v_rcp_iflag_f32_e32 v3, v3
	v_mul_f32_e32 v3, 0x4f7ffffe, v3
	v_cvt_u32_f32_e32 v3, v3
	v_mul_lo_u32 v5, s2, v3
	v_mul_hi_u32 v5, v3, v5
	v_add_u32_e32 v3, v3, v5
	v_mul_hi_u32 v3, v14, v3
	v_mul_lo_u32 v5, v3, s12
	v_sub_u32_e32 v5, v14, v5
	v_add_u32_e32 v7, 1, v3
	v_subrev_u32_e32 v9, s12, v5
	v_cmp_le_u32_e32 vcc, s12, v5
	v_cndmask_b32_e32 v5, v5, v9, vcc
	v_cndmask_b32_e32 v3, v3, v7, vcc
	v_add_u32_e32 v7, 1, v3
	v_cmp_le_u32_e32 vcc, s12, v5
	v_cndmask_b32_e32 v12, v3, v7, vcc
.LBB17_16:                              ;   in Loop: Header=BB17_3 Depth=1
	s_or_b64 exec, exec, s[0:1]
	s_andn2_b64 vcc, exec, s[22:23]
	s_mov_b32 s62, 1
	s_mov_b32 s20, s57
	s_cbranch_vccz .LBB17_37
.LBB17_17:                              ;   in Loop: Header=BB17_3 Depth=1
	s_and_b64 vcc, exec, s[24:25]
	s_cbranch_vccz .LBB17_41
.LBB17_18:                              ;   Parent Loop BB17_3 Depth=1
                                        ; =>  This Inner Loop Header: Depth=2
	s_lshl_b64 s[2:3], s[20:21], 2
	s_add_u32 s42, s50, s2
	s_addc_u32 s43, s51, s3
	s_load_dword s62, s[42:43], 0x8
                                        ; implicit-def: $vgpr14_vgpr15
	s_waitcnt lgkmcnt(0)
	s_ashr_i32 s0, s62, 31
	v_or_b32_e32 v3, s0, v13
	v_cmp_ne_u64_e32 vcc, 0, v[2:3]
	s_and_saveexec_b64 s[44:45], vcc
	s_xor_b64 s[44:45], exec, s[44:45]
	s_cbranch_execz .LBB17_20
; %bb.19:                               ;   in Loop: Header=BB17_18 Depth=2
	s_add_u32 s48, s62, s0
	s_mov_b32 s46, s0
	s_mov_b32 s47, s0
	s_addc_u32 s49, s0, s0
	s_xor_b64 s[48:49], s[48:49], s[46:47]
	v_cvt_f32_u32_e32 v3, s48
	v_cvt_f32_u32_e32 v5, s49
	s_sub_u32 s0, 0, s48
	s_subb_u32 s1, 0, s49
	v_mac_f32_e32 v3, 0x4f800000, v5
	v_rcp_f32_e32 v3, v3
	v_mul_f32_e32 v3, 0x5f7ffffc, v3
	v_mul_f32_e32 v5, 0x2f800000, v3
	v_trunc_f32_e32 v5, v5
	v_mac_f32_e32 v3, 0xcf800000, v5
	v_cvt_u32_f32_e32 v5, v5
	v_cvt_u32_f32_e32 v3, v3
	v_mul_lo_u32 v7, s0, v5
	v_mul_hi_u32 v11, s0, v3
	v_mul_lo_u32 v9, s1, v3
	v_add_u32_e32 v7, v11, v7
	v_mul_lo_u32 v14, s0, v3
	v_add_u32_e32 v7, v7, v9
	v_mul_lo_u32 v11, v3, v7
	v_mul_hi_u32 v15, v3, v14
	v_mul_hi_u32 v9, v3, v7
	v_add_co_u32_e32 v11, vcc, v15, v11
	v_addc_co_u32_e32 v9, vcc, 0, v9, vcc
	v_mul_hi_u32 v16, v5, v14
	v_mul_lo_u32 v14, v5, v14
	v_add_co_u32_e32 v11, vcc, v11, v14
	v_mul_hi_u32 v15, v5, v7
	v_addc_co_u32_e32 v9, vcc, v9, v16, vcc
	v_addc_co_u32_e32 v11, vcc, 0, v15, vcc
	v_mul_lo_u32 v7, v5, v7
	v_add_co_u32_e32 v7, vcc, v9, v7
	v_addc_co_u32_e32 v9, vcc, 0, v11, vcc
	v_add_co_u32_e32 v3, vcc, v3, v7
	v_addc_co_u32_e32 v5, vcc, v5, v9, vcc
	v_mul_lo_u32 v7, s0, v5
	v_mul_hi_u32 v9, s0, v3
	v_add_u32_e32 v7, v9, v7
	v_mul_lo_u32 v9, s1, v3
	v_add_u32_e32 v7, v7, v9
	v_mul_lo_u32 v11, s0, v3
	v_mul_hi_u32 v14, v5, v11
	v_mul_lo_u32 v15, v5, v11
	v_mul_lo_u32 v17, v3, v7
	v_mul_hi_u32 v11, v3, v11
	v_mul_hi_u32 v16, v3, v7
	v_add_co_u32_e32 v11, vcc, v11, v17
	v_addc_co_u32_e32 v16, vcc, 0, v16, vcc
	v_add_co_u32_e32 v11, vcc, v11, v15
	v_mul_hi_u32 v9, v5, v7
	v_addc_co_u32_e32 v11, vcc, v16, v14, vcc
	v_addc_co_u32_e32 v9, vcc, 0, v9, vcc
	v_mul_lo_u32 v7, v5, v7
	v_add_co_u32_e32 v7, vcc, v11, v7
	v_addc_co_u32_e32 v9, vcc, 0, v9, vcc
	v_add_co_u32_e32 v3, vcc, v3, v7
	v_addc_co_u32_e32 v5, vcc, v5, v9, vcc
	v_ashrrev_i32_e32 v7, 31, v13
	v_add_co_u32_e32 v9, vcc, v12, v7
	v_xor_b32_e32 v9, v9, v7
	v_addc_co_u32_e32 v11, vcc, v13, v7, vcc
	v_mad_u64_u32 v[14:15], s[0:1], v9, v5, 0
	v_mul_hi_u32 v13, v9, v3
	v_xor_b32_e32 v11, v11, v7
	v_add_co_u32_e32 v13, vcc, v13, v14
	v_addc_co_u32_e32 v18, vcc, 0, v15, vcc
	v_mad_u64_u32 v[16:17], s[0:1], v11, v3, 0
	v_add_co_u32_e32 v3, vcc, v13, v16
	v_mad_u64_u32 v[14:15], s[0:1], v11, v5, 0
	v_addc_co_u32_e32 v3, vcc, v18, v17, vcc
	v_addc_co_u32_e32 v5, vcc, 0, v15, vcc
	v_add_co_u32_e32 v3, vcc, v3, v14
	v_addc_co_u32_e32 v5, vcc, 0, v5, vcc
	v_mul_lo_u32 v13, s49, v3
	v_mul_lo_u32 v16, s48, v5
	v_mad_u64_u32 v[14:15], s[0:1], s48, v3, 0
	v_add3_u32 v13, v15, v16, v13
	v_sub_u32_e32 v15, v11, v13
	v_mov_b32_e32 v16, s49
	v_sub_co_u32_e32 v9, vcc, v9, v14
	v_subb_co_u32_e64 v14, s[0:1], v15, v16, vcc
	v_subrev_co_u32_e64 v15, s[0:1], s48, v9
	v_subbrev_co_u32_e64 v14, s[0:1], 0, v14, s[0:1]
	v_cmp_le_u32_e64 s[0:1], s49, v14
	v_cndmask_b32_e64 v16, 0, -1, s[0:1]
	v_cmp_le_u32_e64 s[0:1], s48, v15
	v_cndmask_b32_e64 v15, 0, -1, s[0:1]
	v_cmp_eq_u32_e64 s[0:1], s49, v14
	v_cndmask_b32_e64 v14, v16, v15, s[0:1]
	v_add_co_u32_e64 v15, s[0:1], 2, v3
	v_subb_co_u32_e32 v11, vcc, v11, v13, vcc
	v_addc_co_u32_e64 v16, s[0:1], 0, v5, s[0:1]
	v_cmp_le_u32_e32 vcc, s49, v11
	v_add_co_u32_e64 v17, s[0:1], 1, v3
	v_cndmask_b32_e64 v13, 0, -1, vcc
	v_cmp_le_u32_e32 vcc, s48, v9
	v_addc_co_u32_e64 v18, s[0:1], 0, v5, s[0:1]
	v_cndmask_b32_e64 v9, 0, -1, vcc
	v_cmp_eq_u32_e32 vcc, s49, v11
	v_cmp_ne_u32_e64 s[0:1], 0, v14
	v_cndmask_b32_e32 v9, v13, v9, vcc
	v_cmp_ne_u32_e32 vcc, 0, v9
	v_cndmask_b32_e64 v9, v17, v15, s[0:1]
	v_cndmask_b32_e64 v14, v18, v16, s[0:1]
	v_cndmask_b32_e32 v3, v3, v9, vcc
	v_xor_b32_e32 v9, s47, v7
	v_xor_b32_e32 v7, s46, v7
	v_cndmask_b32_e32 v5, v5, v14, vcc
	v_xor_b32_e32 v3, v3, v7
	v_xor_b32_e32 v5, v5, v9
	v_sub_co_u32_e32 v14, vcc, v3, v7
	v_subb_co_u32_e32 v15, vcc, v5, v9, vcc
.LBB17_20:                              ;   in Loop: Header=BB17_18 Depth=2
	s_andn2_saveexec_b64 s[0:1], s[44:45]
	s_cbranch_execz .LBB17_22
; %bb.21:                               ;   in Loop: Header=BB17_18 Depth=2
	v_cvt_f32_u32_e32 v3, s62
	s_sub_i32 s44, 0, s62
	v_mov_b32_e32 v15, v2
	v_rcp_iflag_f32_e32 v3, v3
	v_mul_f32_e32 v3, 0x4f7ffffe, v3
	v_cvt_u32_f32_e32 v3, v3
	v_mul_lo_u32 v5, s44, v3
	v_mul_hi_u32 v5, v3, v5
	v_add_u32_e32 v3, v3, v5
	v_mul_hi_u32 v3, v12, v3
	v_mul_lo_u32 v5, v3, s62
	v_sub_u32_e32 v5, v12, v5
	v_add_u32_e32 v7, 1, v3
	v_subrev_u32_e32 v9, s62, v5
	v_cmp_le_u32_e32 vcc, s62, v5
	v_cndmask_b32_e32 v5, v5, v9, vcc
	v_cndmask_b32_e32 v3, v3, v7, vcc
	v_add_u32_e32 v7, 1, v3
	v_cmp_le_u32_e32 vcc, s62, v5
	v_cndmask_b32_e32 v14, v3, v7, vcc
.LBB17_22:                              ;   in Loop: Header=BB17_18 Depth=2
	s_or_b64 exec, exec, s[0:1]
	s_add_u32 s0, s55, s2
	s_addc_u32 s1, s56, s3
	s_add_i32 s2, s20, -1
	s_mov_b32 s3, s21
	s_lshl_b64 s[44:45], s[2:3], 2
	s_add_u32 s2, s50, s44
	s_addc_u32 s3, s51, s45
	s_load_dword s63, s[2:3], 0x8
	s_load_dword s64, s[42:43], 0x6c
	;; [unrolled: 1-line block ×3, first 2 shown]
                                        ; implicit-def: $vgpr16_vgpr17
	s_waitcnt lgkmcnt(0)
	s_ashr_i32 s0, s63, 31
	v_or_b32_e32 v3, s0, v15
	v_cmp_ne_u64_e32 vcc, 0, v[2:3]
	s_and_saveexec_b64 s[42:43], vcc
	s_xor_b64 s[42:43], exec, s[42:43]
	s_cbranch_execz .LBB17_24
; %bb.23:                               ;   in Loop: Header=BB17_18 Depth=2
	s_add_u32 s48, s63, s0
	s_mov_b32 s46, s0
	s_mov_b32 s47, s0
	s_addc_u32 s49, s0, s0
	s_xor_b64 s[48:49], s[48:49], s[46:47]
	v_cvt_f32_u32_e32 v3, s48
	v_cvt_f32_u32_e32 v5, s49
	s_sub_u32 s0, 0, s48
	s_subb_u32 s1, 0, s49
	v_mac_f32_e32 v3, 0x4f800000, v5
	v_rcp_f32_e32 v3, v3
	v_mul_f32_e32 v3, 0x5f7ffffc, v3
	v_mul_f32_e32 v5, 0x2f800000, v3
	v_trunc_f32_e32 v5, v5
	v_mac_f32_e32 v3, 0xcf800000, v5
	v_cvt_u32_f32_e32 v5, v5
	v_cvt_u32_f32_e32 v3, v3
	v_mul_lo_u32 v7, s0, v5
	v_mul_hi_u32 v11, s0, v3
	v_mul_lo_u32 v9, s1, v3
	v_add_u32_e32 v7, v11, v7
	v_mul_lo_u32 v13, s0, v3
	v_add_u32_e32 v7, v7, v9
	v_mul_lo_u32 v11, v3, v7
	v_mul_hi_u32 v16, v3, v13
	v_mul_hi_u32 v9, v3, v7
	v_add_co_u32_e32 v11, vcc, v16, v11
	v_addc_co_u32_e32 v9, vcc, 0, v9, vcc
	v_mul_hi_u32 v17, v5, v13
	v_mul_lo_u32 v13, v5, v13
	v_add_co_u32_e32 v11, vcc, v11, v13
	v_mul_hi_u32 v16, v5, v7
	v_addc_co_u32_e32 v9, vcc, v9, v17, vcc
	v_addc_co_u32_e32 v11, vcc, 0, v16, vcc
	v_mul_lo_u32 v7, v5, v7
	v_add_co_u32_e32 v7, vcc, v9, v7
	v_addc_co_u32_e32 v9, vcc, 0, v11, vcc
	v_add_co_u32_e32 v3, vcc, v3, v7
	v_addc_co_u32_e32 v5, vcc, v5, v9, vcc
	v_mul_lo_u32 v7, s0, v5
	v_mul_hi_u32 v9, s0, v3
	v_add_u32_e32 v7, v9, v7
	v_mul_lo_u32 v9, s1, v3
	v_add_u32_e32 v7, v7, v9
	v_mul_lo_u32 v11, s0, v3
	v_mul_hi_u32 v13, v5, v11
	v_mul_lo_u32 v16, v5, v11
	v_mul_lo_u32 v18, v3, v7
	v_mul_hi_u32 v11, v3, v11
	v_mul_hi_u32 v17, v3, v7
	v_add_co_u32_e32 v11, vcc, v11, v18
	v_addc_co_u32_e32 v17, vcc, 0, v17, vcc
	v_add_co_u32_e32 v11, vcc, v11, v16
	v_mul_hi_u32 v9, v5, v7
	v_addc_co_u32_e32 v11, vcc, v17, v13, vcc
	v_addc_co_u32_e32 v9, vcc, 0, v9, vcc
	v_mul_lo_u32 v7, v5, v7
	v_add_co_u32_e32 v7, vcc, v11, v7
	v_addc_co_u32_e32 v9, vcc, 0, v9, vcc
	v_add_co_u32_e32 v3, vcc, v3, v7
	v_addc_co_u32_e32 v5, vcc, v5, v9, vcc
	v_ashrrev_i32_e32 v7, 31, v15
	v_add_co_u32_e32 v9, vcc, v14, v7
	v_xor_b32_e32 v9, v9, v7
	v_addc_co_u32_e32 v11, vcc, v15, v7, vcc
	v_mad_u64_u32 v[16:17], s[0:1], v9, v5, 0
	v_mul_hi_u32 v13, v9, v3
	v_xor_b32_e32 v11, v11, v7
	v_add_co_u32_e32 v13, vcc, v13, v16
	v_addc_co_u32_e32 v15, vcc, 0, v17, vcc
	v_mad_u64_u32 v[18:19], s[0:1], v11, v3, 0
	v_add_co_u32_e32 v3, vcc, v13, v18
	v_mad_u64_u32 v[16:17], s[0:1], v11, v5, 0
	v_addc_co_u32_e32 v3, vcc, v15, v19, vcc
	v_addc_co_u32_e32 v5, vcc, 0, v17, vcc
	v_add_co_u32_e32 v3, vcc, v3, v16
	v_addc_co_u32_e32 v5, vcc, 0, v5, vcc
	v_mul_lo_u32 v13, s49, v3
	v_mul_lo_u32 v15, s48, v5
	v_mad_u64_u32 v[16:17], s[0:1], s48, v3, 0
	v_add3_u32 v13, v17, v15, v13
	v_sub_u32_e32 v15, v11, v13
	v_mov_b32_e32 v17, s49
	v_sub_co_u32_e32 v9, vcc, v9, v16
	v_subb_co_u32_e64 v15, s[0:1], v15, v17, vcc
	v_subrev_co_u32_e64 v16, s[0:1], s48, v9
	v_subbrev_co_u32_e64 v15, s[0:1], 0, v15, s[0:1]
	v_cmp_le_u32_e64 s[0:1], s49, v15
	v_cndmask_b32_e64 v17, 0, -1, s[0:1]
	v_cmp_le_u32_e64 s[0:1], s48, v16
	v_cndmask_b32_e64 v16, 0, -1, s[0:1]
	v_cmp_eq_u32_e64 s[0:1], s49, v15
	v_cndmask_b32_e64 v15, v17, v16, s[0:1]
	v_add_co_u32_e64 v16, s[0:1], 2, v3
	v_subb_co_u32_e32 v11, vcc, v11, v13, vcc
	v_addc_co_u32_e64 v17, s[0:1], 0, v5, s[0:1]
	v_cmp_le_u32_e32 vcc, s49, v11
	v_add_co_u32_e64 v18, s[0:1], 1, v3
	v_cndmask_b32_e64 v13, 0, -1, vcc
	v_cmp_le_u32_e32 vcc, s48, v9
	v_addc_co_u32_e64 v19, s[0:1], 0, v5, s[0:1]
	v_cndmask_b32_e64 v9, 0, -1, vcc
	v_cmp_eq_u32_e32 vcc, s49, v11
	v_cmp_ne_u32_e64 s[0:1], 0, v15
	v_cndmask_b32_e32 v9, v13, v9, vcc
	v_cmp_ne_u32_e32 vcc, 0, v9
	v_cndmask_b32_e64 v9, v18, v16, s[0:1]
	v_cndmask_b32_e64 v15, v19, v17, s[0:1]
	v_cndmask_b32_e32 v3, v3, v9, vcc
	v_xor_b32_e32 v9, s47, v7
	v_xor_b32_e32 v7, s46, v7
	v_cndmask_b32_e32 v5, v5, v15, vcc
	v_xor_b32_e32 v3, v3, v7
	v_xor_b32_e32 v5, v5, v9
	v_sub_co_u32_e32 v16, vcc, v3, v7
	v_subb_co_u32_e32 v17, vcc, v5, v9, vcc
.LBB17_24:                              ;   in Loop: Header=BB17_18 Depth=2
	s_andn2_saveexec_b64 s[0:1], s[42:43]
	s_cbranch_execz .LBB17_26
; %bb.25:                               ;   in Loop: Header=BB17_18 Depth=2
	v_cvt_f32_u32_e32 v3, s63
	s_sub_i32 s42, 0, s63
	v_mov_b32_e32 v17, v2
	v_rcp_iflag_f32_e32 v3, v3
	v_mul_f32_e32 v3, 0x4f7ffffe, v3
	v_cvt_u32_f32_e32 v3, v3
	v_mul_lo_u32 v5, s42, v3
	v_mul_hi_u32 v5, v3, v5
	v_add_u32_e32 v3, v3, v5
	v_mul_hi_u32 v3, v14, v3
	v_mul_lo_u32 v5, v3, s63
	v_sub_u32_e32 v5, v14, v5
	v_add_u32_e32 v7, 1, v3
	v_subrev_u32_e32 v9, s63, v5
	v_cmp_le_u32_e32 vcc, s63, v5
	v_cndmask_b32_e32 v5, v5, v9, vcc
	v_cndmask_b32_e32 v3, v3, v7, vcc
	v_add_u32_e32 v7, 1, v3
	v_cmp_le_u32_e32 vcc, s63, v5
	v_cndmask_b32_e32 v16, v3, v7, vcc
.LBB17_26:                              ;   in Loop: Header=BB17_18 Depth=2
	s_or_b64 exec, exec, s[0:1]
	s_add_u32 s0, s55, s44
	s_addc_u32 s1, s56, s45
	s_add_i32 s42, s20, -2
	s_mov_b32 s43, s21
	s_lshl_b64 s[42:43], s[42:43], 2
	s_add_u32 s44, s50, s42
	s_addc_u32 s45, s51, s43
	s_load_dword s66, s[44:45], 0x8
	s_load_dword s68, s[2:3], 0x6c
	;; [unrolled: 1-line block ×3, first 2 shown]
                                        ; implicit-def: $vgpr18_vgpr19
	s_waitcnt lgkmcnt(0)
	s_ashr_i32 s0, s66, 31
	v_or_b32_e32 v3, s0, v17
	v_cmp_ne_u64_e32 vcc, 0, v[2:3]
	s_and_saveexec_b64 s[2:3], vcc
	s_xor_b64 s[2:3], exec, s[2:3]
	s_cbranch_execz .LBB17_28
; %bb.27:                               ;   in Loop: Header=BB17_18 Depth=2
	s_add_u32 s48, s66, s0
	s_mov_b32 s46, s0
	s_mov_b32 s47, s0
	s_addc_u32 s49, s0, s0
	s_xor_b64 s[48:49], s[48:49], s[46:47]
	v_cvt_f32_u32_e32 v3, s48
	v_cvt_f32_u32_e32 v5, s49
	s_sub_u32 s0, 0, s48
	s_subb_u32 s1, 0, s49
	v_mac_f32_e32 v3, 0x4f800000, v5
	v_rcp_f32_e32 v3, v3
	v_mul_f32_e32 v3, 0x5f7ffffc, v3
	v_mul_f32_e32 v5, 0x2f800000, v3
	v_trunc_f32_e32 v5, v5
	v_mac_f32_e32 v3, 0xcf800000, v5
	v_cvt_u32_f32_e32 v5, v5
	v_cvt_u32_f32_e32 v3, v3
	v_mul_lo_u32 v7, s0, v5
	v_mul_hi_u32 v11, s0, v3
	v_mul_lo_u32 v9, s1, v3
	v_add_u32_e32 v7, v11, v7
	v_mul_lo_u32 v13, s0, v3
	v_add_u32_e32 v7, v7, v9
	v_mul_lo_u32 v11, v3, v7
	v_mul_hi_u32 v15, v3, v13
	v_mul_hi_u32 v9, v3, v7
	v_add_co_u32_e32 v11, vcc, v15, v11
	v_addc_co_u32_e32 v9, vcc, 0, v9, vcc
	v_mul_hi_u32 v18, v5, v13
	v_mul_lo_u32 v13, v5, v13
	v_add_co_u32_e32 v11, vcc, v11, v13
	v_mul_hi_u32 v15, v5, v7
	v_addc_co_u32_e32 v9, vcc, v9, v18, vcc
	v_addc_co_u32_e32 v11, vcc, 0, v15, vcc
	v_mul_lo_u32 v7, v5, v7
	v_add_co_u32_e32 v7, vcc, v9, v7
	v_addc_co_u32_e32 v9, vcc, 0, v11, vcc
	v_add_co_u32_e32 v3, vcc, v3, v7
	v_addc_co_u32_e32 v5, vcc, v5, v9, vcc
	v_mul_lo_u32 v7, s0, v5
	v_mul_hi_u32 v9, s0, v3
	v_add_u32_e32 v7, v9, v7
	v_mul_lo_u32 v9, s1, v3
	v_add_u32_e32 v7, v7, v9
	v_mul_lo_u32 v11, s0, v3
	v_mul_hi_u32 v13, v5, v11
	v_mul_lo_u32 v15, v5, v11
	v_mul_lo_u32 v19, v3, v7
	v_mul_hi_u32 v11, v3, v11
	v_mul_hi_u32 v18, v3, v7
	v_add_co_u32_e32 v11, vcc, v11, v19
	v_addc_co_u32_e32 v18, vcc, 0, v18, vcc
	v_add_co_u32_e32 v11, vcc, v11, v15
	v_mul_hi_u32 v9, v5, v7
	v_addc_co_u32_e32 v11, vcc, v18, v13, vcc
	v_addc_co_u32_e32 v9, vcc, 0, v9, vcc
	v_mul_lo_u32 v7, v5, v7
	v_add_co_u32_e32 v7, vcc, v11, v7
	v_addc_co_u32_e32 v9, vcc, 0, v9, vcc
	v_add_co_u32_e32 v3, vcc, v3, v7
	v_addc_co_u32_e32 v5, vcc, v5, v9, vcc
	v_ashrrev_i32_e32 v7, 31, v17
	v_add_co_u32_e32 v9, vcc, v16, v7
	v_xor_b32_e32 v9, v9, v7
	v_addc_co_u32_e32 v11, vcc, v17, v7, vcc
	v_mad_u64_u32 v[18:19], s[0:1], v9, v5, 0
	v_mul_hi_u32 v13, v9, v3
	v_xor_b32_e32 v11, v11, v7
	v_add_co_u32_e32 v13, vcc, v13, v18
	v_addc_co_u32_e32 v15, vcc, 0, v19, vcc
	v_mad_u64_u32 v[20:21], s[0:1], v11, v3, 0
	v_add_co_u32_e32 v3, vcc, v13, v20
	v_mad_u64_u32 v[18:19], s[0:1], v11, v5, 0
	v_addc_co_u32_e32 v3, vcc, v15, v21, vcc
	v_addc_co_u32_e32 v5, vcc, 0, v19, vcc
	v_add_co_u32_e32 v3, vcc, v3, v18
	v_addc_co_u32_e32 v5, vcc, 0, v5, vcc
	v_mul_lo_u32 v13, s49, v3
	v_mul_lo_u32 v15, s48, v5
	v_mad_u64_u32 v[18:19], s[0:1], s48, v3, 0
	v_add3_u32 v13, v19, v15, v13
	v_sub_u32_e32 v15, v11, v13
	v_mov_b32_e32 v17, s49
	v_sub_co_u32_e32 v9, vcc, v9, v18
	v_subb_co_u32_e64 v15, s[0:1], v15, v17, vcc
	v_subrev_co_u32_e64 v17, s[0:1], s48, v9
	v_subbrev_co_u32_e64 v15, s[0:1], 0, v15, s[0:1]
	v_cmp_le_u32_e64 s[0:1], s49, v15
	v_cndmask_b32_e64 v18, 0, -1, s[0:1]
	v_cmp_le_u32_e64 s[0:1], s48, v17
	v_cndmask_b32_e64 v17, 0, -1, s[0:1]
	v_cmp_eq_u32_e64 s[0:1], s49, v15
	v_cndmask_b32_e64 v15, v18, v17, s[0:1]
	v_add_co_u32_e64 v17, s[0:1], 2, v3
	v_subb_co_u32_e32 v11, vcc, v11, v13, vcc
	v_addc_co_u32_e64 v18, s[0:1], 0, v5, s[0:1]
	v_cmp_le_u32_e32 vcc, s49, v11
	v_add_co_u32_e64 v19, s[0:1], 1, v3
	v_cndmask_b32_e64 v13, 0, -1, vcc
	v_cmp_le_u32_e32 vcc, s48, v9
	v_addc_co_u32_e64 v20, s[0:1], 0, v5, s[0:1]
	v_cndmask_b32_e64 v9, 0, -1, vcc
	v_cmp_eq_u32_e32 vcc, s49, v11
	v_cmp_ne_u32_e64 s[0:1], 0, v15
	v_cndmask_b32_e32 v9, v13, v9, vcc
	v_cmp_ne_u32_e32 vcc, 0, v9
	v_cndmask_b32_e64 v9, v19, v17, s[0:1]
	v_cndmask_b32_e64 v15, v20, v18, s[0:1]
	v_cndmask_b32_e32 v3, v3, v9, vcc
	v_xor_b32_e32 v9, s47, v7
	v_xor_b32_e32 v7, s46, v7
	v_cndmask_b32_e32 v5, v5, v15, vcc
	v_xor_b32_e32 v3, v3, v7
	v_xor_b32_e32 v5, v5, v9
	v_sub_co_u32_e32 v18, vcc, v3, v7
	v_subb_co_u32_e32 v19, vcc, v5, v9, vcc
.LBB17_28:                              ;   in Loop: Header=BB17_18 Depth=2
	s_andn2_saveexec_b64 s[0:1], s[2:3]
	s_cbranch_execz .LBB17_30
; %bb.29:                               ;   in Loop: Header=BB17_18 Depth=2
	v_cvt_f32_u32_e32 v3, s66
	s_sub_i32 s2, 0, s66
	v_mov_b32_e32 v19, v2
	v_rcp_iflag_f32_e32 v3, v3
	v_mul_f32_e32 v3, 0x4f7ffffe, v3
	v_cvt_u32_f32_e32 v3, v3
	v_mul_lo_u32 v5, s2, v3
	v_mul_hi_u32 v5, v3, v5
	v_add_u32_e32 v3, v3, v5
	v_mul_hi_u32 v3, v16, v3
	v_mul_lo_u32 v5, v3, s66
	v_sub_u32_e32 v5, v16, v5
	v_add_u32_e32 v7, 1, v3
	v_subrev_u32_e32 v9, s66, v5
	v_cmp_le_u32_e32 vcc, s66, v5
	v_cndmask_b32_e32 v5, v5, v9, vcc
	v_cndmask_b32_e32 v3, v3, v7, vcc
	v_add_u32_e32 v7, 1, v3
	v_cmp_le_u32_e32 vcc, s66, v5
	v_cndmask_b32_e32 v18, v3, v7, vcc
.LBB17_30:                              ;   in Loop: Header=BB17_18 Depth=2
	s_or_b64 exec, exec, s[0:1]
	s_add_u32 s0, s55, s42
	s_addc_u32 s1, s56, s43
	s_add_i32 s2, s20, -3
	s_mov_b32 s3, s21
	s_lshl_b64 s[2:3], s[2:3], 2
	s_add_u32 s42, s50, s2
	s_addc_u32 s43, s51, s3
	s_load_dword s69, s[42:43], 0x8
	s_load_dword s70, s[44:45], 0x6c
	;; [unrolled: 1-line block ×3, first 2 shown]
                                        ; implicit-def: $vgpr20_vgpr21
	s_waitcnt lgkmcnt(0)
	s_ashr_i32 s0, s69, 31
	v_or_b32_e32 v3, s0, v19
	v_cmp_ne_u64_e32 vcc, 0, v[2:3]
	s_and_saveexec_b64 s[44:45], vcc
	s_xor_b64 s[44:45], exec, s[44:45]
	s_cbranch_execz .LBB17_32
; %bb.31:                               ;   in Loop: Header=BB17_18 Depth=2
	s_add_u32 s48, s69, s0
	s_mov_b32 s46, s0
	s_mov_b32 s47, s0
	s_addc_u32 s49, s0, s0
	s_xor_b64 s[48:49], s[48:49], s[46:47]
	v_cvt_f32_u32_e32 v3, s48
	v_cvt_f32_u32_e32 v5, s49
	s_sub_u32 s0, 0, s48
	s_subb_u32 s1, 0, s49
	v_mac_f32_e32 v3, 0x4f800000, v5
	v_rcp_f32_e32 v3, v3
	v_mul_f32_e32 v3, 0x5f7ffffc, v3
	v_mul_f32_e32 v5, 0x2f800000, v3
	v_trunc_f32_e32 v5, v5
	v_mac_f32_e32 v3, 0xcf800000, v5
	v_cvt_u32_f32_e32 v5, v5
	v_cvt_u32_f32_e32 v3, v3
	v_mul_lo_u32 v7, s0, v5
	v_mul_hi_u32 v11, s0, v3
	v_mul_lo_u32 v9, s1, v3
	v_add_u32_e32 v7, v11, v7
	v_mul_lo_u32 v13, s0, v3
	v_add_u32_e32 v7, v7, v9
	v_mul_lo_u32 v11, v3, v7
	v_mul_hi_u32 v15, v3, v13
	v_mul_hi_u32 v9, v3, v7
	v_add_co_u32_e32 v11, vcc, v15, v11
	v_addc_co_u32_e32 v9, vcc, 0, v9, vcc
	v_mul_hi_u32 v17, v5, v13
	v_mul_lo_u32 v13, v5, v13
	v_add_co_u32_e32 v11, vcc, v11, v13
	v_mul_hi_u32 v15, v5, v7
	v_addc_co_u32_e32 v9, vcc, v9, v17, vcc
	v_addc_co_u32_e32 v11, vcc, 0, v15, vcc
	v_mul_lo_u32 v7, v5, v7
	v_add_co_u32_e32 v7, vcc, v9, v7
	v_addc_co_u32_e32 v9, vcc, 0, v11, vcc
	v_add_co_u32_e32 v3, vcc, v3, v7
	v_addc_co_u32_e32 v5, vcc, v5, v9, vcc
	v_mul_lo_u32 v7, s0, v5
	v_mul_hi_u32 v9, s0, v3
	v_add_u32_e32 v7, v9, v7
	v_mul_lo_u32 v9, s1, v3
	v_add_u32_e32 v7, v7, v9
	v_mul_lo_u32 v11, s0, v3
	v_mul_hi_u32 v13, v5, v11
	v_mul_lo_u32 v15, v5, v11
	v_mul_lo_u32 v20, v3, v7
	v_mul_hi_u32 v11, v3, v11
	v_mul_hi_u32 v17, v3, v7
	v_add_co_u32_e32 v11, vcc, v11, v20
	v_addc_co_u32_e32 v17, vcc, 0, v17, vcc
	v_add_co_u32_e32 v11, vcc, v11, v15
	v_mul_hi_u32 v9, v5, v7
	v_addc_co_u32_e32 v11, vcc, v17, v13, vcc
	v_addc_co_u32_e32 v9, vcc, 0, v9, vcc
	v_mul_lo_u32 v7, v5, v7
	v_add_co_u32_e32 v7, vcc, v11, v7
	v_addc_co_u32_e32 v9, vcc, 0, v9, vcc
	v_add_co_u32_e32 v3, vcc, v3, v7
	v_addc_co_u32_e32 v5, vcc, v5, v9, vcc
	v_ashrrev_i32_e32 v7, 31, v19
	v_add_co_u32_e32 v9, vcc, v18, v7
	v_xor_b32_e32 v9, v9, v7
	v_addc_co_u32_e32 v11, vcc, v19, v7, vcc
	v_mad_u64_u32 v[20:21], s[0:1], v9, v5, 0
	v_mul_hi_u32 v13, v9, v3
	v_xor_b32_e32 v11, v11, v7
	v_add_co_u32_e32 v13, vcc, v13, v20
	v_addc_co_u32_e32 v15, vcc, 0, v21, vcc
	v_mad_u64_u32 v[24:25], s[0:1], v11, v3, 0
	v_add_co_u32_e32 v3, vcc, v13, v24
	v_mad_u64_u32 v[20:21], s[0:1], v11, v5, 0
	v_addc_co_u32_e32 v3, vcc, v15, v25, vcc
	v_addc_co_u32_e32 v5, vcc, 0, v21, vcc
	v_add_co_u32_e32 v3, vcc, v3, v20
	v_addc_co_u32_e32 v5, vcc, 0, v5, vcc
	v_mul_lo_u32 v13, s49, v3
	v_mul_lo_u32 v15, s48, v5
	v_mad_u64_u32 v[20:21], s[0:1], s48, v3, 0
	v_add3_u32 v13, v21, v15, v13
	v_sub_u32_e32 v15, v11, v13
	v_mov_b32_e32 v17, s49
	v_sub_co_u32_e32 v9, vcc, v9, v20
	v_subb_co_u32_e64 v15, s[0:1], v15, v17, vcc
	v_subrev_co_u32_e64 v17, s[0:1], s48, v9
	v_subbrev_co_u32_e64 v15, s[0:1], 0, v15, s[0:1]
	v_cmp_le_u32_e64 s[0:1], s49, v15
	v_cndmask_b32_e64 v19, 0, -1, s[0:1]
	v_cmp_le_u32_e64 s[0:1], s48, v17
	v_cndmask_b32_e64 v17, 0, -1, s[0:1]
	v_cmp_eq_u32_e64 s[0:1], s49, v15
	v_cndmask_b32_e64 v15, v19, v17, s[0:1]
	v_add_co_u32_e64 v17, s[0:1], 2, v3
	v_subb_co_u32_e32 v11, vcc, v11, v13, vcc
	v_addc_co_u32_e64 v19, s[0:1], 0, v5, s[0:1]
	v_cmp_le_u32_e32 vcc, s49, v11
	v_add_co_u32_e64 v20, s[0:1], 1, v3
	v_cndmask_b32_e64 v13, 0, -1, vcc
	v_cmp_le_u32_e32 vcc, s48, v9
	v_addc_co_u32_e64 v21, s[0:1], 0, v5, s[0:1]
	v_cndmask_b32_e64 v9, 0, -1, vcc
	v_cmp_eq_u32_e32 vcc, s49, v11
	v_cmp_ne_u32_e64 s[0:1], 0, v15
	v_cndmask_b32_e32 v9, v13, v9, vcc
	v_cmp_ne_u32_e32 vcc, 0, v9
	v_cndmask_b32_e64 v9, v20, v17, s[0:1]
	v_cndmask_b32_e64 v15, v21, v19, s[0:1]
	v_cndmask_b32_e32 v3, v3, v9, vcc
	v_xor_b32_e32 v9, s47, v7
	v_xor_b32_e32 v7, s46, v7
	v_cndmask_b32_e32 v5, v5, v15, vcc
	v_xor_b32_e32 v3, v3, v7
	v_xor_b32_e32 v5, v5, v9
	v_sub_co_u32_e32 v20, vcc, v3, v7
	v_subb_co_u32_e32 v21, vcc, v5, v9, vcc
.LBB17_32:                              ;   in Loop: Header=BB17_18 Depth=2
	s_andn2_saveexec_b64 s[0:1], s[44:45]
	s_cbranch_execz .LBB17_34
; %bb.33:                               ;   in Loop: Header=BB17_18 Depth=2
	v_cvt_f32_u32_e32 v3, s69
	s_sub_i32 s44, 0, s69
	v_mov_b32_e32 v21, v2
	v_rcp_iflag_f32_e32 v3, v3
	v_mul_f32_e32 v3, 0x4f7ffffe, v3
	v_cvt_u32_f32_e32 v3, v3
	v_mul_lo_u32 v5, s44, v3
	v_mul_hi_u32 v5, v3, v5
	v_add_u32_e32 v3, v3, v5
	v_mul_hi_u32 v3, v18, v3
	v_mul_lo_u32 v5, v3, s69
	v_sub_u32_e32 v5, v18, v5
	v_add_u32_e32 v7, 1, v3
	v_subrev_u32_e32 v9, s69, v5
	v_cmp_le_u32_e32 vcc, s69, v5
	v_cndmask_b32_e32 v5, v5, v9, vcc
	v_cndmask_b32_e32 v3, v3, v7, vcc
	v_add_u32_e32 v7, 1, v3
	v_cmp_le_u32_e32 vcc, s69, v5
	v_cndmask_b32_e32 v20, v3, v7, vcc
.LBB17_34:                              ;   in Loop: Header=BB17_18 Depth=2
	s_or_b64 exec, exec, s[0:1]
	s_add_u32 s0, s55, s2
	v_mul_lo_u32 v3, v14, s62
	v_mul_lo_u32 v7, v16, s63
	s_load_dword s2, s[42:43], 0x6c
	s_addc_u32 s1, s56, s3
	s_load_dword s0, s[0:1], 0x0
	v_sub_u32_e32 v3, v12, v3
	v_sub_u32_e32 v7, v14, v7
	v_mul_lo_u32 v5, s64, v3
	v_mul_lo_u32 v3, s65, v3
	;; [unrolled: 1-line block ×4, first 2 shown]
	v_add3_u32 v5, v5, v10, v9
	v_add3_u32 v3, v3, v4, v7
	v_mul_lo_u32 v4, v18, s66
	v_mul_lo_u32 v9, v20, s69
	v_sub_u32_e32 v4, v16, v4
	v_sub_u32_e32 v9, v18, v9
	v_mul_lo_u32 v7, s70, v4
	s_waitcnt lgkmcnt(0)
	v_mul_lo_u32 v10, s2, v9
	v_mul_lo_u32 v4, s71, v4
	v_add3_u32 v10, v7, v5, v10
	v_mul_lo_u32 v5, s0, v9
	s_add_i32 s20, s20, -4
	s_cmp_eq_u32 s20, -1
	v_add3_u32 v4, v4, v3, v5
	s_cbranch_scc1 .LBB17_41
; %bb.35:                               ;   in Loop: Header=BB17_18 Depth=2
	v_pk_mov_b32 v[12:13], v[20:21], v[20:21] op_sel:[0,1]
	s_branch .LBB17_18
.LBB17_36:                              ;   in Loop: Header=BB17_37 Depth=2
	s_or_b64 exec, exec, s[0:1]
	s_load_dword s42, s[42:43], 0x6c
	s_add_u32 s0, s55, s2
	s_addc_u32 s1, s56, s3
	s_load_dword s2, s[0:1], 0x0
	v_mul_lo_u32 v3, v12, s63
	v_sub_u32_e32 v3, v14, v3
	s_waitcnt lgkmcnt(0)
	v_mad_u64_u32 v[10:11], s[0:1], s42, v3, v[10:11]
	s_add_i32 s20, s20, -1
	s_xor_b32 s0, s60, s62
	s_add_i32 s62, s62, 1
	s_cmp_lg_u32 s0, 2
	v_mad_u64_u32 v[4:5], s[0:1], s2, v3, v[4:5]
	s_cbranch_scc0 .LBB17_17
.LBB17_37:                              ;   Parent Loop BB17_3 Depth=1
                                        ; =>  This Inner Loop Header: Depth=2
	s_lshl_b64 s[2:3], s[20:21], 2
	s_add_u32 s42, s50, s2
	s_addc_u32 s43, s51, s3
	s_load_dword s63, s[42:43], 0x8
	v_pk_mov_b32 v[14:15], v[12:13], v[12:13] op_sel:[0,1]
                                        ; implicit-def: $vgpr12_vgpr13
	s_waitcnt lgkmcnt(0)
	s_ashr_i32 s0, s63, 31
	v_or_b32_e32 v3, s0, v15
	v_cmp_ne_u64_e32 vcc, 0, v[2:3]
	s_and_saveexec_b64 s[44:45], vcc
	s_xor_b64 s[44:45], exec, s[44:45]
	s_cbranch_execz .LBB17_39
; %bb.38:                               ;   in Loop: Header=BB17_37 Depth=2
	s_add_u32 s48, s63, s0
	s_mov_b32 s46, s0
	s_mov_b32 s47, s0
	s_addc_u32 s49, s0, s0
	s_xor_b64 s[48:49], s[48:49], s[46:47]
	v_cvt_f32_u32_e32 v3, s48
	v_cvt_f32_u32_e32 v5, s49
	s_sub_u32 s0, 0, s48
	s_subb_u32 s1, 0, s49
	v_mac_f32_e32 v3, 0x4f800000, v5
	v_rcp_f32_e32 v3, v3
	v_mul_f32_e32 v3, 0x5f7ffffc, v3
	v_mul_f32_e32 v5, 0x2f800000, v3
	v_trunc_f32_e32 v5, v5
	v_mac_f32_e32 v3, 0xcf800000, v5
	v_cvt_u32_f32_e32 v5, v5
	v_cvt_u32_f32_e32 v3, v3
	v_mul_lo_u32 v7, s0, v5
	v_mul_hi_u32 v11, s0, v3
	v_mul_lo_u32 v9, s1, v3
	v_add_u32_e32 v7, v11, v7
	v_mul_lo_u32 v12, s0, v3
	v_add_u32_e32 v7, v7, v9
	v_mul_lo_u32 v11, v3, v7
	v_mul_hi_u32 v13, v3, v12
	v_mul_hi_u32 v9, v3, v7
	v_add_co_u32_e32 v11, vcc, v13, v11
	v_addc_co_u32_e32 v9, vcc, 0, v9, vcc
	v_mul_hi_u32 v16, v5, v12
	v_mul_lo_u32 v12, v5, v12
	v_add_co_u32_e32 v11, vcc, v11, v12
	v_mul_hi_u32 v13, v5, v7
	v_addc_co_u32_e32 v9, vcc, v9, v16, vcc
	v_addc_co_u32_e32 v11, vcc, 0, v13, vcc
	v_mul_lo_u32 v7, v5, v7
	v_add_co_u32_e32 v7, vcc, v9, v7
	v_addc_co_u32_e32 v9, vcc, 0, v11, vcc
	v_add_co_u32_e32 v3, vcc, v3, v7
	v_addc_co_u32_e32 v5, vcc, v5, v9, vcc
	v_mul_lo_u32 v7, s0, v5
	v_mul_hi_u32 v9, s0, v3
	v_add_u32_e32 v7, v9, v7
	v_mul_lo_u32 v9, s1, v3
	v_add_u32_e32 v7, v7, v9
	v_mul_lo_u32 v11, s0, v3
	v_mul_hi_u32 v12, v5, v11
	v_mul_lo_u32 v13, v5, v11
	v_mul_lo_u32 v17, v3, v7
	v_mul_hi_u32 v11, v3, v11
	v_mul_hi_u32 v16, v3, v7
	v_add_co_u32_e32 v11, vcc, v11, v17
	v_addc_co_u32_e32 v16, vcc, 0, v16, vcc
	v_add_co_u32_e32 v11, vcc, v11, v13
	v_mul_hi_u32 v9, v5, v7
	v_addc_co_u32_e32 v11, vcc, v16, v12, vcc
	v_addc_co_u32_e32 v9, vcc, 0, v9, vcc
	v_mul_lo_u32 v7, v5, v7
	v_add_co_u32_e32 v7, vcc, v11, v7
	v_addc_co_u32_e32 v9, vcc, 0, v9, vcc
	v_add_co_u32_e32 v3, vcc, v3, v7
	v_addc_co_u32_e32 v5, vcc, v5, v9, vcc
	v_ashrrev_i32_e32 v7, 31, v15
	v_add_co_u32_e32 v9, vcc, v14, v7
	v_xor_b32_e32 v9, v9, v7
	v_addc_co_u32_e32 v11, vcc, v15, v7, vcc
	v_mad_u64_u32 v[12:13], s[0:1], v9, v5, 0
	v_mul_hi_u32 v15, v9, v3
	v_xor_b32_e32 v11, v11, v7
	v_add_co_u32_e32 v15, vcc, v15, v12
	v_addc_co_u32_e32 v18, vcc, 0, v13, vcc
	v_mad_u64_u32 v[16:17], s[0:1], v11, v3, 0
	v_add_co_u32_e32 v3, vcc, v15, v16
	v_mad_u64_u32 v[12:13], s[0:1], v11, v5, 0
	v_addc_co_u32_e32 v3, vcc, v18, v17, vcc
	v_addc_co_u32_e32 v5, vcc, 0, v13, vcc
	v_add_co_u32_e32 v3, vcc, v3, v12
	v_addc_co_u32_e32 v5, vcc, 0, v5, vcc
	v_mul_lo_u32 v15, s49, v3
	v_mul_lo_u32 v16, s48, v5
	v_mad_u64_u32 v[12:13], s[0:1], s48, v3, 0
	v_add3_u32 v13, v13, v16, v15
	v_sub_u32_e32 v15, v11, v13
	v_mov_b32_e32 v16, s49
	v_sub_co_u32_e32 v9, vcc, v9, v12
	v_subb_co_u32_e64 v12, s[0:1], v15, v16, vcc
	v_subrev_co_u32_e64 v15, s[0:1], s48, v9
	v_subbrev_co_u32_e64 v12, s[0:1], 0, v12, s[0:1]
	v_cmp_le_u32_e64 s[0:1], s49, v12
	v_cndmask_b32_e64 v16, 0, -1, s[0:1]
	v_cmp_le_u32_e64 s[0:1], s48, v15
	v_cndmask_b32_e64 v15, 0, -1, s[0:1]
	v_cmp_eq_u32_e64 s[0:1], s49, v12
	v_cndmask_b32_e64 v12, v16, v15, s[0:1]
	v_add_co_u32_e64 v15, s[0:1], 2, v3
	v_subb_co_u32_e32 v11, vcc, v11, v13, vcc
	v_addc_co_u32_e64 v16, s[0:1], 0, v5, s[0:1]
	v_cmp_le_u32_e32 vcc, s49, v11
	v_add_co_u32_e64 v17, s[0:1], 1, v3
	v_cndmask_b32_e64 v13, 0, -1, vcc
	v_cmp_le_u32_e32 vcc, s48, v9
	v_addc_co_u32_e64 v18, s[0:1], 0, v5, s[0:1]
	v_cndmask_b32_e64 v9, 0, -1, vcc
	v_cmp_eq_u32_e32 vcc, s49, v11
	v_cmp_ne_u32_e64 s[0:1], 0, v12
	v_cndmask_b32_e32 v9, v13, v9, vcc
	v_cmp_ne_u32_e32 vcc, 0, v9
	v_cndmask_b32_e64 v9, v17, v15, s[0:1]
	v_cndmask_b32_e64 v12, v18, v16, s[0:1]
	v_cndmask_b32_e32 v3, v3, v9, vcc
	v_xor_b32_e32 v9, s47, v7
	v_xor_b32_e32 v7, s46, v7
	v_cndmask_b32_e32 v5, v5, v12, vcc
	v_xor_b32_e32 v3, v3, v7
	v_xor_b32_e32 v5, v5, v9
	v_sub_co_u32_e32 v12, vcc, v3, v7
	v_subb_co_u32_e32 v13, vcc, v5, v9, vcc
.LBB17_39:                              ;   in Loop: Header=BB17_37 Depth=2
	s_andn2_saveexec_b64 s[0:1], s[44:45]
	s_cbranch_execz .LBB17_36
; %bb.40:                               ;   in Loop: Header=BB17_37 Depth=2
	v_cvt_f32_u32_e32 v3, s63
	s_sub_i32 s44, 0, s63
	v_mov_b32_e32 v13, v2
	v_rcp_iflag_f32_e32 v3, v3
	v_mul_f32_e32 v3, 0x4f7ffffe, v3
	v_cvt_u32_f32_e32 v3, v3
	v_mul_lo_u32 v5, s44, v3
	v_mul_hi_u32 v5, v3, v5
	v_add_u32_e32 v3, v3, v5
	v_mul_hi_u32 v3, v14, v3
	v_mul_lo_u32 v5, v3, s63
	v_sub_u32_e32 v5, v14, v5
	v_add_u32_e32 v7, 1, v3
	v_subrev_u32_e32 v9, s63, v5
	v_cmp_le_u32_e32 vcc, s63, v5
	v_cndmask_b32_e32 v5, v5, v9, vcc
	v_cndmask_b32_e32 v3, v3, v7, vcc
	v_add_u32_e32 v7, 1, v3
	v_cmp_le_u32_e32 vcc, s63, v5
	v_cndmask_b32_e32 v12, v3, v7, vcc
	s_branch .LBB17_36
.LBB17_41:                              ;   in Loop: Header=BB17_3 Depth=1
	v_mov_b32_e32 v3, v6
	v_sub_u32_e32 v6, v6, v8
	v_ashrrev_i32_e32 v7, 31, v6
	v_cmp_ge_i64_e32 vcc, s[8:9], v[6:7]
                                        ; implicit-def: $vgpr9
                                        ; implicit-def: $vgpr11
	s_and_saveexec_b64 s[0:1], vcc
	s_xor_b64 s[0:1], exec, s[0:1]
	s_cbranch_execnz .LBB17_44
; %bb.42:                               ;   in Loop: Header=BB17_3 Depth=1
	s_andn2_saveexec_b64 s[0:1], s[0:1]
	s_cbranch_execnz .LBB17_53
.LBB17_43:                              ;   in Loop: Header=BB17_3 Depth=1
	s_or_b64 exec, exec, s[0:1]
	v_cmp_gt_i32_e32 vcc, s13, v3
	s_and_saveexec_b64 s[0:1], vcc
	s_cbranch_execz .LBB17_2
	s_branch .LBB17_54
.LBB17_44:                              ;   in Loop: Header=BB17_3 Depth=1
	v_cmp_gt_i32_e32 vcc, s13, v3
	v_mov_b32_e32 v5, 0
	v_mov_b32_e32 v9, 0
	s_and_saveexec_b64 s[2:3], vcc
	s_cbranch_execz .LBB17_52
; %bb.45:                               ;   in Loop: Header=BB17_3 Depth=1
	v_ashrrev_i32_e32 v11, 31, v10
	v_lshlrev_b64 v[6:7], 1, v[10:11]
	v_mov_b32_e32 v5, s7
	v_add_co_u32_e32 v6, vcc, s6, v6
	v_addc_co_u32_e32 v7, vcc, v5, v7, vcc
	global_load_ushort v5, v[6:7], off
	v_add_u32_e32 v11, 1, v3
	v_mov_b32_e32 v9, 0
	v_cmp_gt_i32_e32 vcc, s13, v11
	s_waitcnt vmcnt(0)
	v_and_b32_e32 v5, 0xffff, v5
	s_and_saveexec_b64 s[42:43], vcc
	s_xor_b64 s[42:43], exec, s[42:43]
	s_cbranch_execz .LBB17_51
; %bb.46:                               ;   in Loop: Header=BB17_3 Depth=1
	s_lshl_b64 s[44:45], s[36:37], 1
	v_mov_b32_e32 v9, s45
	v_add_co_u32_e32 v6, vcc, s44, v6
	v_addc_co_u32_e32 v7, vcc, v7, v9, vcc
	global_load_ushort v6, v[6:7], off
	v_add_u32_e32 v7, 2, v3
	v_mov_b32_e32 v9, 0
	v_cmp_gt_i32_e32 vcc, s13, v7
	s_waitcnt vmcnt(0)
	v_perm_b32 v5, v6, v5, s61
	s_and_saveexec_b64 s[44:45], vcc
	s_xor_b64 s[44:45], exec, s[44:45]
	s_cbranch_execz .LBB17_50
; %bb.47:                               ;   in Loop: Header=BB17_3 Depth=1
	s_add_i32 s20, s36, s36
	v_add_u32_e32 v6, s20, v10
	v_ashrrev_i32_e32 v7, 31, v6
	v_lshlrev_b64 v[10:11], 1, v[6:7]
	v_mov_b32_e32 v7, s7
	v_add_co_u32_e32 v10, vcc, s6, v10
	v_addc_co_u32_e32 v11, vcc, v7, v11, vcc
	global_load_ushort v7, v[10:11], off
	v_add_u32_e32 v10, 3, v3
	v_cmp_gt_i32_e32 vcc, s13, v10
	s_waitcnt vmcnt(0)
	v_bfi_b32 v9, s33, v7, 0
	s_and_saveexec_b64 s[46:47], vcc
	s_xor_b64 s[46:47], exec, s[46:47]
	s_cbranch_execz .LBB17_49
; %bb.48:                               ;   in Loop: Header=BB17_3 Depth=1
	v_add_u32_e32 v6, s36, v6
	v_ashrrev_i32_e32 v7, 31, v6
	v_lshlrev_b64 v[6:7], 1, v[6:7]
	v_mov_b32_e32 v10, s7
	v_add_co_u32_e32 v6, vcc, s6, v6
	v_addc_co_u32_e32 v7, vcc, v10, v7, vcc
	global_load_ushort v6, v[6:7], off
	s_waitcnt vmcnt(0)
	v_perm_b32 v9, v6, v9, s61
.LBB17_49:                              ;   in Loop: Header=BB17_3 Depth=1
	s_or_b64 exec, exec, s[46:47]
.LBB17_50:                              ;   in Loop: Header=BB17_3 Depth=1
	s_or_b64 exec, exec, s[44:45]
.LBB17_51:                              ;   in Loop: Header=BB17_3 Depth=1
	s_or_b64 exec, exec, s[42:43]
.LBB17_52:                              ;   in Loop: Header=BB17_3 Depth=1
	s_or_b64 exec, exec, s[2:3]
	v_sub_u32_e32 v6, v3, v8
	v_add_u32_e32 v12, 2, v6
	v_add_u32_e32 v14, 3, v6
	v_ashrrev_i32_e32 v13, 31, v12
	v_ashrrev_i32_e32 v15, 31, v14
	v_cmp_ge_i64_e32 vcc, s[30:31], v[12:13]
	v_add_u32_e32 v10, 1, v6
	v_ashrrev_i32_e32 v7, 31, v6
	v_cndmask_b32_e32 v8, 0, v9, vcc
	v_lshrrev_b32_e32 v9, 16, v9
	v_cmp_ge_i64_e32 vcc, s[34:35], v[14:15]
	v_ashrrev_i32_e32 v11, 31, v10
	v_cndmask_b32_e32 v9, 0, v9, vcc
	v_cmp_ge_i64_e32 vcc, s[26:27], v[6:7]
	v_cndmask_b32_e32 v6, 0, v5, vcc
	v_lshrrev_b32_e32 v5, 16, v5
	v_cmp_ge_i64_e32 vcc, s[28:29], v[10:11]
	v_cndmask_b32_e32 v5, 0, v5, vcc
	v_perm_b32 v11, v5, v6, s61
	v_perm_b32 v9, v9, v8, s61
	s_andn2_saveexec_b64 s[0:1], s[0:1]
	s_cbranch_execz .LBB17_43
.LBB17_53:                              ;   in Loop: Header=BB17_3 Depth=1
	v_mov_b32_e32 v11, 0
	v_mov_b32_e32 v9, 0
	s_or_b64 exec, exec, s[0:1]
	v_cmp_gt_i32_e32 vcc, s13, v3
	s_and_saveexec_b64 s[0:1], vcc
	s_cbranch_execz .LBB17_2
.LBB17_54:                              ;   in Loop: Header=BB17_3 Depth=1
	v_ashrrev_i32_e32 v5, 31, v4
	v_lshlrev_b64 v[6:7], 1, v[4:5]
	v_mov_b32_e32 v5, s5
	v_add_co_u32_e32 v6, vcc, s4, v6
	v_addc_co_u32_e32 v7, vcc, v5, v7, vcc
	v_add_u32_e32 v5, 1, v3
	v_cmp_gt_i32_e32 vcc, s13, v5
	global_store_short v[6:7], v11, off
	s_and_saveexec_b64 s[2:3], vcc
	s_xor_b64 s[2:3], exec, s[2:3]
	s_cbranch_execz .LBB17_2
; %bb.55:                               ;   in Loop: Header=BB17_3 Depth=1
	s_lshl_b64 s[2:3], s[38:39], 1
	v_mov_b32_e32 v5, s3
	v_add_co_u32_e32 v6, vcc, s2, v6
	v_addc_co_u32_e32 v7, vcc, v7, v5, vcc
	v_add_u32_e32 v5, 2, v3
	v_cmp_gt_i32_e32 vcc, s13, v5
	global_store_short_d16_hi v[6:7], v11, off
	s_and_saveexec_b64 s[2:3], vcc
	s_xor_b64 s[2:3], exec, s[2:3]
	s_cbranch_execz .LBB17_2
; %bb.56:                               ;   in Loop: Header=BB17_3 Depth=1
	s_add_i32 s2, s38, s38
	v_add_u32_e32 v4, s2, v4
	v_ashrrev_i32_e32 v5, 31, v4
	v_lshlrev_b64 v[6:7], 1, v[4:5]
	v_mov_b32_e32 v5, s5
	v_add_co_u32_e32 v6, vcc, s4, v6
	v_addc_co_u32_e32 v7, vcc, v5, v7, vcc
	v_add_u32_e32 v3, 3, v3
	v_cmp_gt_i32_e32 vcc, s13, v3
	global_store_short v[6:7], v9, off
	s_and_saveexec_b64 s[2:3], vcc
	s_xor_b64 s[2:3], exec, s[2:3]
	s_cbranch_execz .LBB17_2
; %bb.57:                               ;   in Loop: Header=BB17_3 Depth=1
	v_add_u32_e32 v4, s38, v4
	v_ashrrev_i32_e32 v5, 31, v4
	v_lshlrev_b64 v[4:5], 1, v[4:5]
	v_mov_b32_e32 v3, s5
	v_add_co_u32_e32 v4, vcc, s4, v4
	v_addc_co_u32_e32 v5, vcc, v3, v5, vcc
	global_store_short_d16_hi v[4:5], v9, off
	s_branch .LBB17_2
.LBB17_58:
	s_endpgm
	.section	.rodata,"a",@progbits
	.p2align	6, 0x0
	.amdhsa_kernel _ZN2at6native16triu_tril_kernelIsiLb0ELi4ELb0EEEvNS_4cuda6detail10TensorInfoIT_T0_EENS4_IKS5_S6_EEllS6_
		.amdhsa_group_segment_fixed_size 0
		.amdhsa_private_segment_fixed_size 0
		.amdhsa_kernarg_size 712
		.amdhsa_user_sgpr_count 6
		.amdhsa_user_sgpr_private_segment_buffer 1
		.amdhsa_user_sgpr_dispatch_ptr 0
		.amdhsa_user_sgpr_queue_ptr 0
		.amdhsa_user_sgpr_kernarg_segment_ptr 1
		.amdhsa_user_sgpr_dispatch_id 0
		.amdhsa_user_sgpr_flat_scratch_init 0
		.amdhsa_user_sgpr_kernarg_preload_length 0
		.amdhsa_user_sgpr_kernarg_preload_offset 0
		.amdhsa_user_sgpr_private_segment_size 0
		.amdhsa_uses_dynamic_stack 0
		.amdhsa_system_sgpr_private_segment_wavefront_offset 0
		.amdhsa_system_sgpr_workgroup_id_x 1
		.amdhsa_system_sgpr_workgroup_id_y 0
		.amdhsa_system_sgpr_workgroup_id_z 0
		.amdhsa_system_sgpr_workgroup_info 0
		.amdhsa_system_vgpr_workitem_id 0
		.amdhsa_next_free_vgpr 26
		.amdhsa_next_free_sgpr 72
		.amdhsa_accum_offset 28
		.amdhsa_reserve_vcc 1
		.amdhsa_reserve_flat_scratch 0
		.amdhsa_float_round_mode_32 0
		.amdhsa_float_round_mode_16_64 0
		.amdhsa_float_denorm_mode_32 3
		.amdhsa_float_denorm_mode_16_64 3
		.amdhsa_dx10_clamp 1
		.amdhsa_ieee_mode 1
		.amdhsa_fp16_overflow 0
		.amdhsa_tg_split 0
		.amdhsa_exception_fp_ieee_invalid_op 0
		.amdhsa_exception_fp_denorm_src 0
		.amdhsa_exception_fp_ieee_div_zero 0
		.amdhsa_exception_fp_ieee_overflow 0
		.amdhsa_exception_fp_ieee_underflow 0
		.amdhsa_exception_fp_ieee_inexact 0
		.amdhsa_exception_int_div_zero 0
	.end_amdhsa_kernel
	.section	.text._ZN2at6native16triu_tril_kernelIsiLb0ELi4ELb0EEEvNS_4cuda6detail10TensorInfoIT_T0_EENS4_IKS5_S6_EEllS6_,"axG",@progbits,_ZN2at6native16triu_tril_kernelIsiLb0ELi4ELb0EEEvNS_4cuda6detail10TensorInfoIT_T0_EENS4_IKS5_S6_EEllS6_,comdat
.Lfunc_end17:
	.size	_ZN2at6native16triu_tril_kernelIsiLb0ELi4ELb0EEEvNS_4cuda6detail10TensorInfoIT_T0_EENS4_IKS5_S6_EEllS6_, .Lfunc_end17-_ZN2at6native16triu_tril_kernelIsiLb0ELi4ELb0EEEvNS_4cuda6detail10TensorInfoIT_T0_EENS4_IKS5_S6_EEllS6_
                                        ; -- End function
	.section	.AMDGPU.csdata,"",@progbits
; Kernel info:
; codeLenInByte = 8028
; NumSgprs: 76
; NumVgprs: 26
; NumAgprs: 0
; TotalNumVgprs: 26
; ScratchSize: 0
; MemoryBound: 0
; FloatMode: 240
; IeeeMode: 1
; LDSByteSize: 0 bytes/workgroup (compile time only)
; SGPRBlocks: 9
; VGPRBlocks: 3
; NumSGPRsForWavesPerEU: 76
; NumVGPRsForWavesPerEU: 26
; AccumOffset: 28
; Occupancy: 8
; WaveLimiterHint : 0
; COMPUTE_PGM_RSRC2:SCRATCH_EN: 0
; COMPUTE_PGM_RSRC2:USER_SGPR: 6
; COMPUTE_PGM_RSRC2:TRAP_HANDLER: 0
; COMPUTE_PGM_RSRC2:TGID_X_EN: 1
; COMPUTE_PGM_RSRC2:TGID_Y_EN: 0
; COMPUTE_PGM_RSRC2:TGID_Z_EN: 0
; COMPUTE_PGM_RSRC2:TIDIG_COMP_CNT: 0
; COMPUTE_PGM_RSRC3_GFX90A:ACCUM_OFFSET: 6
; COMPUTE_PGM_RSRC3_GFX90A:TG_SPLIT: 0
	.section	.text._ZN2at6native16triu_tril_kernelIslLb0ELi4ELb1EEEvNS_4cuda6detail10TensorInfoIT_T0_EENS4_IKS5_S6_EEllS6_,"axG",@progbits,_ZN2at6native16triu_tril_kernelIslLb0ELi4ELb1EEEvNS_4cuda6detail10TensorInfoIT_T0_EENS4_IKS5_S6_EEllS6_,comdat
	.protected	_ZN2at6native16triu_tril_kernelIslLb0ELi4ELb1EEEvNS_4cuda6detail10TensorInfoIT_T0_EENS4_IKS5_S6_EEllS6_ ; -- Begin function _ZN2at6native16triu_tril_kernelIslLb0ELi4ELb1EEEvNS_4cuda6detail10TensorInfoIT_T0_EENS4_IKS5_S6_EEllS6_
	.globl	_ZN2at6native16triu_tril_kernelIslLb0ELi4ELb1EEEvNS_4cuda6detail10TensorInfoIT_T0_EENS4_IKS5_S6_EEllS6_
	.p2align	8
	.type	_ZN2at6native16triu_tril_kernelIslLb0ELi4ELb1EEEvNS_4cuda6detail10TensorInfoIT_T0_EENS4_IKS5_S6_EEllS6_,@function
_ZN2at6native16triu_tril_kernelIslLb0ELi4ELb1EEEvNS_4cuda6detail10TensorInfoIT_T0_EENS4_IKS5_S6_EEllS6_: ; @_ZN2at6native16triu_tril_kernelIslLb0ELi4ELb1EEEvNS_4cuda6detail10TensorInfoIT_T0_EENS4_IKS5_S6_EEllS6_
; %bb.0:
	s_load_dword s2, s[4:5], 0x364
	s_load_dwordx4 s[8:11], s[4:5], 0x340
	s_add_u32 s0, s4, 0x358
	v_mov_b32_e32 v2, 0
	s_addc_u32 s1, s5, 0
	s_waitcnt lgkmcnt(0)
	s_and_b32 s12, s2, 0xffff
	v_mov_b32_e32 v1, v2
	v_mov_b32_e32 v3, s6
	v_mad_u64_u32 v[0:1], s[2:3], s12, v3, v[0:1]
	v_lshlrev_b64 v[0:1], 2, v[0:1]
	v_cmp_gt_i64_e32 vcc, s[10:11], v[0:1]
	s_and_saveexec_b64 s[2:3], vcc
	s_cbranch_execz .LBB18_29
; %bb.1:
	s_load_dword s13, s[0:1], 0x0
	s_load_dword s18, s[4:5], 0x338
	s_load_dwordx2 s[2:3], s[4:5], 0x350
	s_load_dwordx2 s[6:7], s[4:5], 0x0
	s_mov_b32 s48, 0
	s_waitcnt lgkmcnt(0)
	s_mul_i32 s20, s13, s12
	s_ashr_i32 s19, s18, 31
	s_add_u32 s24, s4, 0x1a8
	s_addc_u32 s25, s5, 0
	s_lshl_b64 s[0:1], s[18:19], 3
	s_add_u32 s16, s0, -16
	s_addc_u32 s17, s1, -1
	s_add_u32 s14, s24, s16
	s_addc_u32 s15, s25, s17
	v_cmp_gt_i64_e64 s[12:13], s[18:19], 2
	s_add_u32 s19, s0, -8
	s_addc_u32 s21, s1, -1
	s_add_u32 s26, s4, 0xd0
	s_addc_u32 s27, s5, 0
	s_add_u32 s4, s26, s19
	v_cvt_f32_u32_e32 v3, s2
	s_addc_u32 s5, s27, s21
	s_add_u32 s16, s26, s16
	s_addc_u32 s17, s27, s17
	s_add_i32 s0, s18, -3
	s_ashr_i32 s1, s0, 31
	v_rcp_iflag_f32_e32 v3, v3
	s_add_u32 s18, s24, s19
	s_addc_u32 s19, s25, s21
	s_lshl_b32 s33, s20, 2
	s_lshl_b64 s[22:23], s[0:1], 3
	s_add_u32 s20, s26, s22
	s_load_dwordx2 s[14:15], s[14:15], 0x0
	s_addc_u32 s21, s27, s23
	v_mul_f32_e32 v3, 0x4f7ffffe, v3
	s_add_u32 s22, s24, s22
	v_cvt_u32_f32_e32 v14, v3
	s_addc_u32 s23, s25, s23
	s_add_u32 s24, s0, 1
	s_addc_u32 s25, s1, 0
	s_mov_b64 s[26:27], 0
	s_branch .LBB18_3
.LBB18_2:                               ;   in Loop: Header=BB18_3 Depth=1
	s_or_b64 exec, exec, s[28:29]
	v_mov_b32_e32 v3, s48
	v_add_co_u32_e32 v0, vcc, s33, v0
	v_addc_co_u32_e32 v1, vcc, v1, v3, vcc
	v_cmp_le_i64_e32 vcc, s[10:11], v[0:1]
	s_or_b64 s[26:27], vcc, s[26:27]
	s_andn2_b64 exec, exec, s[26:27]
	s_cbranch_execz .LBB18_29
.LBB18_3:                               ; =>This Loop Header: Depth=1
                                        ;     Child Loop BB18_25 Depth 2
	v_or_b32_e32 v3, s3, v1
	v_cmp_ne_u64_e32 vcc, 0, v[2:3]
                                        ; implicit-def: $vgpr6_vgpr7
	s_and_saveexec_b64 s[0:1], vcc
	s_xor_b64 s[28:29], exec, s[0:1]
	s_cbranch_execz .LBB18_5
; %bb.4:                                ;   in Loop: Header=BB18_3 Depth=1
	s_ashr_i32 s30, s3, 31
	s_add_u32 s0, s2, s30
	s_mov_b32 s31, s30
	s_addc_u32 s1, s3, s30
	s_xor_b64 s[34:35], s[0:1], s[30:31]
	v_cvt_f32_u32_e32 v3, s34
	v_cvt_f32_u32_e32 v4, s35
	s_sub_u32 s0, 0, s34
	s_subb_u32 s1, 0, s35
	v_mac_f32_e32 v3, 0x4f800000, v4
	v_rcp_f32_e32 v3, v3
	v_mul_f32_e32 v3, 0x5f7ffffc, v3
	v_mul_f32_e32 v4, 0x2f800000, v3
	v_trunc_f32_e32 v4, v4
	v_mac_f32_e32 v3, 0xcf800000, v4
	v_cvt_u32_f32_e32 v4, v4
	v_cvt_u32_f32_e32 v3, v3
	v_mul_lo_u32 v5, s0, v4
	v_mul_hi_u32 v7, s0, v3
	v_mul_lo_u32 v6, s1, v3
	v_add_u32_e32 v5, v7, v5
	v_mul_lo_u32 v8, s0, v3
	v_add_u32_e32 v5, v5, v6
	v_mul_lo_u32 v7, v3, v5
	v_mul_hi_u32 v9, v3, v8
	v_mul_hi_u32 v6, v3, v5
	v_add_co_u32_e32 v7, vcc, v9, v7
	v_addc_co_u32_e32 v6, vcc, 0, v6, vcc
	v_mul_hi_u32 v10, v4, v8
	v_mul_lo_u32 v8, v4, v8
	v_add_co_u32_e32 v7, vcc, v7, v8
	v_mul_hi_u32 v9, v4, v5
	v_addc_co_u32_e32 v6, vcc, v6, v10, vcc
	v_addc_co_u32_e32 v7, vcc, 0, v9, vcc
	v_mul_lo_u32 v5, v4, v5
	v_add_co_u32_e32 v5, vcc, v6, v5
	v_addc_co_u32_e32 v6, vcc, 0, v7, vcc
	v_add_co_u32_e32 v3, vcc, v3, v5
	v_addc_co_u32_e32 v4, vcc, v4, v6, vcc
	v_mul_lo_u32 v5, s0, v4
	v_mul_hi_u32 v6, s0, v3
	v_add_u32_e32 v5, v6, v5
	v_mul_lo_u32 v6, s1, v3
	v_add_u32_e32 v5, v5, v6
	v_mul_lo_u32 v7, s0, v3
	v_mul_hi_u32 v8, v4, v7
	v_mul_lo_u32 v9, v4, v7
	v_mul_lo_u32 v11, v3, v5
	v_mul_hi_u32 v7, v3, v7
	v_mul_hi_u32 v10, v3, v5
	v_add_co_u32_e32 v7, vcc, v7, v11
	v_addc_co_u32_e32 v10, vcc, 0, v10, vcc
	v_add_co_u32_e32 v7, vcc, v7, v9
	v_mul_hi_u32 v6, v4, v5
	v_addc_co_u32_e32 v7, vcc, v10, v8, vcc
	v_addc_co_u32_e32 v6, vcc, 0, v6, vcc
	v_mul_lo_u32 v5, v4, v5
	v_add_co_u32_e32 v5, vcc, v7, v5
	v_addc_co_u32_e32 v6, vcc, 0, v6, vcc
	v_add_co_u32_e32 v3, vcc, v3, v5
	v_addc_co_u32_e32 v6, vcc, v4, v6, vcc
	v_ashrrev_i32_e32 v8, 31, v1
	v_add_co_u32_e32 v4, vcc, v0, v8
	v_addc_co_u32_e32 v5, vcc, v1, v8, vcc
	v_xor_b32_e32 v10, v4, v8
	v_xor_b32_e32 v9, v5, v8
	v_mad_u64_u32 v[4:5], s[0:1], v10, v6, 0
	v_mul_hi_u32 v7, v10, v3
	v_add_co_u32_e32 v11, vcc, v7, v4
	v_addc_co_u32_e32 v12, vcc, 0, v5, vcc
	v_mad_u64_u32 v[4:5], s[0:1], v9, v6, 0
	v_mad_u64_u32 v[6:7], s[0:1], v9, v3, 0
	v_add_co_u32_e32 v3, vcc, v11, v6
	v_addc_co_u32_e32 v3, vcc, v12, v7, vcc
	v_addc_co_u32_e32 v5, vcc, 0, v5, vcc
	v_add_co_u32_e32 v3, vcc, v3, v4
	v_addc_co_u32_e32 v6, vcc, 0, v5, vcc
	v_mul_lo_u32 v7, s35, v3
	v_mul_lo_u32 v11, s34, v6
	v_mad_u64_u32 v[4:5], s[0:1], s34, v3, 0
	v_add3_u32 v5, v5, v11, v7
	v_sub_u32_e32 v7, v9, v5
	v_mov_b32_e32 v11, s35
	v_sub_co_u32_e32 v4, vcc, v10, v4
	v_subb_co_u32_e64 v7, s[0:1], v7, v11, vcc
	v_subrev_co_u32_e64 v10, s[0:1], s34, v4
	v_subbrev_co_u32_e64 v7, s[0:1], 0, v7, s[0:1]
	v_cmp_le_u32_e64 s[0:1], s35, v7
	v_cndmask_b32_e64 v11, 0, -1, s[0:1]
	v_cmp_le_u32_e64 s[0:1], s34, v10
	v_cndmask_b32_e64 v10, 0, -1, s[0:1]
	v_cmp_eq_u32_e64 s[0:1], s35, v7
	v_cndmask_b32_e64 v7, v11, v10, s[0:1]
	v_add_co_u32_e64 v10, s[0:1], 2, v3
	v_subb_co_u32_e32 v5, vcc, v9, v5, vcc
	v_addc_co_u32_e64 v11, s[0:1], 0, v6, s[0:1]
	v_cmp_le_u32_e32 vcc, s35, v5
	v_add_co_u32_e64 v12, s[0:1], 1, v3
	v_cndmask_b32_e64 v9, 0, -1, vcc
	v_cmp_le_u32_e32 vcc, s34, v4
	v_addc_co_u32_e64 v13, s[0:1], 0, v6, s[0:1]
	v_cndmask_b32_e64 v4, 0, -1, vcc
	v_cmp_eq_u32_e32 vcc, s35, v5
	v_cmp_ne_u32_e64 s[0:1], 0, v7
	v_cndmask_b32_e32 v4, v9, v4, vcc
	v_cmp_ne_u32_e32 vcc, 0, v4
	v_cndmask_b32_e64 v5, v12, v10, s[0:1]
	v_cndmask_b32_e64 v7, v13, v11, s[0:1]
	v_cndmask_b32_e32 v3, v3, v5, vcc
	v_xor_b32_e32 v5, s30, v8
	v_cndmask_b32_e32 v4, v6, v7, vcc
	v_xor_b32_e32 v3, v3, v5
	v_xor_b32_e32 v4, v4, v5
	v_sub_co_u32_e32 v6, vcc, v3, v5
	v_subb_co_u32_e32 v7, vcc, v4, v5, vcc
.LBB18_5:                               ;   in Loop: Header=BB18_3 Depth=1
	s_andn2_saveexec_b64 s[0:1], s[28:29]
	s_cbranch_execz .LBB18_7
; %bb.6:                                ;   in Loop: Header=BB18_3 Depth=1
	s_sub_i32 s28, 0, s2
	v_mul_lo_u32 v3, s28, v14
	v_mul_hi_u32 v3, v14, v3
	v_add_u32_e32 v3, v14, v3
	v_mul_hi_u32 v3, v0, v3
	v_mul_lo_u32 v4, v3, s2
	v_sub_u32_e32 v4, v0, v4
	v_subrev_u32_e32 v5, s2, v4
	v_cmp_le_u32_e32 vcc, s2, v4
	v_cndmask_b32_e32 v4, v4, v5, vcc
	v_add_u32_e32 v5, 1, v3
	v_cndmask_b32_e32 v3, v3, v5, vcc
	v_add_u32_e32 v5, 1, v3
	v_cmp_le_u32_e32 vcc, s2, v4
	v_cndmask_b32_e32 v6, v3, v5, vcc
	v_mov_b32_e32 v7, v2
.LBB18_7:                               ;   in Loop: Header=BB18_3 Depth=1
	s_or_b64 exec, exec, s[0:1]
	s_waitcnt lgkmcnt(0)
	v_or_b32_e32 v3, s15, v7
	v_cmp_ne_u64_e32 vcc, 0, v[2:3]
                                        ; implicit-def: $vgpr8_vgpr9
	s_and_saveexec_b64 s[0:1], vcc
	s_xor_b64 s[28:29], exec, s[0:1]
	s_cbranch_execz .LBB18_9
; %bb.8:                                ;   in Loop: Header=BB18_3 Depth=1
	s_ashr_i32 s30, s15, 31
	s_add_u32 s0, s14, s30
	s_mov_b32 s31, s30
	s_addc_u32 s1, s15, s30
	s_xor_b64 s[34:35], s[0:1], s[30:31]
	v_cvt_f32_u32_e32 v3, s34
	v_cvt_f32_u32_e32 v4, s35
	s_sub_u32 s0, 0, s34
	s_subb_u32 s1, 0, s35
	v_mac_f32_e32 v3, 0x4f800000, v4
	v_rcp_f32_e32 v3, v3
	v_mul_f32_e32 v3, 0x5f7ffffc, v3
	v_mul_f32_e32 v4, 0x2f800000, v3
	v_trunc_f32_e32 v4, v4
	v_mac_f32_e32 v3, 0xcf800000, v4
	v_cvt_u32_f32_e32 v4, v4
	v_cvt_u32_f32_e32 v3, v3
	v_mul_lo_u32 v5, s0, v4
	v_mul_hi_u32 v9, s0, v3
	v_mul_lo_u32 v8, s1, v3
	v_add_u32_e32 v5, v9, v5
	v_mul_lo_u32 v10, s0, v3
	v_add_u32_e32 v5, v5, v8
	v_mul_lo_u32 v9, v3, v5
	v_mul_hi_u32 v11, v3, v10
	v_mul_hi_u32 v8, v3, v5
	v_add_co_u32_e32 v9, vcc, v11, v9
	v_addc_co_u32_e32 v8, vcc, 0, v8, vcc
	v_mul_hi_u32 v12, v4, v10
	v_mul_lo_u32 v10, v4, v10
	v_add_co_u32_e32 v9, vcc, v9, v10
	v_mul_hi_u32 v11, v4, v5
	v_addc_co_u32_e32 v8, vcc, v8, v12, vcc
	v_addc_co_u32_e32 v9, vcc, 0, v11, vcc
	v_mul_lo_u32 v5, v4, v5
	v_add_co_u32_e32 v5, vcc, v8, v5
	v_addc_co_u32_e32 v8, vcc, 0, v9, vcc
	v_add_co_u32_e32 v3, vcc, v3, v5
	v_addc_co_u32_e32 v4, vcc, v4, v8, vcc
	v_mul_lo_u32 v5, s0, v4
	v_mul_hi_u32 v8, s0, v3
	v_add_u32_e32 v5, v8, v5
	v_mul_lo_u32 v8, s1, v3
	v_add_u32_e32 v5, v5, v8
	v_mul_lo_u32 v9, s0, v3
	v_mul_hi_u32 v10, v4, v9
	v_mul_lo_u32 v11, v4, v9
	v_mul_lo_u32 v13, v3, v5
	v_mul_hi_u32 v9, v3, v9
	v_mul_hi_u32 v12, v3, v5
	v_add_co_u32_e32 v9, vcc, v9, v13
	v_addc_co_u32_e32 v12, vcc, 0, v12, vcc
	v_add_co_u32_e32 v9, vcc, v9, v11
	v_mul_hi_u32 v8, v4, v5
	v_addc_co_u32_e32 v9, vcc, v12, v10, vcc
	v_addc_co_u32_e32 v8, vcc, 0, v8, vcc
	v_mul_lo_u32 v5, v4, v5
	v_add_co_u32_e32 v5, vcc, v9, v5
	v_addc_co_u32_e32 v8, vcc, 0, v8, vcc
	v_add_co_u32_e32 v3, vcc, v3, v5
	v_addc_co_u32_e32 v8, vcc, v4, v8, vcc
	v_ashrrev_i32_e32 v10, 31, v7
	v_add_co_u32_e32 v4, vcc, v6, v10
	v_addc_co_u32_e32 v5, vcc, v7, v10, vcc
	v_xor_b32_e32 v12, v4, v10
	v_xor_b32_e32 v11, v5, v10
	v_mad_u64_u32 v[4:5], s[0:1], v12, v8, 0
	v_mul_hi_u32 v9, v12, v3
	v_add_co_u32_e32 v13, vcc, v9, v4
	v_addc_co_u32_e32 v15, vcc, 0, v5, vcc
	v_mad_u64_u32 v[4:5], s[0:1], v11, v8, 0
	v_mad_u64_u32 v[8:9], s[0:1], v11, v3, 0
	v_add_co_u32_e32 v3, vcc, v13, v8
	v_addc_co_u32_e32 v3, vcc, v15, v9, vcc
	v_addc_co_u32_e32 v5, vcc, 0, v5, vcc
	v_add_co_u32_e32 v3, vcc, v3, v4
	v_addc_co_u32_e32 v8, vcc, 0, v5, vcc
	v_mul_lo_u32 v9, s35, v3
	v_mul_lo_u32 v13, s34, v8
	v_mad_u64_u32 v[4:5], s[0:1], s34, v3, 0
	v_add3_u32 v5, v5, v13, v9
	v_sub_u32_e32 v9, v11, v5
	v_mov_b32_e32 v13, s35
	v_sub_co_u32_e32 v4, vcc, v12, v4
	v_subb_co_u32_e64 v9, s[0:1], v9, v13, vcc
	v_subrev_co_u32_e64 v12, s[0:1], s34, v4
	v_subbrev_co_u32_e64 v9, s[0:1], 0, v9, s[0:1]
	v_cmp_le_u32_e64 s[0:1], s35, v9
	v_cndmask_b32_e64 v13, 0, -1, s[0:1]
	v_cmp_le_u32_e64 s[0:1], s34, v12
	v_cndmask_b32_e64 v12, 0, -1, s[0:1]
	v_cmp_eq_u32_e64 s[0:1], s35, v9
	v_cndmask_b32_e64 v9, v13, v12, s[0:1]
	v_add_co_u32_e64 v12, s[0:1], 2, v3
	v_subb_co_u32_e32 v5, vcc, v11, v5, vcc
	v_addc_co_u32_e64 v13, s[0:1], 0, v8, s[0:1]
	v_cmp_le_u32_e32 vcc, s35, v5
	v_add_co_u32_e64 v15, s[0:1], 1, v3
	v_cndmask_b32_e64 v11, 0, -1, vcc
	v_cmp_le_u32_e32 vcc, s34, v4
	v_addc_co_u32_e64 v16, s[0:1], 0, v8, s[0:1]
	v_cndmask_b32_e64 v4, 0, -1, vcc
	v_cmp_eq_u32_e32 vcc, s35, v5
	v_cmp_ne_u32_e64 s[0:1], 0, v9
	v_cndmask_b32_e32 v4, v11, v4, vcc
	v_cmp_ne_u32_e32 vcc, 0, v4
	v_cndmask_b32_e64 v5, v15, v12, s[0:1]
	v_cndmask_b32_e64 v9, v16, v13, s[0:1]
	v_cndmask_b32_e32 v3, v3, v5, vcc
	v_xor_b32_e32 v5, s30, v10
	v_cndmask_b32_e32 v4, v8, v9, vcc
	v_xor_b32_e32 v3, v3, v5
	v_xor_b32_e32 v4, v4, v5
	v_sub_co_u32_e32 v8, vcc, v3, v5
	v_subb_co_u32_e32 v9, vcc, v4, v5, vcc
.LBB18_9:                               ;   in Loop: Header=BB18_3 Depth=1
	s_andn2_saveexec_b64 s[0:1], s[28:29]
	s_cbranch_execz .LBB18_11
; %bb.10:                               ;   in Loop: Header=BB18_3 Depth=1
	v_cvt_f32_u32_e32 v3, s14
	s_sub_i32 s28, 0, s14
	v_mov_b32_e32 v9, v2
	v_rcp_iflag_f32_e32 v3, v3
	v_mul_f32_e32 v3, 0x4f7ffffe, v3
	v_cvt_u32_f32_e32 v3, v3
	v_mul_lo_u32 v4, s28, v3
	v_mul_hi_u32 v4, v3, v4
	v_add_u32_e32 v3, v3, v4
	v_mul_hi_u32 v3, v6, v3
	v_mul_lo_u32 v4, v3, s14
	v_sub_u32_e32 v4, v6, v4
	v_add_u32_e32 v5, 1, v3
	v_subrev_u32_e32 v8, s14, v4
	v_cmp_le_u32_e32 vcc, s14, v4
	v_cndmask_b32_e32 v4, v4, v8, vcc
	v_cndmask_b32_e32 v3, v3, v5, vcc
	v_add_u32_e32 v5, 1, v3
	v_cmp_le_u32_e32 vcc, s14, v4
	v_cndmask_b32_e32 v8, v3, v5, vcc
.LBB18_11:                              ;   in Loop: Header=BB18_3 Depth=1
	s_or_b64 exec, exec, s[0:1]
	v_mul_lo_u32 v3, v7, s2
	v_mul_lo_u32 v10, v6, s3
	v_mad_u64_u32 v[4:5], s[0:1], v6, s2, 0
	v_add3_u32 v3, v5, v10, v3
	v_sub_co_u32_e32 v4, vcc, v0, v4
	v_subb_co_u32_e32 v5, vcc, v1, v3, vcc
	v_mul_lo_u32 v3, v9, s14
	v_mul_lo_u32 v12, v8, s15
	v_mad_u64_u32 v[10:11], s[0:1], v8, s14, 0
	v_add3_u32 v3, v11, v12, v3
	v_sub_co_u32_e32 v15, vcc, v6, v10
	v_subb_co_u32_e32 v16, vcc, v7, v3, vcc
	v_sub_co_u32_e32 v6, vcc, v4, v15
	v_subb_co_u32_e32 v7, vcc, v5, v16, vcc
	v_add_co_u32_e32 v10, vcc, 4, v6
	v_addc_co_u32_e32 v11, vcc, 0, v7, vcc
	v_cmp_lt_i64_e32 vcc, s[8:9], v[10:11]
	s_and_saveexec_b64 s[28:29], vcc
	s_cbranch_execz .LBB18_2
; %bb.12:                               ;   in Loop: Header=BB18_3 Depth=1
	s_load_dwordx2 s[30:31], s[4:5], 0x0
	s_load_dwordx2 s[0:1], s[16:17], 0x0
	s_and_b64 vcc, exec, s[12:13]
	s_mov_b64 s[36:37], s[22:23]
	s_mov_b64 s[38:39], s[20:21]
	s_waitcnt lgkmcnt(0)
	v_mul_lo_u32 v3, s31, v4
	v_mul_lo_u32 v12, s30, v5
	v_mad_u64_u32 v[10:11], s[34:35], s30, v4, 0
	v_add3_u32 v11, v11, v12, v3
	v_mad_u64_u32 v[10:11], s[34:35], s0, v15, v[10:11]
	v_mul_lo_u32 v3, s0, v16
	v_mul_lo_u32 v12, s1, v15
	v_add3_u32 v11, v12, v11, v3
	s_mov_b64 s[34:35], s[24:25]
	s_cbranch_vccnz .LBB18_25
.LBB18_13:                              ;   in Loop: Header=BB18_3 Depth=1
	s_load_dwordx2 s[0:1], s[18:19], 0x0
	s_waitcnt lgkmcnt(0)
	v_cmp_gt_i64_e32 vcc, s[0:1], v[4:5]
	s_and_b64 exec, exec, vcc
	s_cbranch_execz .LBB18_2
; %bb.14:                               ;   in Loop: Header=BB18_3 Depth=1
	v_lshlrev_b64 v[8:9], 1, v[10:11]
	v_mov_b32_e32 v3, s7
	v_add_co_u32_e32 v8, vcc, s6, v8
	v_addc_co_u32_e32 v9, vcc, v3, v9, vcc
	v_cmp_lt_i64_e32 vcc, s[8:9], v[6:7]
	s_and_saveexec_b64 s[34:35], vcc
	s_cbranch_execz .LBB18_16
; %bb.15:                               ;   in Loop: Header=BB18_3 Depth=1
	global_store_short v[8:9], v2, off
.LBB18_16:                              ;   in Loop: Header=BB18_3 Depth=1
	s_or_b64 exec, exec, s[34:35]
	v_add_co_u32_e32 v6, vcc, 1, v4
	v_addc_co_u32_e32 v7, vcc, 0, v5, vcc
	v_cmp_gt_i64_e32 vcc, s[0:1], v[6:7]
	s_and_b64 exec, exec, vcc
	s_cbranch_execz .LBB18_2
; %bb.17:                               ;   in Loop: Header=BB18_3 Depth=1
	v_sub_co_u32_e32 v6, vcc, v6, v15
	v_subb_co_u32_e32 v7, vcc, v7, v16, vcc
	v_cmp_lt_i64_e32 vcc, s[8:9], v[6:7]
	s_and_saveexec_b64 s[34:35], vcc
	s_cbranch_execz .LBB18_19
; %bb.18:                               ;   in Loop: Header=BB18_3 Depth=1
	s_lshl_b64 s[36:37], s[30:31], 1
	v_mov_b32_e32 v3, s37
	v_add_co_u32_e32 v6, vcc, s36, v8
	v_addc_co_u32_e32 v7, vcc, v9, v3, vcc
	global_store_short v[6:7], v2, off
.LBB18_19:                              ;   in Loop: Header=BB18_3 Depth=1
	s_or_b64 exec, exec, s[34:35]
	v_add_co_u32_e32 v6, vcc, 2, v4
	v_addc_co_u32_e32 v7, vcc, 0, v5, vcc
	v_cmp_gt_i64_e32 vcc, s[0:1], v[6:7]
	s_and_b64 exec, exec, vcc
	s_cbranch_execz .LBB18_2
; %bb.20:                               ;   in Loop: Header=BB18_3 Depth=1
	v_sub_co_u32_e32 v6, vcc, v6, v15
	v_subb_co_u32_e32 v7, vcc, v7, v16, vcc
	v_cmp_lt_i64_e32 vcc, s[8:9], v[6:7]
	s_and_saveexec_b64 s[34:35], vcc
	s_cbranch_execz .LBB18_22
; %bb.21:                               ;   in Loop: Header=BB18_3 Depth=1
	s_lshl_b64 s[36:37], s[30:31], 2
	v_mov_b32_e32 v3, s37
	v_add_co_u32_e32 v6, vcc, s36, v8
	v_addc_co_u32_e32 v7, vcc, v9, v3, vcc
	global_store_short v[6:7], v2, off
.LBB18_22:                              ;   in Loop: Header=BB18_3 Depth=1
	s_or_b64 exec, exec, s[34:35]
	v_add_co_u32_e32 v4, vcc, 3, v4
	v_addc_co_u32_e32 v5, vcc, 0, v5, vcc
	v_cmp_gt_i64_e32 vcc, s[0:1], v[4:5]
	v_sub_co_u32_e64 v4, s[0:1], v4, v15
	v_subb_co_u32_e64 v5, s[0:1], v5, v16, s[0:1]
	v_cmp_lt_i64_e64 s[0:1], s[8:9], v[4:5]
	s_and_b64 s[0:1], vcc, s[0:1]
	s_and_b64 exec, exec, s[0:1]
	s_cbranch_execz .LBB18_2
; %bb.23:                               ;   in Loop: Header=BB18_3 Depth=1
	v_mad_u64_u32 v[4:5], s[0:1], s30, 6, v[8:9]
	v_mov_b32_e32 v6, v5
	v_mad_u64_u32 v[6:7], s[0:1], s31, 6, v[6:7]
	v_mov_b32_e32 v5, v6
	global_store_short v[4:5], v2, off
	s_branch .LBB18_2
.LBB18_24:                              ;   in Loop: Header=BB18_25 Depth=2
	s_or_b64 exec, exec, s[0:1]
	v_mad_u64_u32 v[18:19], s[0:1], v12, s40, 0
	s_load_dwordx2 s[0:1], s[38:39], 0x0
	s_add_u32 s38, s38, -8
	s_addc_u32 s39, s39, -1
	v_mul_lo_u32 v3, v13, s40
	v_mul_lo_u32 v17, v12, s41
	s_add_u32 s36, s36, -8
	v_add3_u32 v3, v19, v17, v3
	v_sub_co_u32_e32 v8, vcc, v8, v18
	s_addc_u32 s37, s37, -1
	v_subb_co_u32_e32 v3, vcc, v9, v3, vcc
	s_add_u32 s34, s34, -1
	s_waitcnt lgkmcnt(0)
	v_mul_lo_u32 v3, s0, v3
	v_mul_lo_u32 v9, s1, v8
	v_mad_u64_u32 v[10:11], s[0:1], s0, v8, v[10:11]
	s_addc_u32 s35, s35, -1
	v_cmp_lt_i64_e64 s[0:1], s[34:35], 1
	v_add3_u32 v11, v9, v11, v3
	s_and_b64 vcc, exec, s[0:1]
	v_pk_mov_b32 v[8:9], v[12:13], v[12:13] op_sel:[0,1]
	s_cbranch_vccnz .LBB18_13
.LBB18_25:                              ;   Parent Loop BB18_3 Depth=1
                                        ; =>  This Inner Loop Header: Depth=2
	s_load_dwordx2 s[40:41], s[36:37], 0x0
                                        ; implicit-def: $vgpr12_vgpr13
	s_waitcnt lgkmcnt(0)
	v_or_b32_e32 v3, s41, v9
	v_cmp_ne_u64_e32 vcc, 0, v[2:3]
	s_and_saveexec_b64 s[0:1], vcc
	s_xor_b64 s[42:43], exec, s[0:1]
	s_cbranch_execz .LBB18_27
; %bb.26:                               ;   in Loop: Header=BB18_25 Depth=2
	s_ashr_i32 s44, s41, 31
	s_add_u32 s0, s40, s44
	s_mov_b32 s45, s44
	s_addc_u32 s1, s41, s44
	s_xor_b64 s[46:47], s[0:1], s[44:45]
	v_cvt_f32_u32_e32 v3, s46
	v_cvt_f32_u32_e32 v12, s47
	s_sub_u32 s0, 0, s46
	s_subb_u32 s1, 0, s47
	v_mac_f32_e32 v3, 0x4f800000, v12
	v_rcp_f32_e32 v3, v3
	v_mul_f32_e32 v3, 0x5f7ffffc, v3
	v_mul_f32_e32 v12, 0x2f800000, v3
	v_trunc_f32_e32 v12, v12
	v_mac_f32_e32 v3, 0xcf800000, v12
	v_cvt_u32_f32_e32 v12, v12
	v_cvt_u32_f32_e32 v3, v3
	v_mul_lo_u32 v13, s0, v12
	v_mul_hi_u32 v18, s0, v3
	v_mul_lo_u32 v17, s1, v3
	v_add_u32_e32 v13, v18, v13
	v_mul_lo_u32 v19, s0, v3
	v_add_u32_e32 v13, v13, v17
	v_mul_lo_u32 v18, v3, v13
	v_mul_hi_u32 v20, v3, v19
	v_mul_hi_u32 v17, v3, v13
	v_add_co_u32_e32 v18, vcc, v20, v18
	v_addc_co_u32_e32 v17, vcc, 0, v17, vcc
	v_mul_hi_u32 v21, v12, v19
	v_mul_lo_u32 v19, v12, v19
	v_add_co_u32_e32 v18, vcc, v18, v19
	v_mul_hi_u32 v20, v12, v13
	v_addc_co_u32_e32 v17, vcc, v17, v21, vcc
	v_addc_co_u32_e32 v18, vcc, 0, v20, vcc
	v_mul_lo_u32 v13, v12, v13
	v_add_co_u32_e32 v13, vcc, v17, v13
	v_addc_co_u32_e32 v17, vcc, 0, v18, vcc
	v_add_co_u32_e32 v3, vcc, v3, v13
	v_addc_co_u32_e32 v12, vcc, v12, v17, vcc
	v_mul_lo_u32 v13, s0, v12
	v_mul_hi_u32 v17, s0, v3
	v_add_u32_e32 v13, v17, v13
	v_mul_lo_u32 v17, s1, v3
	v_add_u32_e32 v13, v13, v17
	v_mul_lo_u32 v18, s0, v3
	v_mul_hi_u32 v19, v12, v18
	v_mul_lo_u32 v20, v12, v18
	v_mul_lo_u32 v22, v3, v13
	v_mul_hi_u32 v18, v3, v18
	v_mul_hi_u32 v21, v3, v13
	v_add_co_u32_e32 v18, vcc, v18, v22
	v_addc_co_u32_e32 v21, vcc, 0, v21, vcc
	v_add_co_u32_e32 v18, vcc, v18, v20
	v_mul_hi_u32 v17, v12, v13
	v_addc_co_u32_e32 v18, vcc, v21, v19, vcc
	v_addc_co_u32_e32 v17, vcc, 0, v17, vcc
	v_mul_lo_u32 v13, v12, v13
	v_add_co_u32_e32 v13, vcc, v18, v13
	v_addc_co_u32_e32 v17, vcc, 0, v17, vcc
	v_add_co_u32_e32 v3, vcc, v3, v13
	v_addc_co_u32_e32 v17, vcc, v12, v17, vcc
	v_ashrrev_i32_e32 v20, 31, v9
	v_add_co_u32_e32 v12, vcc, v8, v20
	v_addc_co_u32_e32 v13, vcc, v9, v20, vcc
	v_xor_b32_e32 v22, v12, v20
	v_xor_b32_e32 v21, v13, v20
	v_mad_u64_u32 v[12:13], s[0:1], v22, v17, 0
	v_mul_hi_u32 v18, v22, v3
	v_add_co_u32_e32 v23, vcc, v18, v12
	v_addc_co_u32_e32 v24, vcc, 0, v13, vcc
	v_mad_u64_u32 v[18:19], s[0:1], v21, v3, 0
	v_add_co_u32_e32 v3, vcc, v23, v18
	v_mad_u64_u32 v[12:13], s[0:1], v21, v17, 0
	v_addc_co_u32_e32 v3, vcc, v24, v19, vcc
	v_addc_co_u32_e32 v13, vcc, 0, v13, vcc
	v_add_co_u32_e32 v3, vcc, v3, v12
	v_addc_co_u32_e32 v17, vcc, 0, v13, vcc
	v_mul_lo_u32 v18, s47, v3
	v_mul_lo_u32 v19, s46, v17
	v_mad_u64_u32 v[12:13], s[0:1], s46, v3, 0
	v_add3_u32 v13, v13, v19, v18
	v_sub_u32_e32 v18, v21, v13
	v_mov_b32_e32 v19, s47
	v_sub_co_u32_e32 v12, vcc, v22, v12
	v_subb_co_u32_e64 v18, s[0:1], v18, v19, vcc
	v_subrev_co_u32_e64 v19, s[0:1], s46, v12
	v_subbrev_co_u32_e64 v18, s[0:1], 0, v18, s[0:1]
	v_cmp_le_u32_e64 s[0:1], s47, v18
	v_cndmask_b32_e64 v22, 0, -1, s[0:1]
	v_cmp_le_u32_e64 s[0:1], s46, v19
	v_cndmask_b32_e64 v19, 0, -1, s[0:1]
	v_cmp_eq_u32_e64 s[0:1], s47, v18
	v_cndmask_b32_e64 v18, v22, v19, s[0:1]
	v_add_co_u32_e64 v19, s[0:1], 2, v3
	v_subb_co_u32_e32 v13, vcc, v21, v13, vcc
	v_addc_co_u32_e64 v22, s[0:1], 0, v17, s[0:1]
	v_cmp_le_u32_e32 vcc, s47, v13
	v_add_co_u32_e64 v23, s[0:1], 1, v3
	v_cndmask_b32_e64 v21, 0, -1, vcc
	v_cmp_le_u32_e32 vcc, s46, v12
	v_addc_co_u32_e64 v24, s[0:1], 0, v17, s[0:1]
	v_cndmask_b32_e64 v12, 0, -1, vcc
	v_cmp_eq_u32_e32 vcc, s47, v13
	v_cmp_ne_u32_e64 s[0:1], 0, v18
	v_cndmask_b32_e32 v12, v21, v12, vcc
	v_cmp_ne_u32_e32 vcc, 0, v12
	v_cndmask_b32_e64 v13, v23, v19, s[0:1]
	v_cndmask_b32_e64 v18, v24, v22, s[0:1]
	v_cndmask_b32_e32 v3, v3, v13, vcc
	v_xor_b32_e32 v13, s44, v20
	v_cndmask_b32_e32 v12, v17, v18, vcc
	v_xor_b32_e32 v3, v3, v13
	v_xor_b32_e32 v17, v12, v13
	v_sub_co_u32_e32 v12, vcc, v3, v13
	v_subb_co_u32_e32 v13, vcc, v17, v13, vcc
.LBB18_27:                              ;   in Loop: Header=BB18_25 Depth=2
	s_andn2_saveexec_b64 s[0:1], s[42:43]
	s_cbranch_execz .LBB18_24
; %bb.28:                               ;   in Loop: Header=BB18_25 Depth=2
	v_cvt_f32_u32_e32 v3, s40
	s_sub_i32 s42, 0, s40
	v_rcp_iflag_f32_e32 v3, v3
	v_mul_f32_e32 v3, 0x4f7ffffe, v3
	v_cvt_u32_f32_e32 v3, v3
	v_mul_lo_u32 v12, s42, v3
	v_mul_hi_u32 v12, v3, v12
	v_add_u32_e32 v3, v3, v12
	v_mul_hi_u32 v3, v8, v3
	v_mul_lo_u32 v12, v3, s40
	v_sub_u32_e32 v12, v8, v12
	v_add_u32_e32 v13, 1, v3
	v_subrev_u32_e32 v17, s40, v12
	v_cmp_le_u32_e32 vcc, s40, v12
	v_cndmask_b32_e32 v12, v12, v17, vcc
	v_cndmask_b32_e32 v3, v3, v13, vcc
	v_add_u32_e32 v13, 1, v3
	v_cmp_le_u32_e32 vcc, s40, v12
	v_cndmask_b32_e32 v12, v3, v13, vcc
	v_mov_b32_e32 v13, v2
	s_branch .LBB18_24
.LBB18_29:
	s_endpgm
	.section	.rodata,"a",@progbits
	.p2align	6, 0x0
	.amdhsa_kernel _ZN2at6native16triu_tril_kernelIslLb0ELi4ELb1EEEvNS_4cuda6detail10TensorInfoIT_T0_EENS4_IKS5_S6_EEllS6_
		.amdhsa_group_segment_fixed_size 0
		.amdhsa_private_segment_fixed_size 0
		.amdhsa_kernarg_size 1112
		.amdhsa_user_sgpr_count 6
		.amdhsa_user_sgpr_private_segment_buffer 1
		.amdhsa_user_sgpr_dispatch_ptr 0
		.amdhsa_user_sgpr_queue_ptr 0
		.amdhsa_user_sgpr_kernarg_segment_ptr 1
		.amdhsa_user_sgpr_dispatch_id 0
		.amdhsa_user_sgpr_flat_scratch_init 0
		.amdhsa_user_sgpr_kernarg_preload_length 0
		.amdhsa_user_sgpr_kernarg_preload_offset 0
		.amdhsa_user_sgpr_private_segment_size 0
		.amdhsa_uses_dynamic_stack 0
		.amdhsa_system_sgpr_private_segment_wavefront_offset 0
		.amdhsa_system_sgpr_workgroup_id_x 1
		.amdhsa_system_sgpr_workgroup_id_y 0
		.amdhsa_system_sgpr_workgroup_id_z 0
		.amdhsa_system_sgpr_workgroup_info 0
		.amdhsa_system_vgpr_workitem_id 0
		.amdhsa_next_free_vgpr 25
		.amdhsa_next_free_sgpr 49
		.amdhsa_accum_offset 28
		.amdhsa_reserve_vcc 1
		.amdhsa_reserve_flat_scratch 0
		.amdhsa_float_round_mode_32 0
		.amdhsa_float_round_mode_16_64 0
		.amdhsa_float_denorm_mode_32 3
		.amdhsa_float_denorm_mode_16_64 3
		.amdhsa_dx10_clamp 1
		.amdhsa_ieee_mode 1
		.amdhsa_fp16_overflow 0
		.amdhsa_tg_split 0
		.amdhsa_exception_fp_ieee_invalid_op 0
		.amdhsa_exception_fp_denorm_src 0
		.amdhsa_exception_fp_ieee_div_zero 0
		.amdhsa_exception_fp_ieee_overflow 0
		.amdhsa_exception_fp_ieee_underflow 0
		.amdhsa_exception_fp_ieee_inexact 0
		.amdhsa_exception_int_div_zero 0
	.end_amdhsa_kernel
	.section	.text._ZN2at6native16triu_tril_kernelIslLb0ELi4ELb1EEEvNS_4cuda6detail10TensorInfoIT_T0_EENS4_IKS5_S6_EEllS6_,"axG",@progbits,_ZN2at6native16triu_tril_kernelIslLb0ELi4ELb1EEEvNS_4cuda6detail10TensorInfoIT_T0_EENS4_IKS5_S6_EEllS6_,comdat
.Lfunc_end18:
	.size	_ZN2at6native16triu_tril_kernelIslLb0ELi4ELb1EEEvNS_4cuda6detail10TensorInfoIT_T0_EENS4_IKS5_S6_EEllS6_, .Lfunc_end18-_ZN2at6native16triu_tril_kernelIslLb0ELi4ELb1EEEvNS_4cuda6detail10TensorInfoIT_T0_EENS4_IKS5_S6_EEllS6_
                                        ; -- End function
	.section	.AMDGPU.csdata,"",@progbits
; Kernel info:
; codeLenInByte = 3356
; NumSgprs: 53
; NumVgprs: 25
; NumAgprs: 0
; TotalNumVgprs: 25
; ScratchSize: 0
; MemoryBound: 0
; FloatMode: 240
; IeeeMode: 1
; LDSByteSize: 0 bytes/workgroup (compile time only)
; SGPRBlocks: 6
; VGPRBlocks: 3
; NumSGPRsForWavesPerEU: 53
; NumVGPRsForWavesPerEU: 25
; AccumOffset: 28
; Occupancy: 8
; WaveLimiterHint : 0
; COMPUTE_PGM_RSRC2:SCRATCH_EN: 0
; COMPUTE_PGM_RSRC2:USER_SGPR: 6
; COMPUTE_PGM_RSRC2:TRAP_HANDLER: 0
; COMPUTE_PGM_RSRC2:TGID_X_EN: 1
; COMPUTE_PGM_RSRC2:TGID_Y_EN: 0
; COMPUTE_PGM_RSRC2:TGID_Z_EN: 0
; COMPUTE_PGM_RSRC2:TIDIG_COMP_CNT: 0
; COMPUTE_PGM_RSRC3_GFX90A:ACCUM_OFFSET: 6
; COMPUTE_PGM_RSRC3_GFX90A:TG_SPLIT: 0
	.section	.text._ZN2at6native16triu_tril_kernelIslLb0ELi4ELb0EEEvNS_4cuda6detail10TensorInfoIT_T0_EENS4_IKS5_S6_EEllS6_,"axG",@progbits,_ZN2at6native16triu_tril_kernelIslLb0ELi4ELb0EEEvNS_4cuda6detail10TensorInfoIT_T0_EENS4_IKS5_S6_EEllS6_,comdat
	.protected	_ZN2at6native16triu_tril_kernelIslLb0ELi4ELb0EEEvNS_4cuda6detail10TensorInfoIT_T0_EENS4_IKS5_S6_EEllS6_ ; -- Begin function _ZN2at6native16triu_tril_kernelIslLb0ELi4ELb0EEEvNS_4cuda6detail10TensorInfoIT_T0_EENS4_IKS5_S6_EEllS6_
	.globl	_ZN2at6native16triu_tril_kernelIslLb0ELi4ELb0EEEvNS_4cuda6detail10TensorInfoIT_T0_EENS4_IKS5_S6_EEllS6_
	.p2align	8
	.type	_ZN2at6native16triu_tril_kernelIslLb0ELi4ELb0EEEvNS_4cuda6detail10TensorInfoIT_T0_EENS4_IKS5_S6_EEllS6_,@function
_ZN2at6native16triu_tril_kernelIslLb0ELi4ELb0EEEvNS_4cuda6detail10TensorInfoIT_T0_EENS4_IKS5_S6_EEllS6_: ; @_ZN2at6native16triu_tril_kernelIslLb0ELi4ELb0EEEvNS_4cuda6detail10TensorInfoIT_T0_EENS4_IKS5_S6_EEllS6_
; %bb.0:
	s_load_dword s2, s[4:5], 0x364
	s_load_dwordx4 s[8:11], s[4:5], 0x340
	s_add_u32 s0, s4, 0x358
	v_mov_b32_e32 v2, 0
	s_addc_u32 s1, s5, 0
	s_waitcnt lgkmcnt(0)
	s_and_b32 s7, s2, 0xffff
	v_mov_b32_e32 v1, v2
	v_mov_b32_e32 v3, s6
	v_mad_u64_u32 v[0:1], s[2:3], s7, v3, v[0:1]
	v_lshlrev_b64 v[0:1], 2, v[0:1]
	s_mov_b32 s33, 0xffff
	v_cmp_gt_i64_e32 vcc, s[10:11], v[0:1]
	s_and_saveexec_b64 s[2:3], vcc
	s_cbranch_execz .LBB19_32
; %bb.1:
	s_load_dword s6, s[0:1], 0x0
	s_load_dwordx2 s[2:3], s[4:5], 0x350
	s_load_dword s26, s[4:5], 0x338
	s_add_u32 s12, s4, 0x1a0
	s_addc_u32 s13, s5, 0
	s_waitcnt lgkmcnt(0)
	s_mul_i32 s28, s6, s7
	v_cvt_f32_u32_e32 v3, s2
	s_ashr_i32 s27, s26, 31
	s_add_u32 s40, s4, 0x1a8
	s_addc_u32 s41, s5, 0
	s_lshl_b64 s[0:1], s[26:27], 3
	s_add_u32 s22, s0, -16
	s_addc_u32 s23, s1, -1
	s_add_u32 s0, s40, s22
	s_addc_u32 s1, s41, s23
	s_add_u32 s20, s12, s22
	s_addc_u32 s21, s13, s23
	;; [unrolled: 2-line block ×3, first 2 shown]
	s_load_dwordx4 s[12:15], s[0:1], 0x0
	s_load_dwordx4 s[16:19], s[20:21], 0xd0
	s_add_u32 s0, s36, s22
	s_addc_u32 s1, s37, s23
	s_load_dwordx4 s[20:23], s[0:1], 0x0
	s_load_dwordx2 s[6:7], s[4:5], 0x1a0
	v_rcp_iflag_f32_e32 v3, v3
	s_load_dwordx2 s[4:5], s[4:5], 0x0
	s_add_i32 s0, s26, -3
	s_ashr_i32 s1, s0, 31
	s_lshl_b32 s58, s28, 2
	s_waitcnt lgkmcnt(0)
	s_mul_i32 s28, s19, 6
	s_mul_hi_u32 s29, s18, 6
	s_mul_i32 s30, s23, 6
	s_mul_hi_u32 s31, s22, 6
	v_cmp_gt_i64_e64 s[24:25], s[26:27], 2
	s_lshl_b64 s[26:27], s[18:19], 2
	s_add_i32 s60, s29, s28
	s_lshl_b64 s[28:29], s[22:23], 2
	s_add_i32 s62, s31, s30
	s_lshl_b64 s[38:39], s[0:1], 3
	s_add_u32 s36, s36, s38
	s_addc_u32 s37, s37, s39
	v_mul_f32_e32 v3, 0x4f7ffffe, v3
	s_add_u32 s38, s40, s38
	v_cvt_u32_f32_e32 v14, v3
	s_addc_u32 s39, s41, s39
	s_add_u32 s40, s0, 1
	s_mov_b32 s59, 0
	s_mul_i32 s61, s18, 6
	s_mul_i32 s63, s22, 6
	s_mov_b32 s30, s8
	s_mov_b32 s31, s9
	;; [unrolled: 1-line block ×4, first 2 shown]
	s_addc_u32 s41, s1, 0
	s_mov_b64 s[42:43], 0
	s_mov_b32 s64, 0x5040100
	s_branch .LBB19_3
.LBB19_2:                               ;   in Loop: Header=BB19_3 Depth=1
	s_or_b64 exec, exec, s[0:1]
	v_mov_b32_e32 v3, s59
	v_add_co_u32_e32 v0, vcc, s58, v0
	v_addc_co_u32_e32 v1, vcc, v1, v3, vcc
	v_cmp_le_i64_e32 vcc, s[10:11], v[0:1]
	s_or_b64 s[42:43], vcc, s[42:43]
	s_andn2_b64 exec, exec, s[42:43]
	s_cbranch_execz .LBB19_32
.LBB19_3:                               ; =>This Loop Header: Depth=1
                                        ;     Child Loop BB19_28 Depth 2
	v_or_b32_e32 v3, s3, v1
	v_cmp_ne_u64_e32 vcc, 0, v[2:3]
                                        ; implicit-def: $vgpr6_vgpr7
	s_and_saveexec_b64 s[0:1], vcc
	s_xor_b64 s[44:45], exec, s[0:1]
	s_cbranch_execz .LBB19_5
; %bb.4:                                ;   in Loop: Header=BB19_3 Depth=1
	s_ashr_i32 s46, s3, 31
	s_add_u32 s0, s2, s46
	s_mov_b32 s47, s46
	s_addc_u32 s1, s3, s46
	s_xor_b64 s[48:49], s[0:1], s[46:47]
	v_cvt_f32_u32_e32 v3, s48
	v_cvt_f32_u32_e32 v4, s49
	s_sub_u32 s0, 0, s48
	s_subb_u32 s1, 0, s49
	v_mac_f32_e32 v3, 0x4f800000, v4
	v_rcp_f32_e32 v3, v3
	v_mul_f32_e32 v3, 0x5f7ffffc, v3
	v_mul_f32_e32 v4, 0x2f800000, v3
	v_trunc_f32_e32 v4, v4
	v_mac_f32_e32 v3, 0xcf800000, v4
	v_cvt_u32_f32_e32 v4, v4
	v_cvt_u32_f32_e32 v3, v3
	v_mul_lo_u32 v5, s0, v4
	v_mul_hi_u32 v7, s0, v3
	v_mul_lo_u32 v6, s1, v3
	v_add_u32_e32 v5, v7, v5
	v_mul_lo_u32 v8, s0, v3
	v_add_u32_e32 v5, v5, v6
	v_mul_lo_u32 v7, v3, v5
	v_mul_hi_u32 v9, v3, v8
	v_mul_hi_u32 v6, v3, v5
	v_add_co_u32_e32 v7, vcc, v9, v7
	v_addc_co_u32_e32 v6, vcc, 0, v6, vcc
	v_mul_hi_u32 v10, v4, v8
	v_mul_lo_u32 v8, v4, v8
	v_add_co_u32_e32 v7, vcc, v7, v8
	v_mul_hi_u32 v9, v4, v5
	v_addc_co_u32_e32 v6, vcc, v6, v10, vcc
	v_addc_co_u32_e32 v7, vcc, 0, v9, vcc
	v_mul_lo_u32 v5, v4, v5
	v_add_co_u32_e32 v5, vcc, v6, v5
	v_addc_co_u32_e32 v6, vcc, 0, v7, vcc
	v_add_co_u32_e32 v3, vcc, v3, v5
	v_addc_co_u32_e32 v4, vcc, v4, v6, vcc
	v_mul_lo_u32 v5, s0, v4
	v_mul_hi_u32 v6, s0, v3
	v_add_u32_e32 v5, v6, v5
	v_mul_lo_u32 v6, s1, v3
	v_add_u32_e32 v5, v5, v6
	v_mul_lo_u32 v7, s0, v3
	v_mul_hi_u32 v8, v4, v7
	v_mul_lo_u32 v9, v4, v7
	v_mul_lo_u32 v11, v3, v5
	v_mul_hi_u32 v7, v3, v7
	v_mul_hi_u32 v10, v3, v5
	v_add_co_u32_e32 v7, vcc, v7, v11
	v_addc_co_u32_e32 v10, vcc, 0, v10, vcc
	v_add_co_u32_e32 v7, vcc, v7, v9
	v_mul_hi_u32 v6, v4, v5
	v_addc_co_u32_e32 v7, vcc, v10, v8, vcc
	v_addc_co_u32_e32 v6, vcc, 0, v6, vcc
	v_mul_lo_u32 v5, v4, v5
	v_add_co_u32_e32 v5, vcc, v7, v5
	v_addc_co_u32_e32 v6, vcc, 0, v6, vcc
	v_add_co_u32_e32 v3, vcc, v3, v5
	v_addc_co_u32_e32 v6, vcc, v4, v6, vcc
	v_ashrrev_i32_e32 v8, 31, v1
	v_add_co_u32_e32 v4, vcc, v0, v8
	v_addc_co_u32_e32 v5, vcc, v1, v8, vcc
	v_xor_b32_e32 v10, v4, v8
	v_xor_b32_e32 v9, v5, v8
	v_mad_u64_u32 v[4:5], s[0:1], v10, v6, 0
	v_mul_hi_u32 v7, v10, v3
	v_add_co_u32_e32 v11, vcc, v7, v4
	v_addc_co_u32_e32 v12, vcc, 0, v5, vcc
	v_mad_u64_u32 v[4:5], s[0:1], v9, v6, 0
	v_mad_u64_u32 v[6:7], s[0:1], v9, v3, 0
	v_add_co_u32_e32 v3, vcc, v11, v6
	v_addc_co_u32_e32 v3, vcc, v12, v7, vcc
	v_addc_co_u32_e32 v5, vcc, 0, v5, vcc
	v_add_co_u32_e32 v3, vcc, v3, v4
	v_addc_co_u32_e32 v6, vcc, 0, v5, vcc
	v_mul_lo_u32 v7, s49, v3
	v_mul_lo_u32 v11, s48, v6
	v_mad_u64_u32 v[4:5], s[0:1], s48, v3, 0
	v_add3_u32 v5, v5, v11, v7
	v_sub_u32_e32 v7, v9, v5
	v_mov_b32_e32 v11, s49
	v_sub_co_u32_e32 v4, vcc, v10, v4
	v_subb_co_u32_e64 v7, s[0:1], v7, v11, vcc
	v_subrev_co_u32_e64 v10, s[0:1], s48, v4
	v_subbrev_co_u32_e64 v7, s[0:1], 0, v7, s[0:1]
	v_cmp_le_u32_e64 s[0:1], s49, v7
	v_cndmask_b32_e64 v11, 0, -1, s[0:1]
	v_cmp_le_u32_e64 s[0:1], s48, v10
	v_cndmask_b32_e64 v10, 0, -1, s[0:1]
	v_cmp_eq_u32_e64 s[0:1], s49, v7
	v_cndmask_b32_e64 v7, v11, v10, s[0:1]
	v_add_co_u32_e64 v10, s[0:1], 2, v3
	v_subb_co_u32_e32 v5, vcc, v9, v5, vcc
	v_addc_co_u32_e64 v11, s[0:1], 0, v6, s[0:1]
	v_cmp_le_u32_e32 vcc, s49, v5
	v_add_co_u32_e64 v12, s[0:1], 1, v3
	v_cndmask_b32_e64 v9, 0, -1, vcc
	v_cmp_le_u32_e32 vcc, s48, v4
	v_addc_co_u32_e64 v13, s[0:1], 0, v6, s[0:1]
	v_cndmask_b32_e64 v4, 0, -1, vcc
	v_cmp_eq_u32_e32 vcc, s49, v5
	v_cmp_ne_u32_e64 s[0:1], 0, v7
	v_cndmask_b32_e32 v4, v9, v4, vcc
	v_cmp_ne_u32_e32 vcc, 0, v4
	v_cndmask_b32_e64 v5, v12, v10, s[0:1]
	v_cndmask_b32_e64 v7, v13, v11, s[0:1]
	v_cndmask_b32_e32 v3, v3, v5, vcc
	v_xor_b32_e32 v5, s46, v8
	v_cndmask_b32_e32 v4, v6, v7, vcc
	v_xor_b32_e32 v3, v3, v5
	v_xor_b32_e32 v4, v4, v5
	v_sub_co_u32_e32 v6, vcc, v3, v5
	v_subb_co_u32_e32 v7, vcc, v4, v5, vcc
.LBB19_5:                               ;   in Loop: Header=BB19_3 Depth=1
	s_andn2_saveexec_b64 s[0:1], s[44:45]
	s_cbranch_execz .LBB19_7
; %bb.6:                                ;   in Loop: Header=BB19_3 Depth=1
	s_sub_i32 s44, 0, s2
	v_mul_lo_u32 v3, s44, v14
	v_mul_hi_u32 v3, v14, v3
	v_add_u32_e32 v3, v14, v3
	v_mul_hi_u32 v3, v0, v3
	v_mul_lo_u32 v4, v3, s2
	v_sub_u32_e32 v4, v0, v4
	v_subrev_u32_e32 v5, s2, v4
	v_cmp_le_u32_e32 vcc, s2, v4
	v_cndmask_b32_e32 v4, v4, v5, vcc
	v_add_u32_e32 v5, 1, v3
	v_cndmask_b32_e32 v3, v3, v5, vcc
	v_add_u32_e32 v5, 1, v3
	v_cmp_le_u32_e32 vcc, s2, v4
	v_cndmask_b32_e32 v6, v3, v5, vcc
	v_mov_b32_e32 v7, v2
.LBB19_7:                               ;   in Loop: Header=BB19_3 Depth=1
	s_or_b64 exec, exec, s[0:1]
	v_or_b32_e32 v3, s13, v7
	v_cmp_ne_u64_e32 vcc, 0, v[2:3]
                                        ; implicit-def: $vgpr10_vgpr11
	s_and_saveexec_b64 s[0:1], vcc
	s_xor_b64 s[44:45], exec, s[0:1]
	s_cbranch_execz .LBB19_9
; %bb.8:                                ;   in Loop: Header=BB19_3 Depth=1
	s_ashr_i32 s46, s13, 31
	s_add_u32 s0, s12, s46
	s_mov_b32 s47, s46
	s_addc_u32 s1, s13, s46
	s_xor_b64 s[48:49], s[0:1], s[46:47]
	v_cvt_f32_u32_e32 v3, s48
	v_cvt_f32_u32_e32 v4, s49
	s_sub_u32 s0, 0, s48
	s_subb_u32 s1, 0, s49
	v_mac_f32_e32 v3, 0x4f800000, v4
	v_rcp_f32_e32 v3, v3
	v_mul_f32_e32 v3, 0x5f7ffffc, v3
	v_mul_f32_e32 v4, 0x2f800000, v3
	v_trunc_f32_e32 v4, v4
	v_mac_f32_e32 v3, 0xcf800000, v4
	v_cvt_u32_f32_e32 v4, v4
	v_cvt_u32_f32_e32 v3, v3
	v_mul_lo_u32 v5, s0, v4
	v_mul_hi_u32 v9, s0, v3
	v_mul_lo_u32 v8, s1, v3
	v_add_u32_e32 v5, v9, v5
	v_mul_lo_u32 v10, s0, v3
	v_add_u32_e32 v5, v5, v8
	v_mul_lo_u32 v9, v3, v5
	v_mul_hi_u32 v11, v3, v10
	v_mul_hi_u32 v8, v3, v5
	v_add_co_u32_e32 v9, vcc, v11, v9
	v_addc_co_u32_e32 v8, vcc, 0, v8, vcc
	v_mul_hi_u32 v12, v4, v10
	v_mul_lo_u32 v10, v4, v10
	v_add_co_u32_e32 v9, vcc, v9, v10
	v_mul_hi_u32 v11, v4, v5
	v_addc_co_u32_e32 v8, vcc, v8, v12, vcc
	v_addc_co_u32_e32 v9, vcc, 0, v11, vcc
	v_mul_lo_u32 v5, v4, v5
	v_add_co_u32_e32 v5, vcc, v8, v5
	v_addc_co_u32_e32 v8, vcc, 0, v9, vcc
	v_add_co_u32_e32 v3, vcc, v3, v5
	v_addc_co_u32_e32 v4, vcc, v4, v8, vcc
	v_mul_lo_u32 v5, s0, v4
	v_mul_hi_u32 v8, s0, v3
	v_add_u32_e32 v5, v8, v5
	v_mul_lo_u32 v8, s1, v3
	v_add_u32_e32 v5, v5, v8
	v_mul_lo_u32 v9, s0, v3
	v_mul_hi_u32 v10, v4, v9
	v_mul_lo_u32 v11, v4, v9
	v_mul_lo_u32 v13, v3, v5
	v_mul_hi_u32 v9, v3, v9
	v_mul_hi_u32 v12, v3, v5
	v_add_co_u32_e32 v9, vcc, v9, v13
	v_addc_co_u32_e32 v12, vcc, 0, v12, vcc
	v_add_co_u32_e32 v9, vcc, v9, v11
	v_mul_hi_u32 v8, v4, v5
	v_addc_co_u32_e32 v9, vcc, v12, v10, vcc
	v_addc_co_u32_e32 v8, vcc, 0, v8, vcc
	v_mul_lo_u32 v5, v4, v5
	v_add_co_u32_e32 v5, vcc, v9, v5
	v_addc_co_u32_e32 v8, vcc, 0, v8, vcc
	v_add_co_u32_e32 v3, vcc, v3, v5
	v_addc_co_u32_e32 v8, vcc, v4, v8, vcc
	v_ashrrev_i32_e32 v10, 31, v7
	v_add_co_u32_e32 v4, vcc, v6, v10
	v_addc_co_u32_e32 v5, vcc, v7, v10, vcc
	v_xor_b32_e32 v12, v4, v10
	v_xor_b32_e32 v11, v5, v10
	v_mad_u64_u32 v[4:5], s[0:1], v12, v8, 0
	v_mul_hi_u32 v9, v12, v3
	v_add_co_u32_e32 v13, vcc, v9, v4
	v_addc_co_u32_e32 v15, vcc, 0, v5, vcc
	v_mad_u64_u32 v[4:5], s[0:1], v11, v8, 0
	v_mad_u64_u32 v[8:9], s[0:1], v11, v3, 0
	v_add_co_u32_e32 v3, vcc, v13, v8
	v_addc_co_u32_e32 v3, vcc, v15, v9, vcc
	v_addc_co_u32_e32 v5, vcc, 0, v5, vcc
	v_add_co_u32_e32 v3, vcc, v3, v4
	v_addc_co_u32_e32 v8, vcc, 0, v5, vcc
	v_mul_lo_u32 v9, s49, v3
	v_mul_lo_u32 v13, s48, v8
	v_mad_u64_u32 v[4:5], s[0:1], s48, v3, 0
	v_add3_u32 v5, v5, v13, v9
	v_sub_u32_e32 v9, v11, v5
	v_mov_b32_e32 v13, s49
	v_sub_co_u32_e32 v4, vcc, v12, v4
	v_subb_co_u32_e64 v9, s[0:1], v9, v13, vcc
	v_subrev_co_u32_e64 v12, s[0:1], s48, v4
	v_subbrev_co_u32_e64 v9, s[0:1], 0, v9, s[0:1]
	v_cmp_le_u32_e64 s[0:1], s49, v9
	v_cndmask_b32_e64 v13, 0, -1, s[0:1]
	v_cmp_le_u32_e64 s[0:1], s48, v12
	v_cndmask_b32_e64 v12, 0, -1, s[0:1]
	v_cmp_eq_u32_e64 s[0:1], s49, v9
	v_cndmask_b32_e64 v9, v13, v12, s[0:1]
	v_add_co_u32_e64 v12, s[0:1], 2, v3
	v_subb_co_u32_e32 v5, vcc, v11, v5, vcc
	v_addc_co_u32_e64 v13, s[0:1], 0, v8, s[0:1]
	v_cmp_le_u32_e32 vcc, s49, v5
	v_add_co_u32_e64 v15, s[0:1], 1, v3
	v_cndmask_b32_e64 v11, 0, -1, vcc
	v_cmp_le_u32_e32 vcc, s48, v4
	v_addc_co_u32_e64 v16, s[0:1], 0, v8, s[0:1]
	v_cndmask_b32_e64 v4, 0, -1, vcc
	v_cmp_eq_u32_e32 vcc, s49, v5
	v_cmp_ne_u32_e64 s[0:1], 0, v9
	v_cndmask_b32_e32 v4, v11, v4, vcc
	v_cmp_ne_u32_e32 vcc, 0, v4
	v_cndmask_b32_e64 v5, v15, v12, s[0:1]
	v_cndmask_b32_e64 v9, v16, v13, s[0:1]
	v_cndmask_b32_e32 v3, v3, v5, vcc
	v_xor_b32_e32 v5, s46, v10
	v_cndmask_b32_e32 v4, v8, v9, vcc
	v_xor_b32_e32 v3, v3, v5
	v_xor_b32_e32 v4, v4, v5
	v_sub_co_u32_e32 v10, vcc, v3, v5
	v_subb_co_u32_e32 v11, vcc, v4, v5, vcc
.LBB19_9:                               ;   in Loop: Header=BB19_3 Depth=1
	s_andn2_saveexec_b64 s[0:1], s[44:45]
	s_cbranch_execz .LBB19_11
; %bb.10:                               ;   in Loop: Header=BB19_3 Depth=1
	v_cvt_f32_u32_e32 v3, s12
	s_sub_i32 s44, 0, s12
	v_mov_b32_e32 v11, v2
	v_rcp_iflag_f32_e32 v3, v3
	v_mul_f32_e32 v3, 0x4f7ffffe, v3
	v_cvt_u32_f32_e32 v3, v3
	v_mul_lo_u32 v4, s44, v3
	v_mul_hi_u32 v4, v3, v4
	v_add_u32_e32 v3, v3, v4
	v_mul_hi_u32 v3, v6, v3
	v_mul_lo_u32 v4, v3, s12
	v_sub_u32_e32 v4, v6, v4
	v_add_u32_e32 v5, 1, v3
	v_subrev_u32_e32 v8, s12, v4
	v_cmp_le_u32_e32 vcc, s12, v4
	v_cndmask_b32_e32 v4, v4, v8, vcc
	v_cndmask_b32_e32 v3, v3, v5, vcc
	v_add_u32_e32 v5, 1, v3
	v_cmp_le_u32_e32 vcc, s12, v4
	v_cndmask_b32_e32 v10, v3, v5, vcc
.LBB19_11:                              ;   in Loop: Header=BB19_3 Depth=1
	s_or_b64 exec, exec, s[0:1]
	v_mul_lo_u32 v3, v7, s2
	v_mul_lo_u32 v8, v6, s3
	v_mad_u64_u32 v[4:5], s[0:1], v6, s2, 0
	v_add3_u32 v3, v5, v8, v3
	v_sub_co_u32_e32 v4, vcc, v0, v4
	v_subb_co_u32_e32 v5, vcc, v1, v3, vcc
	v_mul_lo_u32 v3, v11, s12
	v_mul_lo_u32 v12, v10, s13
	v_mad_u64_u32 v[8:9], s[0:1], v10, s12, 0
	v_add3_u32 v3, v9, v12, v3
	v_sub_co_u32_e32 v15, vcc, v6, v8
	v_subb_co_u32_e32 v16, vcc, v7, v3, vcc
	v_mul_lo_u32 v3, s19, v4
	v_mul_lo_u32 v8, s18, v5
	v_mad_u64_u32 v[6:7], s[0:1], s18, v4, 0
	v_add3_u32 v7, v7, v8, v3
	v_mul_lo_u32 v3, s23, v4
	v_mul_lo_u32 v8, s22, v5
	v_mad_u64_u32 v[12:13], s[0:1], s22, v4, 0
	v_add3_u32 v13, v13, v8, v3
	v_mad_u64_u32 v[8:9], s[0:1], s16, v15, v[6:7]
	v_mul_lo_u32 v3, s16, v16
	v_mul_lo_u32 v6, s17, v15
	v_add3_u32 v9, v6, v9, v3
	v_mad_u64_u32 v[6:7], s[0:1], s20, v15, v[12:13]
	v_mul_lo_u32 v3, s20, v16
	v_mul_lo_u32 v12, s21, v15
	v_add3_u32 v7, v12, v7, v3
	s_and_b64 vcc, exec, s[24:25]
	s_mov_b64 s[44:45], s[40:41]
	s_mov_b64 s[46:47], s[38:39]
	;; [unrolled: 1-line block ×3, first 2 shown]
	s_cbranch_vccnz .LBB19_28
.LBB19_12:                              ;   in Loop: Header=BB19_3 Depth=1
	v_sub_co_u32_e32 v10, vcc, v4, v15
	v_subb_co_u32_e32 v11, vcc, v5, v16, vcc
	v_cmp_ge_i64_e32 vcc, s[8:9], v[10:11]
	v_mov_b32_e32 v3, 0
	v_mov_b32_e32 v13, 0
	s_and_saveexec_b64 s[0:1], vcc
	s_cbranch_execz .LBB19_22
; %bb.13:                               ;   in Loop: Header=BB19_3 Depth=1
	v_cmp_gt_i64_e32 vcc, s[14:15], v[4:5]
	v_mov_b32_e32 v3, 0
	v_mov_b32_e32 v12, 0
	s_and_saveexec_b64 s[44:45], vcc
	s_cbranch_execz .LBB19_21
; %bb.14:                               ;   in Loop: Header=BB19_3 Depth=1
	v_lshlrev_b64 v[8:9], 1, v[8:9]
	v_mov_b32_e32 v3, s7
	v_add_co_u32_e32 v8, vcc, s6, v8
	v_addc_co_u32_e32 v9, vcc, v3, v9, vcc
	global_load_ushort v3, v[8:9], off
	v_add_co_u32_e32 v16, vcc, 1, v4
	v_addc_co_u32_e32 v17, vcc, 0, v5, vcc
	v_mov_b32_e32 v12, 0
	v_cmp_gt_i64_e32 vcc, s[14:15], v[16:17]
	s_waitcnt vmcnt(0)
	v_and_b32_e32 v3, 0xffff, v3
	s_and_saveexec_b64 s[46:47], vcc
	s_xor_b64 s[46:47], exec, s[46:47]
	s_cbranch_execz .LBB19_20
; %bb.15:                               ;   in Loop: Header=BB19_3 Depth=1
	s_lshl_b64 s[48:49], s[18:19], 1
	v_mov_b32_e32 v13, s49
	v_add_co_u32_e32 v12, vcc, s48, v8
	v_addc_co_u32_e32 v13, vcc, v9, v13, vcc
	global_load_ushort v13, v[12:13], off
	v_add_co_u32_e32 v16, vcc, 2, v4
	v_addc_co_u32_e32 v17, vcc, 0, v5, vcc
	v_mov_b32_e32 v12, 0
	v_cmp_gt_i64_e32 vcc, s[14:15], v[16:17]
	s_waitcnt vmcnt(0)
	v_perm_b32 v3, v13, v3, s64
	s_and_saveexec_b64 s[48:49], vcc
	s_xor_b64 s[48:49], exec, s[48:49]
	s_cbranch_execz .LBB19_19
; %bb.16:                               ;   in Loop: Header=BB19_3 Depth=1
	v_mov_b32_e32 v13, s27
	v_add_co_u32_e32 v12, vcc, s26, v8
	v_addc_co_u32_e32 v13, vcc, v9, v13, vcc
	global_load_ushort v12, v[12:13], off
	v_add_co_u32_e32 v16, vcc, 3, v4
	v_addc_co_u32_e32 v17, vcc, 0, v5, vcc
	v_cmp_gt_i64_e32 vcc, s[14:15], v[16:17]
	s_waitcnt vmcnt(0)
	v_bfi_b32 v12, s33, v12, 0
	s_and_saveexec_b64 s[50:51], vcc
	s_xor_b64 s[50:51], exec, s[50:51]
	s_cbranch_execz .LBB19_18
; %bb.17:                               ;   in Loop: Header=BB19_3 Depth=1
	v_mov_b32_e32 v13, s60
	v_add_co_u32_e32 v8, vcc, s61, v8
	v_addc_co_u32_e32 v9, vcc, v9, v13, vcc
	global_load_ushort v8, v[8:9], off
	s_waitcnt vmcnt(0)
	v_perm_b32 v12, v8, v12, s64
.LBB19_18:                              ;   in Loop: Header=BB19_3 Depth=1
	s_or_b64 exec, exec, s[50:51]
.LBB19_19:                              ;   in Loop: Header=BB19_3 Depth=1
	s_or_b64 exec, exec, s[48:49]
.LBB19_20:                              ;   in Loop: Header=BB19_3 Depth=1
	s_or_b64 exec, exec, s[46:47]
.LBB19_21:                              ;   in Loop: Header=BB19_3 Depth=1
	s_or_b64 exec, exec, s[44:45]
	v_add_co_u32_e32 v8, vcc, 1, v10
	v_addc_co_u32_e32 v9, vcc, 0, v11, vcc
	v_add_co_u32_e32 v16, vcc, 2, v10
	v_addc_co_u32_e32 v17, vcc, 0, v11, vcc
	v_cmp_ge_i64_e32 vcc, s[34:35], v[16:17]
	v_lshrrev_b32_e32 v13, 16, v3
	v_cndmask_b32_e32 v15, 0, v12, vcc
	v_cmp_ge_i64_e32 vcc, s[30:31], v[8:9]
	v_cndmask_b32_e32 v8, 0, v13, vcc
	v_perm_b32 v13, v8, v3, s64
	v_add_co_u32_e32 v8, vcc, 3, v10
	v_addc_co_u32_e32 v9, vcc, 0, v11, vcc
	v_lshrrev_b32_e32 v3, 16, v12
	v_cmp_ge_i64_e32 vcc, s[8:9], v[8:9]
	v_cndmask_b32_e32 v3, 0, v3, vcc
	v_perm_b32 v3, v3, v15, s64
.LBB19_22:                              ;   in Loop: Header=BB19_3 Depth=1
	s_or_b64 exec, exec, s[0:1]
	v_cmp_gt_i64_e32 vcc, s[14:15], v[4:5]
	s_and_saveexec_b64 s[0:1], vcc
	s_cbranch_execz .LBB19_2
; %bb.23:                               ;   in Loop: Header=BB19_3 Depth=1
	v_lshlrev_b64 v[6:7], 1, v[6:7]
	v_mov_b32_e32 v8, s5
	v_add_co_u32_e32 v6, vcc, s4, v6
	v_addc_co_u32_e32 v7, vcc, v8, v7, vcc
	v_add_co_u32_e32 v8, vcc, 1, v4
	v_addc_co_u32_e32 v9, vcc, 0, v5, vcc
	v_cmp_gt_i64_e32 vcc, s[14:15], v[8:9]
	global_store_short v[6:7], v13, off
	s_and_saveexec_b64 s[44:45], vcc
	s_xor_b64 s[44:45], exec, s[44:45]
	s_cbranch_execz .LBB19_2
; %bb.24:                               ;   in Loop: Header=BB19_3 Depth=1
	s_lshl_b64 s[44:45], s[22:23], 1
	v_mov_b32_e32 v9, s45
	v_add_co_u32_e32 v8, vcc, s44, v6
	v_addc_co_u32_e32 v9, vcc, v7, v9, vcc
	global_store_short_d16_hi v[8:9], v13, off
	v_add_co_u32_e32 v8, vcc, 2, v4
	v_addc_co_u32_e32 v9, vcc, 0, v5, vcc
	v_cmp_gt_i64_e32 vcc, s[14:15], v[8:9]
	s_and_saveexec_b64 s[44:45], vcc
	s_xor_b64 s[44:45], exec, s[44:45]
	s_cbranch_execz .LBB19_2
; %bb.25:                               ;   in Loop: Header=BB19_3 Depth=1
	v_mov_b32_e32 v9, s29
	v_add_co_u32_e32 v8, vcc, s28, v6
	v_addc_co_u32_e32 v9, vcc, v7, v9, vcc
	v_add_co_u32_e32 v4, vcc, 3, v4
	v_addc_co_u32_e32 v5, vcc, 0, v5, vcc
	v_cmp_gt_i64_e32 vcc, s[14:15], v[4:5]
	global_store_short v[8:9], v3, off
	s_and_saveexec_b64 s[44:45], vcc
	s_xor_b64 s[44:45], exec, s[44:45]
	s_cbranch_execz .LBB19_2
; %bb.26:                               ;   in Loop: Header=BB19_3 Depth=1
	v_mov_b32_e32 v5, s62
	v_add_co_u32_e32 v4, vcc, s63, v6
	v_addc_co_u32_e32 v5, vcc, v7, v5, vcc
	global_store_short_d16_hi v[4:5], v3, off
	s_branch .LBB19_2
.LBB19_27:                              ;   in Loop: Header=BB19_28 Depth=2
	s_or_b64 exec, exec, s[0:1]
	v_mad_u64_u32 v[18:19], s[0:1], v12, s50, 0
	v_mul_lo_u32 v3, v13, s50
	v_mul_lo_u32 v17, v12, s51
	s_load_dwordx2 s[0:1], s[46:47], 0xc8
	s_load_dwordx2 s[50:51], s[48:49], 0x0
	s_add_u32 s48, s48, -8
	s_addc_u32 s49, s49, -1
	s_add_u32 s46, s46, -8
	v_add3_u32 v3, v19, v17, v3
	v_sub_co_u32_e32 v10, vcc, v10, v18
	s_addc_u32 s47, s47, -1
	v_subb_co_u32_e32 v3, vcc, v11, v3, vcc
	s_add_u32 s44, s44, -1
	s_waitcnt lgkmcnt(0)
	v_mul_lo_u32 v11, s0, v3
	v_mul_lo_u32 v17, s1, v10
	v_mad_u64_u32 v[8:9], s[0:1], s0, v10, v[8:9]
	v_mad_u64_u32 v[6:7], s[0:1], s50, v10, v[6:7]
	s_addc_u32 s45, s45, -1
	v_add3_u32 v9, v17, v9, v11
	v_mul_lo_u32 v3, s50, v3
	v_mul_lo_u32 v11, s51, v10
	v_cmp_lt_i64_e64 s[0:1], s[44:45], 1
	v_add3_u32 v7, v11, v7, v3
	s_and_b64 vcc, exec, s[0:1]
	v_pk_mov_b32 v[10:11], v[12:13], v[12:13] op_sel:[0,1]
	s_cbranch_vccnz .LBB19_12
.LBB19_28:                              ;   Parent Loop BB19_3 Depth=1
                                        ; =>  This Inner Loop Header: Depth=2
	s_load_dwordx2 s[50:51], s[46:47], 0x0
                                        ; implicit-def: $vgpr12_vgpr13
	s_waitcnt lgkmcnt(0)
	v_or_b32_e32 v3, s51, v11
	v_cmp_ne_u64_e32 vcc, 0, v[2:3]
	s_and_saveexec_b64 s[0:1], vcc
	s_xor_b64 s[52:53], exec, s[0:1]
	s_cbranch_execz .LBB19_30
; %bb.29:                               ;   in Loop: Header=BB19_28 Depth=2
	s_ashr_i32 s54, s51, 31
	s_add_u32 s0, s50, s54
	s_mov_b32 s55, s54
	s_addc_u32 s1, s51, s54
	s_xor_b64 s[56:57], s[0:1], s[54:55]
	v_cvt_f32_u32_e32 v3, s56
	v_cvt_f32_u32_e32 v12, s57
	s_sub_u32 s0, 0, s56
	s_subb_u32 s1, 0, s57
	v_mac_f32_e32 v3, 0x4f800000, v12
	v_rcp_f32_e32 v3, v3
	v_mul_f32_e32 v3, 0x5f7ffffc, v3
	v_mul_f32_e32 v12, 0x2f800000, v3
	v_trunc_f32_e32 v12, v12
	v_mac_f32_e32 v3, 0xcf800000, v12
	v_cvt_u32_f32_e32 v12, v12
	v_cvt_u32_f32_e32 v3, v3
	v_mul_lo_u32 v13, s0, v12
	v_mul_hi_u32 v18, s0, v3
	v_mul_lo_u32 v17, s1, v3
	v_add_u32_e32 v13, v18, v13
	v_mul_lo_u32 v19, s0, v3
	v_add_u32_e32 v13, v13, v17
	v_mul_lo_u32 v18, v3, v13
	v_mul_hi_u32 v20, v3, v19
	v_mul_hi_u32 v17, v3, v13
	v_add_co_u32_e32 v18, vcc, v20, v18
	v_addc_co_u32_e32 v17, vcc, 0, v17, vcc
	v_mul_hi_u32 v21, v12, v19
	v_mul_lo_u32 v19, v12, v19
	v_add_co_u32_e32 v18, vcc, v18, v19
	v_mul_hi_u32 v20, v12, v13
	v_addc_co_u32_e32 v17, vcc, v17, v21, vcc
	v_addc_co_u32_e32 v18, vcc, 0, v20, vcc
	v_mul_lo_u32 v13, v12, v13
	v_add_co_u32_e32 v13, vcc, v17, v13
	v_addc_co_u32_e32 v17, vcc, 0, v18, vcc
	v_add_co_u32_e32 v3, vcc, v3, v13
	v_addc_co_u32_e32 v12, vcc, v12, v17, vcc
	v_mul_lo_u32 v13, s0, v12
	v_mul_hi_u32 v17, s0, v3
	v_add_u32_e32 v13, v17, v13
	v_mul_lo_u32 v17, s1, v3
	v_add_u32_e32 v13, v13, v17
	v_mul_lo_u32 v18, s0, v3
	v_mul_hi_u32 v19, v12, v18
	v_mul_lo_u32 v20, v12, v18
	v_mul_lo_u32 v22, v3, v13
	v_mul_hi_u32 v18, v3, v18
	v_mul_hi_u32 v21, v3, v13
	v_add_co_u32_e32 v18, vcc, v18, v22
	v_addc_co_u32_e32 v21, vcc, 0, v21, vcc
	v_add_co_u32_e32 v18, vcc, v18, v20
	v_mul_hi_u32 v17, v12, v13
	v_addc_co_u32_e32 v18, vcc, v21, v19, vcc
	v_addc_co_u32_e32 v17, vcc, 0, v17, vcc
	v_mul_lo_u32 v13, v12, v13
	v_add_co_u32_e32 v13, vcc, v18, v13
	v_addc_co_u32_e32 v17, vcc, 0, v17, vcc
	v_add_co_u32_e32 v3, vcc, v3, v13
	v_addc_co_u32_e32 v17, vcc, v12, v17, vcc
	v_ashrrev_i32_e32 v20, 31, v11
	v_add_co_u32_e32 v12, vcc, v10, v20
	v_addc_co_u32_e32 v13, vcc, v11, v20, vcc
	v_xor_b32_e32 v22, v12, v20
	v_xor_b32_e32 v21, v13, v20
	v_mad_u64_u32 v[12:13], s[0:1], v22, v17, 0
	v_mul_hi_u32 v18, v22, v3
	v_add_co_u32_e32 v23, vcc, v18, v12
	v_addc_co_u32_e32 v24, vcc, 0, v13, vcc
	v_mad_u64_u32 v[18:19], s[0:1], v21, v3, 0
	v_add_co_u32_e32 v3, vcc, v23, v18
	v_mad_u64_u32 v[12:13], s[0:1], v21, v17, 0
	v_addc_co_u32_e32 v3, vcc, v24, v19, vcc
	v_addc_co_u32_e32 v13, vcc, 0, v13, vcc
	v_add_co_u32_e32 v3, vcc, v3, v12
	v_addc_co_u32_e32 v17, vcc, 0, v13, vcc
	v_mul_lo_u32 v18, s57, v3
	v_mul_lo_u32 v19, s56, v17
	v_mad_u64_u32 v[12:13], s[0:1], s56, v3, 0
	v_add3_u32 v13, v13, v19, v18
	v_sub_u32_e32 v18, v21, v13
	v_mov_b32_e32 v19, s57
	v_sub_co_u32_e32 v12, vcc, v22, v12
	v_subb_co_u32_e64 v18, s[0:1], v18, v19, vcc
	v_subrev_co_u32_e64 v19, s[0:1], s56, v12
	v_subbrev_co_u32_e64 v18, s[0:1], 0, v18, s[0:1]
	v_cmp_le_u32_e64 s[0:1], s57, v18
	v_cndmask_b32_e64 v22, 0, -1, s[0:1]
	v_cmp_le_u32_e64 s[0:1], s56, v19
	v_cndmask_b32_e64 v19, 0, -1, s[0:1]
	v_cmp_eq_u32_e64 s[0:1], s57, v18
	v_cndmask_b32_e64 v18, v22, v19, s[0:1]
	v_add_co_u32_e64 v19, s[0:1], 2, v3
	v_subb_co_u32_e32 v13, vcc, v21, v13, vcc
	v_addc_co_u32_e64 v22, s[0:1], 0, v17, s[0:1]
	v_cmp_le_u32_e32 vcc, s57, v13
	v_add_co_u32_e64 v23, s[0:1], 1, v3
	v_cndmask_b32_e64 v21, 0, -1, vcc
	v_cmp_le_u32_e32 vcc, s56, v12
	v_addc_co_u32_e64 v24, s[0:1], 0, v17, s[0:1]
	v_cndmask_b32_e64 v12, 0, -1, vcc
	v_cmp_eq_u32_e32 vcc, s57, v13
	v_cmp_ne_u32_e64 s[0:1], 0, v18
	v_cndmask_b32_e32 v12, v21, v12, vcc
	v_cmp_ne_u32_e32 vcc, 0, v12
	v_cndmask_b32_e64 v13, v23, v19, s[0:1]
	v_cndmask_b32_e64 v18, v24, v22, s[0:1]
	v_cndmask_b32_e32 v3, v3, v13, vcc
	v_xor_b32_e32 v13, s54, v20
	v_cndmask_b32_e32 v12, v17, v18, vcc
	v_xor_b32_e32 v3, v3, v13
	v_xor_b32_e32 v17, v12, v13
	v_sub_co_u32_e32 v12, vcc, v3, v13
	v_subb_co_u32_e32 v13, vcc, v17, v13, vcc
.LBB19_30:                              ;   in Loop: Header=BB19_28 Depth=2
	s_andn2_saveexec_b64 s[0:1], s[52:53]
	s_cbranch_execz .LBB19_27
; %bb.31:                               ;   in Loop: Header=BB19_28 Depth=2
	v_cvt_f32_u32_e32 v3, s50
	s_sub_i32 s52, 0, s50
	v_rcp_iflag_f32_e32 v3, v3
	v_mul_f32_e32 v3, 0x4f7ffffe, v3
	v_cvt_u32_f32_e32 v3, v3
	v_mul_lo_u32 v12, s52, v3
	v_mul_hi_u32 v12, v3, v12
	v_add_u32_e32 v3, v3, v12
	v_mul_hi_u32 v3, v10, v3
	v_mul_lo_u32 v12, v3, s50
	v_sub_u32_e32 v12, v10, v12
	v_add_u32_e32 v13, 1, v3
	v_subrev_u32_e32 v17, s50, v12
	v_cmp_le_u32_e32 vcc, s50, v12
	v_cndmask_b32_e32 v12, v12, v17, vcc
	v_cndmask_b32_e32 v3, v3, v13, vcc
	v_add_u32_e32 v13, 1, v3
	v_cmp_le_u32_e32 vcc, s50, v12
	v_cndmask_b32_e32 v12, v3, v13, vcc
	v_mov_b32_e32 v13, v2
	s_branch .LBB19_27
.LBB19_32:
	s_endpgm
	.section	.rodata,"a",@progbits
	.p2align	6, 0x0
	.amdhsa_kernel _ZN2at6native16triu_tril_kernelIslLb0ELi4ELb0EEEvNS_4cuda6detail10TensorInfoIT_T0_EENS4_IKS5_S6_EEllS6_
		.amdhsa_group_segment_fixed_size 0
		.amdhsa_private_segment_fixed_size 0
		.amdhsa_kernarg_size 1112
		.amdhsa_user_sgpr_count 6
		.amdhsa_user_sgpr_private_segment_buffer 1
		.amdhsa_user_sgpr_dispatch_ptr 0
		.amdhsa_user_sgpr_queue_ptr 0
		.amdhsa_user_sgpr_kernarg_segment_ptr 1
		.amdhsa_user_sgpr_dispatch_id 0
		.amdhsa_user_sgpr_flat_scratch_init 0
		.amdhsa_user_sgpr_kernarg_preload_length 0
		.amdhsa_user_sgpr_kernarg_preload_offset 0
		.amdhsa_user_sgpr_private_segment_size 0
		.amdhsa_uses_dynamic_stack 0
		.amdhsa_system_sgpr_private_segment_wavefront_offset 0
		.amdhsa_system_sgpr_workgroup_id_x 1
		.amdhsa_system_sgpr_workgroup_id_y 0
		.amdhsa_system_sgpr_workgroup_id_z 0
		.amdhsa_system_sgpr_workgroup_info 0
		.amdhsa_system_vgpr_workitem_id 0
		.amdhsa_next_free_vgpr 25
		.amdhsa_next_free_sgpr 65
		.amdhsa_accum_offset 28
		.amdhsa_reserve_vcc 1
		.amdhsa_reserve_flat_scratch 0
		.amdhsa_float_round_mode_32 0
		.amdhsa_float_round_mode_16_64 0
		.amdhsa_float_denorm_mode_32 3
		.amdhsa_float_denorm_mode_16_64 3
		.amdhsa_dx10_clamp 1
		.amdhsa_ieee_mode 1
		.amdhsa_fp16_overflow 0
		.amdhsa_tg_split 0
		.amdhsa_exception_fp_ieee_invalid_op 0
		.amdhsa_exception_fp_denorm_src 0
		.amdhsa_exception_fp_ieee_div_zero 0
		.amdhsa_exception_fp_ieee_overflow 0
		.amdhsa_exception_fp_ieee_underflow 0
		.amdhsa_exception_fp_ieee_inexact 0
		.amdhsa_exception_int_div_zero 0
	.end_amdhsa_kernel
	.section	.text._ZN2at6native16triu_tril_kernelIslLb0ELi4ELb0EEEvNS_4cuda6detail10TensorInfoIT_T0_EENS4_IKS5_S6_EEllS6_,"axG",@progbits,_ZN2at6native16triu_tril_kernelIslLb0ELi4ELb0EEEvNS_4cuda6detail10TensorInfoIT_T0_EENS4_IKS5_S6_EEllS6_,comdat
.Lfunc_end19:
	.size	_ZN2at6native16triu_tril_kernelIslLb0ELi4ELb0EEEvNS_4cuda6detail10TensorInfoIT_T0_EENS4_IKS5_S6_EEllS6_, .Lfunc_end19-_ZN2at6native16triu_tril_kernelIslLb0ELi4ELb0EEEvNS_4cuda6detail10TensorInfoIT_T0_EENS4_IKS5_S6_EEllS6_
                                        ; -- End function
	.section	.AMDGPU.csdata,"",@progbits
; Kernel info:
; codeLenInByte = 3756
; NumSgprs: 69
; NumVgprs: 25
; NumAgprs: 0
; TotalNumVgprs: 25
; ScratchSize: 0
; MemoryBound: 0
; FloatMode: 240
; IeeeMode: 1
; LDSByteSize: 0 bytes/workgroup (compile time only)
; SGPRBlocks: 8
; VGPRBlocks: 3
; NumSGPRsForWavesPerEU: 69
; NumVGPRsForWavesPerEU: 25
; AccumOffset: 28
; Occupancy: 8
; WaveLimiterHint : 0
; COMPUTE_PGM_RSRC2:SCRATCH_EN: 0
; COMPUTE_PGM_RSRC2:USER_SGPR: 6
; COMPUTE_PGM_RSRC2:TRAP_HANDLER: 0
; COMPUTE_PGM_RSRC2:TGID_X_EN: 1
; COMPUTE_PGM_RSRC2:TGID_Y_EN: 0
; COMPUTE_PGM_RSRC2:TGID_Z_EN: 0
; COMPUTE_PGM_RSRC2:TIDIG_COMP_CNT: 0
; COMPUTE_PGM_RSRC3_GFX90A:ACCUM_OFFSET: 6
; COMPUTE_PGM_RSRC3_GFX90A:TG_SPLIT: 0
	.section	.text._ZN2at6native16triu_tril_kernelIdiLb0ELi2ELb1EEEvNS_4cuda6detail10TensorInfoIT_T0_EENS4_IKS5_S6_EEllS6_,"axG",@progbits,_ZN2at6native16triu_tril_kernelIdiLb0ELi2ELb1EEEvNS_4cuda6detail10TensorInfoIT_T0_EENS4_IKS5_S6_EEllS6_,comdat
	.protected	_ZN2at6native16triu_tril_kernelIdiLb0ELi2ELb1EEEvNS_4cuda6detail10TensorInfoIT_T0_EENS4_IKS5_S6_EEllS6_ ; -- Begin function _ZN2at6native16triu_tril_kernelIdiLb0ELi2ELb1EEEvNS_4cuda6detail10TensorInfoIT_T0_EENS4_IKS5_S6_EEllS6_
	.globl	_ZN2at6native16triu_tril_kernelIdiLb0ELi2ELb1EEEvNS_4cuda6detail10TensorInfoIT_T0_EENS4_IKS5_S6_EEllS6_
	.p2align	8
	.type	_ZN2at6native16triu_tril_kernelIdiLb0ELi2ELb1EEEvNS_4cuda6detail10TensorInfoIT_T0_EENS4_IKS5_S6_EEllS6_,@function
_ZN2at6native16triu_tril_kernelIdiLb0ELi2ELb1EEEvNS_4cuda6detail10TensorInfoIT_T0_EENS4_IKS5_S6_EEllS6_: ; @_ZN2at6native16triu_tril_kernelIdiLb0ELi2ELb1EEEvNS_4cuda6detail10TensorInfoIT_T0_EENS4_IKS5_S6_EEllS6_
; %bb.0:
	s_load_dword s2, s[4:5], 0x1d4
	s_load_dwordx4 s[8:11], s[4:5], 0x1b0
	s_add_u32 s0, s4, 0x1c8
	v_mov_b32_e32 v2, 0
	s_addc_u32 s1, s5, 0
	s_waitcnt lgkmcnt(0)
	s_and_b32 s7, s2, 0xffff
	v_mov_b32_e32 v1, v2
	v_mov_b32_e32 v3, s6
	v_mad_u64_u32 v[0:1], s[2:3], s7, v3, v[0:1]
	v_lshlrev_b64 v[0:1], 1, v[0:1]
	v_cmp_gt_i64_e32 vcc, s[10:11], v[0:1]
	s_and_saveexec_b64 s[2:3], vcc
	s_cbranch_execz .LBB20_63
; %bb.1:
	s_load_dword s33, s[4:5], 0x1c0
	s_load_dword s14, s[4:5], 0x1a8
	;; [unrolled: 1-line block ×3, first 2 shown]
	s_load_dwordx2 s[2:3], s[4:5], 0x0
	s_mov_b64 s[22:23], 0
	s_waitcnt lgkmcnt(0)
	s_ashr_i32 s38, s33, 31
	s_ashr_i32 s15, s14, 31
	s_add_u32 s39, s4, 0xe0
	s_addc_u32 s40, s5, 0
	s_add_i32 s0, s14, -2
	s_ashr_i32 s1, s0, 31
	s_lshl_b64 s[12:13], s[0:1], 2
	s_add_u32 s16, s39, s12
	s_addc_u32 s17, s40, s13
	s_load_dword s41, s[16:17], 0x0
	s_lshl_b64 s[16:17], s[14:15], 2
	s_mul_i32 s1, s6, s7
	v_cmp_gt_i64_e64 s[6:7], s[14:15], 2
	v_cvt_f32_u32_e32 v3, s33
	s_waitcnt lgkmcnt(0)
	s_ashr_i32 s42, s41, 31
	s_add_u32 s15, s16, -4
	s_addc_u32 s16, s17, -1
	s_add_u32 s43, s4, 0x6c
	s_addc_u32 s44, s5, 0
	s_add_u32 s4, s43, s15
	v_rcp_iflag_f32_e32 v3, v3
	s_addc_u32 s5, s44, s16
	s_add_u32 s12, s43, s12
	s_addc_u32 s13, s44, s13
	s_add_i32 s45, s14, -3
	s_add_u32 s14, s39, s15
	v_mul_f32_e32 v3, 0x4f7ffffe, v3
	s_addc_u32 s15, s40, s16
	s_lshl_b32 s46, s1, 1
	s_and_b32 s48, s0, 7
	v_cvt_u32_f32_e32 v26, v3
	s_cmp_lg_u32 s48, 0
	s_mov_b32 s17, 0
	s_cselect_b64 s[18:19], -1, 0
	s_cmp_gt_u32 s45, 6
	s_mov_b32 s47, s17
	s_cselect_b64 s[20:21], -1, 0
	s_branch .LBB20_3
.LBB20_2:                               ;   in Loop: Header=BB20_3 Depth=1
	s_or_b64 exec, exec, s[24:25]
	v_mov_b32_e32 v3, s47
	v_add_co_u32_e32 v0, vcc, s46, v0
	v_addc_co_u32_e32 v1, vcc, v1, v3, vcc
	v_cmp_le_i64_e32 vcc, s[10:11], v[0:1]
	s_or_b64 s[22:23], vcc, s[22:23]
	s_andn2_b64 exec, exec, s[22:23]
	s_cbranch_execz .LBB20_63
.LBB20_3:                               ; =>This Loop Header: Depth=1
                                        ;     Child Loop BB20_16 Depth 2
                                        ;     Child Loop BB20_23 Depth 2
	v_or_b32_e32 v3, s38, v1
	v_cmp_ne_u64_e32 vcc, 0, v[2:3]
                                        ; implicit-def: $vgpr4_vgpr5
	s_and_saveexec_b64 s[0:1], vcc
	s_xor_b64 s[24:25], exec, s[0:1]
	s_cbranch_execz .LBB20_5
; %bb.4:                                ;   in Loop: Header=BB20_3 Depth=1
	s_add_u32 s0, s33, s38
	s_mov_b32 s26, s38
	s_mov_b32 s27, s38
	s_addc_u32 s1, s38, s38
	s_xor_b64 s[28:29], s[0:1], s[26:27]
	v_cvt_f32_u32_e32 v3, s28
	v_cvt_f32_u32_e32 v4, s29
	s_sub_u32 s0, 0, s28
	s_subb_u32 s1, 0, s29
	v_mac_f32_e32 v3, 0x4f800000, v4
	v_rcp_f32_e32 v3, v3
	v_mul_f32_e32 v3, 0x5f7ffffc, v3
	v_mul_f32_e32 v4, 0x2f800000, v3
	v_trunc_f32_e32 v4, v4
	v_mac_f32_e32 v3, 0xcf800000, v4
	v_cvt_u32_f32_e32 v4, v4
	v_cvt_u32_f32_e32 v3, v3
	v_mul_lo_u32 v5, s0, v4
	v_mul_hi_u32 v7, s0, v3
	v_mul_lo_u32 v6, s1, v3
	v_add_u32_e32 v5, v7, v5
	v_mul_lo_u32 v8, s0, v3
	v_add_u32_e32 v5, v5, v6
	v_mul_lo_u32 v7, v3, v5
	v_mul_hi_u32 v9, v3, v8
	v_mul_hi_u32 v6, v3, v5
	v_add_co_u32_e32 v7, vcc, v9, v7
	v_addc_co_u32_e32 v6, vcc, 0, v6, vcc
	v_mul_hi_u32 v10, v4, v8
	v_mul_lo_u32 v8, v4, v8
	v_add_co_u32_e32 v7, vcc, v7, v8
	v_mul_hi_u32 v9, v4, v5
	v_addc_co_u32_e32 v6, vcc, v6, v10, vcc
	v_addc_co_u32_e32 v7, vcc, 0, v9, vcc
	v_mul_lo_u32 v5, v4, v5
	v_add_co_u32_e32 v5, vcc, v6, v5
	v_addc_co_u32_e32 v6, vcc, 0, v7, vcc
	v_add_co_u32_e32 v3, vcc, v3, v5
	v_addc_co_u32_e32 v4, vcc, v4, v6, vcc
	v_mul_lo_u32 v5, s0, v4
	v_mul_hi_u32 v6, s0, v3
	v_add_u32_e32 v5, v6, v5
	v_mul_lo_u32 v6, s1, v3
	v_add_u32_e32 v5, v5, v6
	v_mul_lo_u32 v7, s0, v3
	v_mul_hi_u32 v8, v4, v7
	v_mul_lo_u32 v9, v4, v7
	v_mul_lo_u32 v11, v3, v5
	v_mul_hi_u32 v7, v3, v7
	v_mul_hi_u32 v10, v3, v5
	v_add_co_u32_e32 v7, vcc, v7, v11
	v_addc_co_u32_e32 v10, vcc, 0, v10, vcc
	v_add_co_u32_e32 v7, vcc, v7, v9
	v_mul_hi_u32 v6, v4, v5
	v_addc_co_u32_e32 v7, vcc, v10, v8, vcc
	v_addc_co_u32_e32 v6, vcc, 0, v6, vcc
	v_mul_lo_u32 v5, v4, v5
	v_add_co_u32_e32 v5, vcc, v7, v5
	v_addc_co_u32_e32 v6, vcc, 0, v6, vcc
	v_add_co_u32_e32 v3, vcc, v3, v5
	v_addc_co_u32_e32 v6, vcc, v4, v6, vcc
	v_ashrrev_i32_e32 v8, 31, v1
	v_add_co_u32_e32 v4, vcc, v0, v8
	v_addc_co_u32_e32 v5, vcc, v1, v8, vcc
	v_xor_b32_e32 v10, v4, v8
	v_xor_b32_e32 v9, v5, v8
	v_mad_u64_u32 v[4:5], s[0:1], v10, v6, 0
	v_mul_hi_u32 v7, v10, v3
	v_add_co_u32_e32 v11, vcc, v7, v4
	v_addc_co_u32_e32 v12, vcc, 0, v5, vcc
	v_mad_u64_u32 v[4:5], s[0:1], v9, v6, 0
	v_mad_u64_u32 v[6:7], s[0:1], v9, v3, 0
	v_add_co_u32_e32 v3, vcc, v11, v6
	v_addc_co_u32_e32 v3, vcc, v12, v7, vcc
	v_addc_co_u32_e32 v5, vcc, 0, v5, vcc
	v_add_co_u32_e32 v3, vcc, v3, v4
	v_addc_co_u32_e32 v6, vcc, 0, v5, vcc
	v_mul_lo_u32 v7, s29, v3
	v_mul_lo_u32 v11, s28, v6
	v_mad_u64_u32 v[4:5], s[0:1], s28, v3, 0
	v_add3_u32 v5, v5, v11, v7
	v_sub_u32_e32 v7, v9, v5
	v_mov_b32_e32 v11, s29
	v_sub_co_u32_e32 v4, vcc, v10, v4
	v_subb_co_u32_e64 v7, s[0:1], v7, v11, vcc
	v_subrev_co_u32_e64 v10, s[0:1], s28, v4
	v_subbrev_co_u32_e64 v7, s[0:1], 0, v7, s[0:1]
	v_cmp_le_u32_e64 s[0:1], s29, v7
	v_cndmask_b32_e64 v11, 0, -1, s[0:1]
	v_cmp_le_u32_e64 s[0:1], s28, v10
	v_cndmask_b32_e64 v10, 0, -1, s[0:1]
	v_cmp_eq_u32_e64 s[0:1], s29, v7
	v_cndmask_b32_e64 v7, v11, v10, s[0:1]
	v_add_co_u32_e64 v10, s[0:1], 2, v3
	v_subb_co_u32_e32 v5, vcc, v9, v5, vcc
	v_addc_co_u32_e64 v11, s[0:1], 0, v6, s[0:1]
	v_cmp_le_u32_e32 vcc, s29, v5
	v_add_co_u32_e64 v12, s[0:1], 1, v3
	v_cndmask_b32_e64 v9, 0, -1, vcc
	v_cmp_le_u32_e32 vcc, s28, v4
	v_addc_co_u32_e64 v13, s[0:1], 0, v6, s[0:1]
	v_cndmask_b32_e64 v4, 0, -1, vcc
	v_cmp_eq_u32_e32 vcc, s29, v5
	v_cmp_ne_u32_e64 s[0:1], 0, v7
	v_cndmask_b32_e32 v4, v9, v4, vcc
	v_cndmask_b32_e64 v7, v13, v11, s[0:1]
	v_cmp_ne_u32_e32 vcc, 0, v4
	v_cndmask_b32_e64 v5, v12, v10, s[0:1]
	v_cndmask_b32_e32 v4, v6, v7, vcc
	v_cndmask_b32_e32 v3, v3, v5, vcc
	v_xor_b32_e32 v6, s26, v8
	v_xor_b32_e32 v5, s27, v8
	;; [unrolled: 1-line block ×4, first 2 shown]
	v_sub_co_u32_e32 v4, vcc, v3, v6
	v_subb_co_u32_e32 v5, vcc, v7, v5, vcc
.LBB20_5:                               ;   in Loop: Header=BB20_3 Depth=1
	s_andn2_saveexec_b64 s[0:1], s[24:25]
	s_cbranch_execz .LBB20_7
; %bb.6:                                ;   in Loop: Header=BB20_3 Depth=1
	s_sub_i32 s16, 0, s33
	v_mul_lo_u32 v3, s16, v26
	v_mul_hi_u32 v3, v26, v3
	v_add_u32_e32 v3, v26, v3
	v_mul_hi_u32 v3, v0, v3
	v_mul_lo_u32 v4, v3, s33
	v_sub_u32_e32 v4, v0, v4
	v_subrev_u32_e32 v5, s33, v4
	v_cmp_le_u32_e32 vcc, s33, v4
	v_cndmask_b32_e32 v4, v4, v5, vcc
	v_add_u32_e32 v5, 1, v3
	v_cndmask_b32_e32 v3, v3, v5, vcc
	v_add_u32_e32 v5, 1, v3
	v_cmp_le_u32_e32 vcc, s33, v4
	v_cndmask_b32_e32 v4, v3, v5, vcc
	v_mov_b32_e32 v5, v2
.LBB20_7:                               ;   in Loop: Header=BB20_3 Depth=1
	s_or_b64 exec, exec, s[0:1]
	v_or_b32_e32 v3, s42, v5
	v_cmp_ne_u64_e32 vcc, 0, v[2:3]
                                        ; implicit-def: $vgpr8_vgpr9
	s_and_saveexec_b64 s[0:1], vcc
	s_xor_b64 s[24:25], exec, s[0:1]
	s_cbranch_execz .LBB20_9
; %bb.8:                                ;   in Loop: Header=BB20_3 Depth=1
	s_add_u32 s0, s41, s42
	s_mov_b32 s26, s42
	s_mov_b32 s27, s42
	s_addc_u32 s1, s42, s42
	s_xor_b64 s[28:29], s[0:1], s[26:27]
	v_cvt_f32_u32_e32 v3, s28
	v_cvt_f32_u32_e32 v6, s29
	s_sub_u32 s0, 0, s28
	s_subb_u32 s1, 0, s29
	v_mac_f32_e32 v3, 0x4f800000, v6
	v_rcp_f32_e32 v3, v3
	v_mul_f32_e32 v3, 0x5f7ffffc, v3
	v_mul_f32_e32 v6, 0x2f800000, v3
	v_trunc_f32_e32 v6, v6
	v_mac_f32_e32 v3, 0xcf800000, v6
	v_cvt_u32_f32_e32 v6, v6
	v_cvt_u32_f32_e32 v3, v3
	v_mul_lo_u32 v7, s0, v6
	v_mul_hi_u32 v9, s0, v3
	v_mul_lo_u32 v8, s1, v3
	v_add_u32_e32 v7, v9, v7
	v_mul_lo_u32 v10, s0, v3
	v_add_u32_e32 v7, v7, v8
	v_mul_lo_u32 v9, v3, v7
	v_mul_hi_u32 v11, v3, v10
	v_mul_hi_u32 v8, v3, v7
	v_add_co_u32_e32 v9, vcc, v11, v9
	v_addc_co_u32_e32 v8, vcc, 0, v8, vcc
	v_mul_hi_u32 v12, v6, v10
	v_mul_lo_u32 v10, v6, v10
	v_add_co_u32_e32 v9, vcc, v9, v10
	v_mul_hi_u32 v11, v6, v7
	v_addc_co_u32_e32 v8, vcc, v8, v12, vcc
	v_addc_co_u32_e32 v9, vcc, 0, v11, vcc
	v_mul_lo_u32 v7, v6, v7
	v_add_co_u32_e32 v7, vcc, v8, v7
	v_addc_co_u32_e32 v8, vcc, 0, v9, vcc
	v_add_co_u32_e32 v3, vcc, v3, v7
	v_addc_co_u32_e32 v6, vcc, v6, v8, vcc
	v_mul_lo_u32 v7, s0, v6
	v_mul_hi_u32 v8, s0, v3
	v_add_u32_e32 v7, v8, v7
	v_mul_lo_u32 v8, s1, v3
	v_add_u32_e32 v7, v7, v8
	v_mul_lo_u32 v9, s0, v3
	v_mul_hi_u32 v10, v6, v9
	v_mul_lo_u32 v11, v6, v9
	v_mul_lo_u32 v13, v3, v7
	v_mul_hi_u32 v9, v3, v9
	v_mul_hi_u32 v12, v3, v7
	v_add_co_u32_e32 v9, vcc, v9, v13
	v_addc_co_u32_e32 v12, vcc, 0, v12, vcc
	v_add_co_u32_e32 v9, vcc, v9, v11
	v_mul_hi_u32 v8, v6, v7
	v_addc_co_u32_e32 v9, vcc, v12, v10, vcc
	v_addc_co_u32_e32 v8, vcc, 0, v8, vcc
	v_mul_lo_u32 v7, v6, v7
	v_add_co_u32_e32 v7, vcc, v9, v7
	v_addc_co_u32_e32 v8, vcc, 0, v8, vcc
	v_add_co_u32_e32 v3, vcc, v3, v7
	v_addc_co_u32_e32 v8, vcc, v6, v8, vcc
	v_ashrrev_i32_e32 v10, 31, v5
	v_add_co_u32_e32 v6, vcc, v4, v10
	v_xor_b32_e32 v11, v6, v10
	v_addc_co_u32_e32 v5, vcc, v5, v10, vcc
	v_mad_u64_u32 v[6:7], s[0:1], v11, v8, 0
	v_mul_hi_u32 v9, v11, v3
	v_xor_b32_e32 v5, v5, v10
	v_add_co_u32_e32 v12, vcc, v9, v6
	v_addc_co_u32_e32 v13, vcc, 0, v7, vcc
	v_mad_u64_u32 v[6:7], s[0:1], v5, v8, 0
	v_mad_u64_u32 v[8:9], s[0:1], v5, v3, 0
	v_add_co_u32_e32 v3, vcc, v12, v8
	v_addc_co_u32_e32 v3, vcc, v13, v9, vcc
	v_addc_co_u32_e32 v7, vcc, 0, v7, vcc
	v_add_co_u32_e32 v3, vcc, v3, v6
	v_addc_co_u32_e32 v8, vcc, 0, v7, vcc
	v_mul_lo_u32 v9, s29, v3
	v_mul_lo_u32 v12, s28, v8
	v_mad_u64_u32 v[6:7], s[0:1], s28, v3, 0
	v_add3_u32 v7, v7, v12, v9
	v_sub_u32_e32 v9, v5, v7
	v_mov_b32_e32 v12, s29
	v_sub_co_u32_e32 v6, vcc, v11, v6
	v_subb_co_u32_e64 v9, s[0:1], v9, v12, vcc
	v_subrev_co_u32_e64 v11, s[0:1], s28, v6
	v_subbrev_co_u32_e64 v9, s[0:1], 0, v9, s[0:1]
	v_cmp_le_u32_e64 s[0:1], s29, v9
	v_cndmask_b32_e64 v12, 0, -1, s[0:1]
	v_cmp_le_u32_e64 s[0:1], s28, v11
	v_cndmask_b32_e64 v11, 0, -1, s[0:1]
	v_cmp_eq_u32_e64 s[0:1], s29, v9
	v_cndmask_b32_e64 v9, v12, v11, s[0:1]
	v_add_co_u32_e64 v11, s[0:1], 2, v3
	v_subb_co_u32_e32 v5, vcc, v5, v7, vcc
	v_addc_co_u32_e64 v12, s[0:1], 0, v8, s[0:1]
	v_cmp_le_u32_e32 vcc, s29, v5
	v_add_co_u32_e64 v13, s[0:1], 1, v3
	v_cndmask_b32_e64 v7, 0, -1, vcc
	v_cmp_le_u32_e32 vcc, s28, v6
	v_addc_co_u32_e64 v14, s[0:1], 0, v8, s[0:1]
	v_cndmask_b32_e64 v6, 0, -1, vcc
	v_cmp_eq_u32_e32 vcc, s29, v5
	v_cmp_ne_u32_e64 s[0:1], 0, v9
	v_cndmask_b32_e32 v5, v7, v6, vcc
	v_cmp_ne_u32_e32 vcc, 0, v5
	v_cndmask_b32_e64 v6, v13, v11, s[0:1]
	v_cndmask_b32_e64 v9, v14, v12, s[0:1]
	v_cndmask_b32_e32 v3, v3, v6, vcc
	v_xor_b32_e32 v7, s26, v10
	v_cndmask_b32_e32 v5, v8, v9, vcc
	v_xor_b32_e32 v6, s27, v10
	v_xor_b32_e32 v3, v3, v7
	;; [unrolled: 1-line block ×3, first 2 shown]
	v_sub_co_u32_e32 v8, vcc, v3, v7
	v_subb_co_u32_e32 v9, vcc, v5, v6, vcc
.LBB20_9:                               ;   in Loop: Header=BB20_3 Depth=1
	s_andn2_saveexec_b64 s[0:1], s[24:25]
	s_cbranch_execz .LBB20_11
; %bb.10:                               ;   in Loop: Header=BB20_3 Depth=1
	v_cvt_f32_u32_e32 v3, s41
	s_sub_i32 s16, 0, s41
	v_mov_b32_e32 v9, v2
	v_rcp_iflag_f32_e32 v3, v3
	v_mul_f32_e32 v3, 0x4f7ffffe, v3
	v_cvt_u32_f32_e32 v3, v3
	v_mul_lo_u32 v5, s16, v3
	v_mul_hi_u32 v5, v3, v5
	v_add_u32_e32 v3, v3, v5
	v_mul_hi_u32 v3, v4, v3
	v_mul_lo_u32 v5, v3, s41
	v_sub_u32_e32 v5, v4, v5
	v_add_u32_e32 v6, 1, v3
	v_subrev_u32_e32 v7, s41, v5
	v_cmp_le_u32_e32 vcc, s41, v5
	v_cndmask_b32_e32 v5, v5, v7, vcc
	v_cndmask_b32_e32 v3, v3, v6, vcc
	v_add_u32_e32 v6, 1, v3
	v_cmp_le_u32_e32 vcc, s41, v5
	v_cndmask_b32_e32 v8, v3, v6, vcc
.LBB20_11:                              ;   in Loop: Header=BB20_3 Depth=1
	s_or_b64 exec, exec, s[0:1]
	v_mad_u64_u32 v[6:7], s[0:1], v4, s33, 0
	v_sub_co_u32_e32 v28, vcc, v0, v6
	v_mad_u64_u32 v[6:7], s[0:1], v8, s41, 0
	v_sub_co_u32_e32 v27, vcc, v4, v6
	v_sub_u32_e32 v4, v28, v27
	v_add_u32_e32 v6, 2, v4
	v_ashrrev_i32_e32 v7, 31, v6
	v_cmp_lt_i64_e32 vcc, s[8:9], v[6:7]
	s_and_saveexec_b64 s[24:25], vcc
	s_cbranch_execz .LBB20_2
; %bb.12:                               ;   in Loop: Header=BB20_3 Depth=1
	s_load_dword s49, s[4:5], 0x0
	s_load_dword s0, s[12:13], 0x0
	s_andn2_b64 vcc, exec, s[6:7]
	s_waitcnt lgkmcnt(0)
	v_mul_lo_u32 v6, s49, v28
	v_mad_u64_u32 v[6:7], s[0:1], s0, v27, v[6:7]
	s_cbranch_vccnz .LBB20_57
; %bb.13:                               ;   in Loop: Header=BB20_3 Depth=1
	s_andn2_b64 vcc, exec, s[18:19]
	s_cbranch_vccnz .LBB20_20
; %bb.14:                               ;   in Loop: Header=BB20_3 Depth=1
	s_mov_b32 s36, s48
	s_mov_b32 s16, s45
	s_branch .LBB20_16
.LBB20_15:                              ;   in Loop: Header=BB20_16 Depth=2
	s_or_b64 exec, exec, s[0:1]
	s_add_u32 s0, s43, s26
	s_addc_u32 s1, s44, s27
	s_load_dword s0, s[0:1], 0x0
	v_mul_lo_u32 v3, v8, s37
	v_sub_u32_e32 v3, v10, v3
	s_add_i32 s16, s16, -1
	s_add_i32 s36, s36, -1
	s_cmp_lg_u32 s36, 0
	s_waitcnt lgkmcnt(0)
	v_mad_u64_u32 v[6:7], s[0:1], s0, v3, v[6:7]
	s_cbranch_scc0 .LBB20_21
.LBB20_16:                              ;   Parent Loop BB20_3 Depth=1
                                        ; =>  This Inner Loop Header: Depth=2
	s_lshl_b64 s[26:27], s[16:17], 2
	s_add_u32 s0, s39, s26
	s_addc_u32 s1, s40, s27
	s_load_dword s37, s[0:1], 0x0
	v_pk_mov_b32 v[10:11], v[8:9], v[8:9] op_sel:[0,1]
                                        ; implicit-def: $vgpr8_vgpr9
	s_waitcnt lgkmcnt(0)
	s_ashr_i32 s0, s37, 31
	v_or_b32_e32 v3, s0, v11
	v_cmp_ne_u64_e32 vcc, 0, v[2:3]
	s_and_saveexec_b64 s[28:29], vcc
	s_xor_b64 s[28:29], exec, s[28:29]
	s_cbranch_execz .LBB20_18
; %bb.17:                               ;   in Loop: Header=BB20_16 Depth=2
	s_add_u32 s34, s37, s0
	s_mov_b32 s30, s0
	s_mov_b32 s31, s0
	s_addc_u32 s35, s0, s0
	s_xor_b64 s[34:35], s[34:35], s[30:31]
	v_cvt_f32_u32_e32 v3, s34
	v_cvt_f32_u32_e32 v5, s35
	s_sub_u32 s0, 0, s34
	s_subb_u32 s1, 0, s35
	v_mac_f32_e32 v3, 0x4f800000, v5
	v_rcp_f32_e32 v3, v3
	v_mul_f32_e32 v3, 0x5f7ffffc, v3
	v_mul_f32_e32 v5, 0x2f800000, v3
	v_trunc_f32_e32 v5, v5
	v_mac_f32_e32 v3, 0xcf800000, v5
	v_cvt_u32_f32_e32 v5, v5
	v_cvt_u32_f32_e32 v3, v3
	v_mul_lo_u32 v7, s0, v5
	v_mul_hi_u32 v9, s0, v3
	v_mul_lo_u32 v8, s1, v3
	v_add_u32_e32 v7, v9, v7
	v_mul_lo_u32 v12, s0, v3
	v_add_u32_e32 v7, v7, v8
	v_mul_lo_u32 v9, v3, v7
	v_mul_hi_u32 v13, v3, v12
	v_mul_hi_u32 v8, v3, v7
	v_add_co_u32_e32 v9, vcc, v13, v9
	v_addc_co_u32_e32 v8, vcc, 0, v8, vcc
	v_mul_hi_u32 v14, v5, v12
	v_mul_lo_u32 v12, v5, v12
	v_add_co_u32_e32 v9, vcc, v9, v12
	v_mul_hi_u32 v13, v5, v7
	v_addc_co_u32_e32 v8, vcc, v8, v14, vcc
	v_addc_co_u32_e32 v9, vcc, 0, v13, vcc
	v_mul_lo_u32 v7, v5, v7
	v_add_co_u32_e32 v7, vcc, v8, v7
	v_addc_co_u32_e32 v8, vcc, 0, v9, vcc
	v_add_co_u32_e32 v3, vcc, v3, v7
	v_addc_co_u32_e32 v5, vcc, v5, v8, vcc
	v_mul_lo_u32 v7, s0, v5
	v_mul_hi_u32 v8, s0, v3
	v_add_u32_e32 v7, v8, v7
	v_mul_lo_u32 v8, s1, v3
	v_add_u32_e32 v7, v7, v8
	v_mul_lo_u32 v9, s0, v3
	v_mul_hi_u32 v12, v5, v9
	v_mul_lo_u32 v13, v5, v9
	v_mul_lo_u32 v15, v3, v7
	v_mul_hi_u32 v9, v3, v9
	v_mul_hi_u32 v14, v3, v7
	v_add_co_u32_e32 v9, vcc, v9, v15
	v_addc_co_u32_e32 v14, vcc, 0, v14, vcc
	v_add_co_u32_e32 v9, vcc, v9, v13
	v_mul_hi_u32 v8, v5, v7
	v_addc_co_u32_e32 v9, vcc, v14, v12, vcc
	v_addc_co_u32_e32 v8, vcc, 0, v8, vcc
	v_mul_lo_u32 v7, v5, v7
	v_add_co_u32_e32 v7, vcc, v9, v7
	v_addc_co_u32_e32 v8, vcc, 0, v8, vcc
	v_add_co_u32_e32 v3, vcc, v3, v7
	v_addc_co_u32_e32 v5, vcc, v5, v8, vcc
	v_ashrrev_i32_e32 v7, 31, v11
	v_add_co_u32_e32 v8, vcc, v10, v7
	v_addc_co_u32_e32 v9, vcc, v11, v7, vcc
	v_xor_b32_e32 v14, v8, v7
	v_xor_b32_e32 v11, v9, v7
	v_mad_u64_u32 v[8:9], s[0:1], v14, v5, 0
	v_mul_hi_u32 v12, v14, v3
	v_add_co_u32_e32 v15, vcc, v12, v8
	v_addc_co_u32_e32 v16, vcc, 0, v9, vcc
	v_mad_u64_u32 v[12:13], s[0:1], v11, v3, 0
	v_add_co_u32_e32 v3, vcc, v15, v12
	v_mad_u64_u32 v[8:9], s[0:1], v11, v5, 0
	v_addc_co_u32_e32 v3, vcc, v16, v13, vcc
	v_addc_co_u32_e32 v5, vcc, 0, v9, vcc
	v_add_co_u32_e32 v3, vcc, v3, v8
	v_addc_co_u32_e32 v5, vcc, 0, v5, vcc
	v_mul_lo_u32 v12, s35, v3
	v_mul_lo_u32 v13, s34, v5
	v_mad_u64_u32 v[8:9], s[0:1], s34, v3, 0
	v_add3_u32 v9, v9, v13, v12
	v_sub_u32_e32 v12, v11, v9
	v_mov_b32_e32 v13, s35
	v_sub_co_u32_e32 v8, vcc, v14, v8
	v_subb_co_u32_e64 v12, s[0:1], v12, v13, vcc
	v_subrev_co_u32_e64 v13, s[0:1], s34, v8
	v_subbrev_co_u32_e64 v12, s[0:1], 0, v12, s[0:1]
	v_cmp_le_u32_e64 s[0:1], s35, v12
	v_cndmask_b32_e64 v14, 0, -1, s[0:1]
	v_cmp_le_u32_e64 s[0:1], s34, v13
	v_cndmask_b32_e64 v13, 0, -1, s[0:1]
	v_cmp_eq_u32_e64 s[0:1], s35, v12
	v_cndmask_b32_e64 v12, v14, v13, s[0:1]
	v_add_co_u32_e64 v13, s[0:1], 2, v3
	v_subb_co_u32_e32 v9, vcc, v11, v9, vcc
	v_addc_co_u32_e64 v14, s[0:1], 0, v5, s[0:1]
	v_cmp_le_u32_e32 vcc, s35, v9
	v_add_co_u32_e64 v15, s[0:1], 1, v3
	v_cndmask_b32_e64 v11, 0, -1, vcc
	v_cmp_le_u32_e32 vcc, s34, v8
	v_addc_co_u32_e64 v16, s[0:1], 0, v5, s[0:1]
	v_cndmask_b32_e64 v8, 0, -1, vcc
	v_cmp_eq_u32_e32 vcc, s35, v9
	v_cmp_ne_u32_e64 s[0:1], 0, v12
	v_cndmask_b32_e32 v8, v11, v8, vcc
	v_cmp_ne_u32_e32 vcc, 0, v8
	v_cndmask_b32_e64 v8, v15, v13, s[0:1]
	v_cndmask_b32_e64 v12, v16, v14, s[0:1]
	v_cndmask_b32_e32 v3, v3, v8, vcc
	v_xor_b32_e32 v9, s31, v7
	v_xor_b32_e32 v7, s30, v7
	v_cndmask_b32_e32 v5, v5, v12, vcc
	v_xor_b32_e32 v3, v3, v7
	v_xor_b32_e32 v5, v5, v9
	v_sub_co_u32_e32 v8, vcc, v3, v7
	v_subb_co_u32_e32 v9, vcc, v5, v9, vcc
.LBB20_18:                              ;   in Loop: Header=BB20_16 Depth=2
	s_andn2_saveexec_b64 s[0:1], s[28:29]
	s_cbranch_execz .LBB20_15
; %bb.19:                               ;   in Loop: Header=BB20_16 Depth=2
	v_cvt_f32_u32_e32 v3, s37
	s_sub_i32 s28, 0, s37
	v_mov_b32_e32 v9, v2
	v_rcp_iflag_f32_e32 v3, v3
	v_mul_f32_e32 v3, 0x4f7ffffe, v3
	v_cvt_u32_f32_e32 v3, v3
	v_mul_lo_u32 v5, s28, v3
	v_mul_hi_u32 v5, v3, v5
	v_add_u32_e32 v3, v3, v5
	v_mul_hi_u32 v3, v10, v3
	v_mul_lo_u32 v5, v3, s37
	v_sub_u32_e32 v5, v10, v5
	v_add_u32_e32 v7, 1, v3
	v_subrev_u32_e32 v8, s37, v5
	v_cmp_le_u32_e32 vcc, s37, v5
	v_cndmask_b32_e32 v5, v5, v8, vcc
	v_cndmask_b32_e32 v3, v3, v7, vcc
	v_add_u32_e32 v7, 1, v3
	v_cmp_le_u32_e32 vcc, s37, v5
	v_cndmask_b32_e32 v8, v3, v7, vcc
	s_branch .LBB20_15
.LBB20_20:                              ;   in Loop: Header=BB20_3 Depth=1
	s_mov_b32 s16, s45
.LBB20_21:                              ;   in Loop: Header=BB20_3 Depth=1
	s_andn2_b64 vcc, exec, s[20:21]
	s_cbranch_vccnz .LBB20_57
; %bb.22:                               ;   in Loop: Header=BB20_3 Depth=1
	s_add_i32 s26, s16, -7
.LBB20_23:                              ;   Parent Loop BB20_3 Depth=1
                                        ; =>  This Inner Loop Header: Depth=2
	s_add_i32 s16, s26, 7
	s_lshl_b64 s[28:29], s[16:17], 2
	s_add_u32 s0, s39, s28
	s_addc_u32 s1, s40, s29
	s_load_dword s50, s[0:1], 0x0
                                        ; implicit-def: $vgpr10_vgpr11
	s_waitcnt lgkmcnt(0)
	s_ashr_i32 s0, s50, 31
	v_or_b32_e32 v3, s0, v9
	v_cmp_ne_u64_e32 vcc, 0, v[2:3]
	s_and_saveexec_b64 s[30:31], vcc
	s_xor_b64 s[30:31], exec, s[30:31]
	s_cbranch_execz .LBB20_25
; %bb.24:                               ;   in Loop: Header=BB20_23 Depth=2
	s_add_u32 s36, s50, s0
	s_mov_b32 s34, s0
	s_mov_b32 s35, s0
	s_addc_u32 s37, s0, s0
	s_xor_b64 s[36:37], s[36:37], s[34:35]
	v_cvt_f32_u32_e32 v3, s36
	v_cvt_f32_u32_e32 v5, s37
	s_sub_u32 s0, 0, s36
	s_subb_u32 s1, 0, s37
	v_mac_f32_e32 v3, 0x4f800000, v5
	v_rcp_f32_e32 v3, v3
	v_mul_f32_e32 v3, 0x5f7ffffc, v3
	v_mul_f32_e32 v5, 0x2f800000, v3
	v_trunc_f32_e32 v5, v5
	v_mac_f32_e32 v3, 0xcf800000, v5
	v_cvt_u32_f32_e32 v5, v5
	v_cvt_u32_f32_e32 v3, v3
	v_mul_lo_u32 v7, s0, v5
	v_mul_hi_u32 v11, s0, v3
	v_mul_lo_u32 v10, s1, v3
	v_add_u32_e32 v7, v11, v7
	v_mul_lo_u32 v12, s0, v3
	v_add_u32_e32 v7, v7, v10
	v_mul_lo_u32 v11, v3, v7
	v_mul_hi_u32 v13, v3, v12
	v_mul_hi_u32 v10, v3, v7
	v_add_co_u32_e32 v11, vcc, v13, v11
	v_addc_co_u32_e32 v10, vcc, 0, v10, vcc
	v_mul_hi_u32 v14, v5, v12
	v_mul_lo_u32 v12, v5, v12
	v_add_co_u32_e32 v11, vcc, v11, v12
	v_mul_hi_u32 v13, v5, v7
	v_addc_co_u32_e32 v10, vcc, v10, v14, vcc
	v_addc_co_u32_e32 v11, vcc, 0, v13, vcc
	v_mul_lo_u32 v7, v5, v7
	v_add_co_u32_e32 v7, vcc, v10, v7
	v_addc_co_u32_e32 v10, vcc, 0, v11, vcc
	v_add_co_u32_e32 v3, vcc, v3, v7
	v_addc_co_u32_e32 v5, vcc, v5, v10, vcc
	v_mul_lo_u32 v7, s0, v5
	v_mul_hi_u32 v10, s0, v3
	v_add_u32_e32 v7, v10, v7
	v_mul_lo_u32 v10, s1, v3
	v_add_u32_e32 v7, v7, v10
	v_mul_lo_u32 v11, s0, v3
	v_mul_hi_u32 v12, v5, v11
	v_mul_lo_u32 v13, v5, v11
	v_mul_lo_u32 v15, v3, v7
	v_mul_hi_u32 v11, v3, v11
	v_mul_hi_u32 v14, v3, v7
	v_add_co_u32_e32 v11, vcc, v11, v15
	v_addc_co_u32_e32 v14, vcc, 0, v14, vcc
	v_add_co_u32_e32 v11, vcc, v11, v13
	v_mul_hi_u32 v10, v5, v7
	v_addc_co_u32_e32 v11, vcc, v14, v12, vcc
	v_addc_co_u32_e32 v10, vcc, 0, v10, vcc
	v_mul_lo_u32 v7, v5, v7
	v_add_co_u32_e32 v7, vcc, v11, v7
	v_addc_co_u32_e32 v10, vcc, 0, v10, vcc
	v_add_co_u32_e32 v3, vcc, v3, v7
	v_addc_co_u32_e32 v5, vcc, v5, v10, vcc
	v_ashrrev_i32_e32 v7, 31, v9
	v_add_co_u32_e32 v10, vcc, v8, v7
	v_xor_b32_e32 v14, v10, v7
	v_addc_co_u32_e32 v9, vcc, v9, v7, vcc
	v_mad_u64_u32 v[10:11], s[0:1], v14, v5, 0
	v_mul_hi_u32 v12, v14, v3
	v_xor_b32_e32 v9, v9, v7
	v_add_co_u32_e32 v15, vcc, v12, v10
	v_addc_co_u32_e32 v16, vcc, 0, v11, vcc
	v_mad_u64_u32 v[12:13], s[0:1], v9, v3, 0
	v_add_co_u32_e32 v3, vcc, v15, v12
	v_mad_u64_u32 v[10:11], s[0:1], v9, v5, 0
	v_addc_co_u32_e32 v3, vcc, v16, v13, vcc
	v_addc_co_u32_e32 v5, vcc, 0, v11, vcc
	v_add_co_u32_e32 v3, vcc, v3, v10
	v_addc_co_u32_e32 v5, vcc, 0, v5, vcc
	v_mul_lo_u32 v12, s37, v3
	v_mul_lo_u32 v13, s36, v5
	v_mad_u64_u32 v[10:11], s[0:1], s36, v3, 0
	v_add3_u32 v11, v11, v13, v12
	v_sub_u32_e32 v12, v9, v11
	v_mov_b32_e32 v13, s37
	v_sub_co_u32_e32 v10, vcc, v14, v10
	v_subb_co_u32_e64 v12, s[0:1], v12, v13, vcc
	v_subrev_co_u32_e64 v13, s[0:1], s36, v10
	v_subbrev_co_u32_e64 v12, s[0:1], 0, v12, s[0:1]
	v_cmp_le_u32_e64 s[0:1], s37, v12
	v_cndmask_b32_e64 v14, 0, -1, s[0:1]
	v_cmp_le_u32_e64 s[0:1], s36, v13
	v_cndmask_b32_e64 v13, 0, -1, s[0:1]
	v_cmp_eq_u32_e64 s[0:1], s37, v12
	v_cndmask_b32_e64 v12, v14, v13, s[0:1]
	v_add_co_u32_e64 v13, s[0:1], 2, v3
	v_subb_co_u32_e32 v9, vcc, v9, v11, vcc
	v_addc_co_u32_e64 v14, s[0:1], 0, v5, s[0:1]
	v_cmp_le_u32_e32 vcc, s37, v9
	v_add_co_u32_e64 v15, s[0:1], 1, v3
	v_cndmask_b32_e64 v11, 0, -1, vcc
	v_cmp_le_u32_e32 vcc, s36, v10
	v_addc_co_u32_e64 v16, s[0:1], 0, v5, s[0:1]
	v_cndmask_b32_e64 v10, 0, -1, vcc
	v_cmp_eq_u32_e32 vcc, s37, v9
	v_cmp_ne_u32_e64 s[0:1], 0, v12
	v_cndmask_b32_e32 v9, v11, v10, vcc
	v_cmp_ne_u32_e32 vcc, 0, v9
	v_cndmask_b32_e64 v9, v15, v13, s[0:1]
	v_cndmask_b32_e64 v12, v16, v14, s[0:1]
	v_cndmask_b32_e32 v3, v3, v9, vcc
	v_xor_b32_e32 v9, s35, v7
	v_xor_b32_e32 v7, s34, v7
	v_cndmask_b32_e32 v5, v5, v12, vcc
	v_xor_b32_e32 v3, v3, v7
	v_xor_b32_e32 v5, v5, v9
	v_sub_co_u32_e32 v10, vcc, v3, v7
	v_subb_co_u32_e32 v11, vcc, v5, v9, vcc
.LBB20_25:                              ;   in Loop: Header=BB20_23 Depth=2
	s_andn2_saveexec_b64 s[0:1], s[30:31]
	s_cbranch_execz .LBB20_27
; %bb.26:                               ;   in Loop: Header=BB20_23 Depth=2
	v_cvt_f32_u32_e32 v3, s50
	s_sub_i32 s16, 0, s50
	v_mov_b32_e32 v11, v2
	v_rcp_iflag_f32_e32 v3, v3
	v_mul_f32_e32 v3, 0x4f7ffffe, v3
	v_cvt_u32_f32_e32 v3, v3
	v_mul_lo_u32 v5, s16, v3
	v_mul_hi_u32 v5, v3, v5
	v_add_u32_e32 v3, v3, v5
	v_mul_hi_u32 v3, v8, v3
	v_mul_lo_u32 v5, v3, s50
	v_sub_u32_e32 v5, v8, v5
	v_add_u32_e32 v7, 1, v3
	v_subrev_u32_e32 v9, s50, v5
	v_cmp_le_u32_e32 vcc, s50, v5
	v_cndmask_b32_e32 v5, v5, v9, vcc
	v_cndmask_b32_e32 v3, v3, v7, vcc
	v_add_u32_e32 v7, 1, v3
	v_cmp_le_u32_e32 vcc, s50, v5
	v_cndmask_b32_e32 v10, v3, v7, vcc
.LBB20_27:                              ;   in Loop: Header=BB20_23 Depth=2
	s_or_b64 exec, exec, s[0:1]
	s_add_u32 s0, s43, s28
	s_addc_u32 s1, s44, s29
	s_add_i32 s16, s26, 6
	s_lshl_b64 s[28:29], s[16:17], 2
	s_add_u32 s30, s39, s28
	s_addc_u32 s31, s40, s29
	s_load_dword s51, s[30:31], 0x0
	s_load_dword s52, s[0:1], 0x0
                                        ; implicit-def: $vgpr12_vgpr13
	s_waitcnt lgkmcnt(0)
	s_ashr_i32 s0, s51, 31
	v_or_b32_e32 v3, s0, v11
	v_cmp_ne_u64_e32 vcc, 0, v[2:3]
	s_and_saveexec_b64 s[30:31], vcc
	s_xor_b64 s[30:31], exec, s[30:31]
	s_cbranch_execz .LBB20_29
; %bb.28:                               ;   in Loop: Header=BB20_23 Depth=2
	s_add_u32 s36, s51, s0
	s_mov_b32 s34, s0
	s_mov_b32 s35, s0
	s_addc_u32 s37, s0, s0
	s_xor_b64 s[36:37], s[36:37], s[34:35]
	v_cvt_f32_u32_e32 v3, s36
	v_cvt_f32_u32_e32 v5, s37
	s_sub_u32 s0, 0, s36
	s_subb_u32 s1, 0, s37
	v_mac_f32_e32 v3, 0x4f800000, v5
	v_rcp_f32_e32 v3, v3
	v_mul_f32_e32 v3, 0x5f7ffffc, v3
	v_mul_f32_e32 v5, 0x2f800000, v3
	v_trunc_f32_e32 v5, v5
	v_mac_f32_e32 v3, 0xcf800000, v5
	v_cvt_u32_f32_e32 v5, v5
	v_cvt_u32_f32_e32 v3, v3
	v_mul_lo_u32 v7, s0, v5
	v_mul_hi_u32 v12, s0, v3
	v_mul_lo_u32 v9, s1, v3
	v_add_u32_e32 v7, v12, v7
	v_mul_lo_u32 v13, s0, v3
	v_add_u32_e32 v7, v7, v9
	v_mul_lo_u32 v12, v3, v7
	v_mul_hi_u32 v14, v3, v13
	v_mul_hi_u32 v9, v3, v7
	v_add_co_u32_e32 v12, vcc, v14, v12
	v_addc_co_u32_e32 v9, vcc, 0, v9, vcc
	v_mul_hi_u32 v15, v5, v13
	v_mul_lo_u32 v13, v5, v13
	v_add_co_u32_e32 v12, vcc, v12, v13
	v_mul_hi_u32 v14, v5, v7
	v_addc_co_u32_e32 v9, vcc, v9, v15, vcc
	v_addc_co_u32_e32 v12, vcc, 0, v14, vcc
	v_mul_lo_u32 v7, v5, v7
	v_add_co_u32_e32 v7, vcc, v9, v7
	v_addc_co_u32_e32 v9, vcc, 0, v12, vcc
	v_add_co_u32_e32 v3, vcc, v3, v7
	v_addc_co_u32_e32 v5, vcc, v5, v9, vcc
	v_mul_lo_u32 v7, s0, v5
	v_mul_hi_u32 v9, s0, v3
	v_add_u32_e32 v7, v9, v7
	v_mul_lo_u32 v9, s1, v3
	v_add_u32_e32 v7, v7, v9
	v_mul_lo_u32 v12, s0, v3
	v_mul_hi_u32 v13, v5, v12
	v_mul_lo_u32 v14, v5, v12
	v_mul_lo_u32 v16, v3, v7
	v_mul_hi_u32 v12, v3, v12
	v_mul_hi_u32 v15, v3, v7
	v_add_co_u32_e32 v12, vcc, v12, v16
	v_addc_co_u32_e32 v15, vcc, 0, v15, vcc
	v_add_co_u32_e32 v12, vcc, v12, v14
	v_mul_hi_u32 v9, v5, v7
	v_addc_co_u32_e32 v12, vcc, v15, v13, vcc
	v_addc_co_u32_e32 v9, vcc, 0, v9, vcc
	v_mul_lo_u32 v7, v5, v7
	v_add_co_u32_e32 v7, vcc, v12, v7
	v_addc_co_u32_e32 v9, vcc, 0, v9, vcc
	v_add_co_u32_e32 v3, vcc, v3, v7
	v_addc_co_u32_e32 v5, vcc, v5, v9, vcc
	v_ashrrev_i32_e32 v7, 31, v11
	v_add_co_u32_e32 v9, vcc, v10, v7
	v_xor_b32_e32 v9, v9, v7
	v_addc_co_u32_e32 v11, vcc, v11, v7, vcc
	v_mad_u64_u32 v[12:13], s[0:1], v9, v5, 0
	v_mul_hi_u32 v14, v9, v3
	v_xor_b32_e32 v11, v11, v7
	v_add_co_u32_e32 v16, vcc, v14, v12
	v_addc_co_u32_e32 v17, vcc, 0, v13, vcc
	v_mad_u64_u32 v[14:15], s[0:1], v11, v3, 0
	v_add_co_u32_e32 v3, vcc, v16, v14
	v_mad_u64_u32 v[12:13], s[0:1], v11, v5, 0
	v_addc_co_u32_e32 v3, vcc, v17, v15, vcc
	v_addc_co_u32_e32 v5, vcc, 0, v13, vcc
	v_add_co_u32_e32 v3, vcc, v3, v12
	v_addc_co_u32_e32 v5, vcc, 0, v5, vcc
	v_mul_lo_u32 v14, s37, v3
	v_mul_lo_u32 v15, s36, v5
	v_mad_u64_u32 v[12:13], s[0:1], s36, v3, 0
	v_add3_u32 v13, v13, v15, v14
	v_sub_u32_e32 v14, v11, v13
	v_mov_b32_e32 v15, s37
	v_sub_co_u32_e32 v9, vcc, v9, v12
	v_subb_co_u32_e64 v12, s[0:1], v14, v15, vcc
	v_subrev_co_u32_e64 v14, s[0:1], s36, v9
	v_subbrev_co_u32_e64 v12, s[0:1], 0, v12, s[0:1]
	v_cmp_le_u32_e64 s[0:1], s37, v12
	v_cndmask_b32_e64 v15, 0, -1, s[0:1]
	v_cmp_le_u32_e64 s[0:1], s36, v14
	v_cndmask_b32_e64 v14, 0, -1, s[0:1]
	v_cmp_eq_u32_e64 s[0:1], s37, v12
	v_cndmask_b32_e64 v12, v15, v14, s[0:1]
	v_add_co_u32_e64 v14, s[0:1], 2, v3
	v_subb_co_u32_e32 v11, vcc, v11, v13, vcc
	v_addc_co_u32_e64 v15, s[0:1], 0, v5, s[0:1]
	v_cmp_le_u32_e32 vcc, s37, v11
	v_add_co_u32_e64 v16, s[0:1], 1, v3
	v_cndmask_b32_e64 v13, 0, -1, vcc
	v_cmp_le_u32_e32 vcc, s36, v9
	v_addc_co_u32_e64 v17, s[0:1], 0, v5, s[0:1]
	v_cndmask_b32_e64 v9, 0, -1, vcc
	v_cmp_eq_u32_e32 vcc, s37, v11
	v_cmp_ne_u32_e64 s[0:1], 0, v12
	v_cndmask_b32_e32 v9, v13, v9, vcc
	v_cmp_ne_u32_e32 vcc, 0, v9
	v_cndmask_b32_e64 v9, v16, v14, s[0:1]
	v_cndmask_b32_e64 v12, v17, v15, s[0:1]
	v_cndmask_b32_e32 v3, v3, v9, vcc
	v_xor_b32_e32 v9, s35, v7
	v_xor_b32_e32 v7, s34, v7
	v_cndmask_b32_e32 v5, v5, v12, vcc
	v_xor_b32_e32 v3, v3, v7
	v_xor_b32_e32 v5, v5, v9
	v_sub_co_u32_e32 v12, vcc, v3, v7
	v_subb_co_u32_e32 v13, vcc, v5, v9, vcc
.LBB20_29:                              ;   in Loop: Header=BB20_23 Depth=2
	s_andn2_saveexec_b64 s[0:1], s[30:31]
	s_cbranch_execz .LBB20_31
; %bb.30:                               ;   in Loop: Header=BB20_23 Depth=2
	v_cvt_f32_u32_e32 v3, s51
	s_sub_i32 s16, 0, s51
	v_mov_b32_e32 v13, v2
	v_rcp_iflag_f32_e32 v3, v3
	v_mul_f32_e32 v3, 0x4f7ffffe, v3
	v_cvt_u32_f32_e32 v3, v3
	v_mul_lo_u32 v5, s16, v3
	v_mul_hi_u32 v5, v3, v5
	v_add_u32_e32 v3, v3, v5
	v_mul_hi_u32 v3, v10, v3
	v_mul_lo_u32 v5, v3, s51
	v_sub_u32_e32 v5, v10, v5
	v_add_u32_e32 v7, 1, v3
	v_subrev_u32_e32 v9, s51, v5
	v_cmp_le_u32_e32 vcc, s51, v5
	v_cndmask_b32_e32 v5, v5, v9, vcc
	v_cndmask_b32_e32 v3, v3, v7, vcc
	v_add_u32_e32 v7, 1, v3
	v_cmp_le_u32_e32 vcc, s51, v5
	v_cndmask_b32_e32 v12, v3, v7, vcc
.LBB20_31:                              ;   in Loop: Header=BB20_23 Depth=2
	s_or_b64 exec, exec, s[0:1]
	s_add_u32 s0, s43, s28
	s_addc_u32 s1, s44, s29
	s_add_i32 s16, s26, 5
	s_lshl_b64 s[28:29], s[16:17], 2
	s_add_u32 s30, s39, s28
	s_addc_u32 s31, s40, s29
	s_load_dword s53, s[30:31], 0x0
	s_load_dword s54, s[0:1], 0x0
                                        ; implicit-def: $vgpr14_vgpr15
	s_waitcnt lgkmcnt(0)
	s_ashr_i32 s0, s53, 31
	v_or_b32_e32 v3, s0, v13
	v_cmp_ne_u64_e32 vcc, 0, v[2:3]
	s_and_saveexec_b64 s[30:31], vcc
	s_xor_b64 s[30:31], exec, s[30:31]
	s_cbranch_execz .LBB20_33
; %bb.32:                               ;   in Loop: Header=BB20_23 Depth=2
	s_add_u32 s36, s53, s0
	s_mov_b32 s34, s0
	s_mov_b32 s35, s0
	s_addc_u32 s37, s0, s0
	s_xor_b64 s[36:37], s[36:37], s[34:35]
	v_cvt_f32_u32_e32 v3, s36
	v_cvt_f32_u32_e32 v5, s37
	s_sub_u32 s0, 0, s36
	s_subb_u32 s1, 0, s37
	v_mac_f32_e32 v3, 0x4f800000, v5
	v_rcp_f32_e32 v3, v3
	v_mul_f32_e32 v3, 0x5f7ffffc, v3
	v_mul_f32_e32 v5, 0x2f800000, v3
	v_trunc_f32_e32 v5, v5
	v_mac_f32_e32 v3, 0xcf800000, v5
	v_cvt_u32_f32_e32 v5, v5
	v_cvt_u32_f32_e32 v3, v3
	v_mul_lo_u32 v7, s0, v5
	v_mul_hi_u32 v11, s0, v3
	v_mul_lo_u32 v9, s1, v3
	v_add_u32_e32 v7, v11, v7
	v_mul_lo_u32 v14, s0, v3
	v_add_u32_e32 v7, v7, v9
	v_mul_lo_u32 v11, v3, v7
	v_mul_hi_u32 v15, v3, v14
	v_mul_hi_u32 v9, v3, v7
	v_add_co_u32_e32 v11, vcc, v15, v11
	v_addc_co_u32_e32 v9, vcc, 0, v9, vcc
	v_mul_hi_u32 v16, v5, v14
	v_mul_lo_u32 v14, v5, v14
	v_add_co_u32_e32 v11, vcc, v11, v14
	v_mul_hi_u32 v15, v5, v7
	v_addc_co_u32_e32 v9, vcc, v9, v16, vcc
	v_addc_co_u32_e32 v11, vcc, 0, v15, vcc
	v_mul_lo_u32 v7, v5, v7
	v_add_co_u32_e32 v7, vcc, v9, v7
	v_addc_co_u32_e32 v9, vcc, 0, v11, vcc
	v_add_co_u32_e32 v3, vcc, v3, v7
	v_addc_co_u32_e32 v5, vcc, v5, v9, vcc
	v_mul_lo_u32 v7, s0, v5
	v_mul_hi_u32 v9, s0, v3
	v_add_u32_e32 v7, v9, v7
	v_mul_lo_u32 v9, s1, v3
	v_add_u32_e32 v7, v7, v9
	v_mul_lo_u32 v11, s0, v3
	v_mul_hi_u32 v14, v5, v11
	v_mul_lo_u32 v15, v5, v11
	v_mul_lo_u32 v17, v3, v7
	v_mul_hi_u32 v11, v3, v11
	v_mul_hi_u32 v16, v3, v7
	v_add_co_u32_e32 v11, vcc, v11, v17
	v_addc_co_u32_e32 v16, vcc, 0, v16, vcc
	v_add_co_u32_e32 v11, vcc, v11, v15
	v_mul_hi_u32 v9, v5, v7
	v_addc_co_u32_e32 v11, vcc, v16, v14, vcc
	v_addc_co_u32_e32 v9, vcc, 0, v9, vcc
	v_mul_lo_u32 v7, v5, v7
	v_add_co_u32_e32 v7, vcc, v11, v7
	v_addc_co_u32_e32 v9, vcc, 0, v9, vcc
	v_add_co_u32_e32 v3, vcc, v3, v7
	v_addc_co_u32_e32 v5, vcc, v5, v9, vcc
	v_ashrrev_i32_e32 v7, 31, v13
	v_add_co_u32_e32 v9, vcc, v12, v7
	v_xor_b32_e32 v9, v9, v7
	v_addc_co_u32_e32 v11, vcc, v13, v7, vcc
	v_mad_u64_u32 v[14:15], s[0:1], v9, v5, 0
	v_mul_hi_u32 v13, v9, v3
	v_xor_b32_e32 v11, v11, v7
	v_add_co_u32_e32 v13, vcc, v13, v14
	v_addc_co_u32_e32 v18, vcc, 0, v15, vcc
	v_mad_u64_u32 v[16:17], s[0:1], v11, v3, 0
	v_add_co_u32_e32 v3, vcc, v13, v16
	v_mad_u64_u32 v[14:15], s[0:1], v11, v5, 0
	v_addc_co_u32_e32 v3, vcc, v18, v17, vcc
	v_addc_co_u32_e32 v5, vcc, 0, v15, vcc
	v_add_co_u32_e32 v3, vcc, v3, v14
	v_addc_co_u32_e32 v5, vcc, 0, v5, vcc
	v_mul_lo_u32 v13, s37, v3
	v_mul_lo_u32 v16, s36, v5
	v_mad_u64_u32 v[14:15], s[0:1], s36, v3, 0
	v_add3_u32 v13, v15, v16, v13
	v_sub_u32_e32 v15, v11, v13
	v_mov_b32_e32 v16, s37
	v_sub_co_u32_e32 v9, vcc, v9, v14
	v_subb_co_u32_e64 v14, s[0:1], v15, v16, vcc
	v_subrev_co_u32_e64 v15, s[0:1], s36, v9
	v_subbrev_co_u32_e64 v14, s[0:1], 0, v14, s[0:1]
	v_cmp_le_u32_e64 s[0:1], s37, v14
	v_cndmask_b32_e64 v16, 0, -1, s[0:1]
	v_cmp_le_u32_e64 s[0:1], s36, v15
	v_cndmask_b32_e64 v15, 0, -1, s[0:1]
	v_cmp_eq_u32_e64 s[0:1], s37, v14
	v_cndmask_b32_e64 v14, v16, v15, s[0:1]
	v_add_co_u32_e64 v15, s[0:1], 2, v3
	v_subb_co_u32_e32 v11, vcc, v11, v13, vcc
	v_addc_co_u32_e64 v16, s[0:1], 0, v5, s[0:1]
	v_cmp_le_u32_e32 vcc, s37, v11
	v_add_co_u32_e64 v17, s[0:1], 1, v3
	v_cndmask_b32_e64 v13, 0, -1, vcc
	v_cmp_le_u32_e32 vcc, s36, v9
	v_addc_co_u32_e64 v18, s[0:1], 0, v5, s[0:1]
	v_cndmask_b32_e64 v9, 0, -1, vcc
	v_cmp_eq_u32_e32 vcc, s37, v11
	v_cmp_ne_u32_e64 s[0:1], 0, v14
	v_cndmask_b32_e32 v9, v13, v9, vcc
	v_cmp_ne_u32_e32 vcc, 0, v9
	v_cndmask_b32_e64 v9, v17, v15, s[0:1]
	v_cndmask_b32_e64 v14, v18, v16, s[0:1]
	v_cndmask_b32_e32 v3, v3, v9, vcc
	v_xor_b32_e32 v9, s35, v7
	v_xor_b32_e32 v7, s34, v7
	v_cndmask_b32_e32 v5, v5, v14, vcc
	v_xor_b32_e32 v3, v3, v7
	v_xor_b32_e32 v5, v5, v9
	v_sub_co_u32_e32 v14, vcc, v3, v7
	v_subb_co_u32_e32 v15, vcc, v5, v9, vcc
.LBB20_33:                              ;   in Loop: Header=BB20_23 Depth=2
	s_andn2_saveexec_b64 s[0:1], s[30:31]
	s_cbranch_execz .LBB20_35
; %bb.34:                               ;   in Loop: Header=BB20_23 Depth=2
	v_cvt_f32_u32_e32 v3, s53
	s_sub_i32 s16, 0, s53
	v_mov_b32_e32 v15, v2
	v_rcp_iflag_f32_e32 v3, v3
	v_mul_f32_e32 v3, 0x4f7ffffe, v3
	v_cvt_u32_f32_e32 v3, v3
	v_mul_lo_u32 v5, s16, v3
	v_mul_hi_u32 v5, v3, v5
	v_add_u32_e32 v3, v3, v5
	v_mul_hi_u32 v3, v12, v3
	v_mul_lo_u32 v5, v3, s53
	v_sub_u32_e32 v5, v12, v5
	v_add_u32_e32 v7, 1, v3
	v_subrev_u32_e32 v9, s53, v5
	v_cmp_le_u32_e32 vcc, s53, v5
	v_cndmask_b32_e32 v5, v5, v9, vcc
	v_cndmask_b32_e32 v3, v3, v7, vcc
	v_add_u32_e32 v7, 1, v3
	v_cmp_le_u32_e32 vcc, s53, v5
	v_cndmask_b32_e32 v14, v3, v7, vcc
.LBB20_35:                              ;   in Loop: Header=BB20_23 Depth=2
	s_or_b64 exec, exec, s[0:1]
	s_add_u32 s0, s43, s28
	s_addc_u32 s1, s44, s29
	s_add_i32 s16, s26, 4
	s_lshl_b64 s[28:29], s[16:17], 2
	s_add_u32 s30, s39, s28
	s_addc_u32 s31, s40, s29
	s_load_dword s55, s[30:31], 0x0
	s_load_dword s56, s[0:1], 0x0
                                        ; implicit-def: $vgpr16_vgpr17
	s_waitcnt lgkmcnt(0)
	s_ashr_i32 s0, s55, 31
	v_or_b32_e32 v3, s0, v15
	v_cmp_ne_u64_e32 vcc, 0, v[2:3]
	s_and_saveexec_b64 s[30:31], vcc
	s_xor_b64 s[30:31], exec, s[30:31]
	s_cbranch_execz .LBB20_37
; %bb.36:                               ;   in Loop: Header=BB20_23 Depth=2
	s_add_u32 s36, s55, s0
	s_mov_b32 s34, s0
	s_mov_b32 s35, s0
	s_addc_u32 s37, s0, s0
	s_xor_b64 s[36:37], s[36:37], s[34:35]
	v_cvt_f32_u32_e32 v3, s36
	v_cvt_f32_u32_e32 v5, s37
	s_sub_u32 s0, 0, s36
	s_subb_u32 s1, 0, s37
	v_mac_f32_e32 v3, 0x4f800000, v5
	v_rcp_f32_e32 v3, v3
	v_mul_f32_e32 v3, 0x5f7ffffc, v3
	v_mul_f32_e32 v5, 0x2f800000, v3
	v_trunc_f32_e32 v5, v5
	v_mac_f32_e32 v3, 0xcf800000, v5
	v_cvt_u32_f32_e32 v5, v5
	v_cvt_u32_f32_e32 v3, v3
	v_mul_lo_u32 v7, s0, v5
	v_mul_hi_u32 v11, s0, v3
	v_mul_lo_u32 v9, s1, v3
	v_add_u32_e32 v7, v11, v7
	v_mul_lo_u32 v13, s0, v3
	v_add_u32_e32 v7, v7, v9
	v_mul_lo_u32 v11, v3, v7
	v_mul_hi_u32 v16, v3, v13
	v_mul_hi_u32 v9, v3, v7
	v_add_co_u32_e32 v11, vcc, v16, v11
	v_addc_co_u32_e32 v9, vcc, 0, v9, vcc
	v_mul_hi_u32 v17, v5, v13
	v_mul_lo_u32 v13, v5, v13
	v_add_co_u32_e32 v11, vcc, v11, v13
	v_mul_hi_u32 v16, v5, v7
	v_addc_co_u32_e32 v9, vcc, v9, v17, vcc
	v_addc_co_u32_e32 v11, vcc, 0, v16, vcc
	v_mul_lo_u32 v7, v5, v7
	v_add_co_u32_e32 v7, vcc, v9, v7
	v_addc_co_u32_e32 v9, vcc, 0, v11, vcc
	v_add_co_u32_e32 v3, vcc, v3, v7
	v_addc_co_u32_e32 v5, vcc, v5, v9, vcc
	v_mul_lo_u32 v7, s0, v5
	v_mul_hi_u32 v9, s0, v3
	v_add_u32_e32 v7, v9, v7
	v_mul_lo_u32 v9, s1, v3
	v_add_u32_e32 v7, v7, v9
	v_mul_lo_u32 v11, s0, v3
	v_mul_hi_u32 v13, v5, v11
	v_mul_lo_u32 v16, v5, v11
	v_mul_lo_u32 v18, v3, v7
	v_mul_hi_u32 v11, v3, v11
	v_mul_hi_u32 v17, v3, v7
	v_add_co_u32_e32 v11, vcc, v11, v18
	v_addc_co_u32_e32 v17, vcc, 0, v17, vcc
	v_add_co_u32_e32 v11, vcc, v11, v16
	v_mul_hi_u32 v9, v5, v7
	v_addc_co_u32_e32 v11, vcc, v17, v13, vcc
	v_addc_co_u32_e32 v9, vcc, 0, v9, vcc
	v_mul_lo_u32 v7, v5, v7
	v_add_co_u32_e32 v7, vcc, v11, v7
	v_addc_co_u32_e32 v9, vcc, 0, v9, vcc
	v_add_co_u32_e32 v3, vcc, v3, v7
	v_addc_co_u32_e32 v5, vcc, v5, v9, vcc
	v_ashrrev_i32_e32 v7, 31, v15
	v_add_co_u32_e32 v9, vcc, v14, v7
	v_xor_b32_e32 v9, v9, v7
	v_addc_co_u32_e32 v11, vcc, v15, v7, vcc
	v_mad_u64_u32 v[16:17], s[0:1], v9, v5, 0
	v_mul_hi_u32 v13, v9, v3
	v_xor_b32_e32 v11, v11, v7
	v_add_co_u32_e32 v13, vcc, v13, v16
	v_addc_co_u32_e32 v15, vcc, 0, v17, vcc
	v_mad_u64_u32 v[18:19], s[0:1], v11, v3, 0
	v_add_co_u32_e32 v3, vcc, v13, v18
	v_mad_u64_u32 v[16:17], s[0:1], v11, v5, 0
	v_addc_co_u32_e32 v3, vcc, v15, v19, vcc
	v_addc_co_u32_e32 v5, vcc, 0, v17, vcc
	v_add_co_u32_e32 v3, vcc, v3, v16
	v_addc_co_u32_e32 v5, vcc, 0, v5, vcc
	v_mul_lo_u32 v13, s37, v3
	v_mul_lo_u32 v15, s36, v5
	v_mad_u64_u32 v[16:17], s[0:1], s36, v3, 0
	v_add3_u32 v13, v17, v15, v13
	v_sub_u32_e32 v15, v11, v13
	v_mov_b32_e32 v17, s37
	v_sub_co_u32_e32 v9, vcc, v9, v16
	v_subb_co_u32_e64 v15, s[0:1], v15, v17, vcc
	v_subrev_co_u32_e64 v16, s[0:1], s36, v9
	v_subbrev_co_u32_e64 v15, s[0:1], 0, v15, s[0:1]
	v_cmp_le_u32_e64 s[0:1], s37, v15
	v_cndmask_b32_e64 v17, 0, -1, s[0:1]
	v_cmp_le_u32_e64 s[0:1], s36, v16
	v_cndmask_b32_e64 v16, 0, -1, s[0:1]
	v_cmp_eq_u32_e64 s[0:1], s37, v15
	v_cndmask_b32_e64 v15, v17, v16, s[0:1]
	v_add_co_u32_e64 v16, s[0:1], 2, v3
	v_subb_co_u32_e32 v11, vcc, v11, v13, vcc
	v_addc_co_u32_e64 v17, s[0:1], 0, v5, s[0:1]
	v_cmp_le_u32_e32 vcc, s37, v11
	v_add_co_u32_e64 v18, s[0:1], 1, v3
	v_cndmask_b32_e64 v13, 0, -1, vcc
	v_cmp_le_u32_e32 vcc, s36, v9
	v_addc_co_u32_e64 v19, s[0:1], 0, v5, s[0:1]
	v_cndmask_b32_e64 v9, 0, -1, vcc
	v_cmp_eq_u32_e32 vcc, s37, v11
	v_cmp_ne_u32_e64 s[0:1], 0, v15
	v_cndmask_b32_e32 v9, v13, v9, vcc
	v_cmp_ne_u32_e32 vcc, 0, v9
	v_cndmask_b32_e64 v9, v18, v16, s[0:1]
	v_cndmask_b32_e64 v15, v19, v17, s[0:1]
	v_cndmask_b32_e32 v3, v3, v9, vcc
	v_xor_b32_e32 v9, s35, v7
	v_xor_b32_e32 v7, s34, v7
	v_cndmask_b32_e32 v5, v5, v15, vcc
	v_xor_b32_e32 v3, v3, v7
	v_xor_b32_e32 v5, v5, v9
	v_sub_co_u32_e32 v16, vcc, v3, v7
	v_subb_co_u32_e32 v17, vcc, v5, v9, vcc
.LBB20_37:                              ;   in Loop: Header=BB20_23 Depth=2
	s_andn2_saveexec_b64 s[0:1], s[30:31]
	s_cbranch_execz .LBB20_39
; %bb.38:                               ;   in Loop: Header=BB20_23 Depth=2
	v_cvt_f32_u32_e32 v3, s55
	s_sub_i32 s16, 0, s55
	v_mov_b32_e32 v17, v2
	v_rcp_iflag_f32_e32 v3, v3
	v_mul_f32_e32 v3, 0x4f7ffffe, v3
	v_cvt_u32_f32_e32 v3, v3
	v_mul_lo_u32 v5, s16, v3
	v_mul_hi_u32 v5, v3, v5
	v_add_u32_e32 v3, v3, v5
	v_mul_hi_u32 v3, v14, v3
	v_mul_lo_u32 v5, v3, s55
	v_sub_u32_e32 v5, v14, v5
	v_add_u32_e32 v7, 1, v3
	v_subrev_u32_e32 v9, s55, v5
	v_cmp_le_u32_e32 vcc, s55, v5
	v_cndmask_b32_e32 v5, v5, v9, vcc
	v_cndmask_b32_e32 v3, v3, v7, vcc
	v_add_u32_e32 v7, 1, v3
	v_cmp_le_u32_e32 vcc, s55, v5
	v_cndmask_b32_e32 v16, v3, v7, vcc
.LBB20_39:                              ;   in Loop: Header=BB20_23 Depth=2
	s_or_b64 exec, exec, s[0:1]
	s_add_u32 s0, s43, s28
	s_addc_u32 s1, s44, s29
	s_add_i32 s16, s26, 3
	s_lshl_b64 s[28:29], s[16:17], 2
	s_add_u32 s30, s39, s28
	s_addc_u32 s31, s40, s29
	s_load_dword s57, s[30:31], 0x0
	s_load_dword s58, s[0:1], 0x0
                                        ; implicit-def: $vgpr18_vgpr19
	s_waitcnt lgkmcnt(0)
	s_ashr_i32 s0, s57, 31
	v_or_b32_e32 v3, s0, v17
	v_cmp_ne_u64_e32 vcc, 0, v[2:3]
	s_and_saveexec_b64 s[30:31], vcc
	s_xor_b64 s[30:31], exec, s[30:31]
	s_cbranch_execz .LBB20_41
; %bb.40:                               ;   in Loop: Header=BB20_23 Depth=2
	s_add_u32 s36, s57, s0
	s_mov_b32 s34, s0
	s_mov_b32 s35, s0
	s_addc_u32 s37, s0, s0
	s_xor_b64 s[36:37], s[36:37], s[34:35]
	v_cvt_f32_u32_e32 v3, s36
	v_cvt_f32_u32_e32 v5, s37
	s_sub_u32 s0, 0, s36
	s_subb_u32 s1, 0, s37
	v_mac_f32_e32 v3, 0x4f800000, v5
	v_rcp_f32_e32 v3, v3
	v_mul_f32_e32 v3, 0x5f7ffffc, v3
	v_mul_f32_e32 v5, 0x2f800000, v3
	v_trunc_f32_e32 v5, v5
	v_mac_f32_e32 v3, 0xcf800000, v5
	v_cvt_u32_f32_e32 v5, v5
	v_cvt_u32_f32_e32 v3, v3
	v_mul_lo_u32 v7, s0, v5
	v_mul_hi_u32 v11, s0, v3
	v_mul_lo_u32 v9, s1, v3
	v_add_u32_e32 v7, v11, v7
	v_mul_lo_u32 v13, s0, v3
	v_add_u32_e32 v7, v7, v9
	v_mul_lo_u32 v11, v3, v7
	v_mul_hi_u32 v15, v3, v13
	v_mul_hi_u32 v9, v3, v7
	v_add_co_u32_e32 v11, vcc, v15, v11
	v_addc_co_u32_e32 v9, vcc, 0, v9, vcc
	v_mul_hi_u32 v18, v5, v13
	v_mul_lo_u32 v13, v5, v13
	v_add_co_u32_e32 v11, vcc, v11, v13
	v_mul_hi_u32 v15, v5, v7
	v_addc_co_u32_e32 v9, vcc, v9, v18, vcc
	v_addc_co_u32_e32 v11, vcc, 0, v15, vcc
	v_mul_lo_u32 v7, v5, v7
	v_add_co_u32_e32 v7, vcc, v9, v7
	v_addc_co_u32_e32 v9, vcc, 0, v11, vcc
	v_add_co_u32_e32 v3, vcc, v3, v7
	v_addc_co_u32_e32 v5, vcc, v5, v9, vcc
	v_mul_lo_u32 v7, s0, v5
	v_mul_hi_u32 v9, s0, v3
	v_add_u32_e32 v7, v9, v7
	v_mul_lo_u32 v9, s1, v3
	v_add_u32_e32 v7, v7, v9
	v_mul_lo_u32 v11, s0, v3
	v_mul_hi_u32 v13, v5, v11
	v_mul_lo_u32 v15, v5, v11
	v_mul_lo_u32 v19, v3, v7
	v_mul_hi_u32 v11, v3, v11
	v_mul_hi_u32 v18, v3, v7
	v_add_co_u32_e32 v11, vcc, v11, v19
	v_addc_co_u32_e32 v18, vcc, 0, v18, vcc
	v_add_co_u32_e32 v11, vcc, v11, v15
	v_mul_hi_u32 v9, v5, v7
	v_addc_co_u32_e32 v11, vcc, v18, v13, vcc
	v_addc_co_u32_e32 v9, vcc, 0, v9, vcc
	v_mul_lo_u32 v7, v5, v7
	v_add_co_u32_e32 v7, vcc, v11, v7
	v_addc_co_u32_e32 v9, vcc, 0, v9, vcc
	v_add_co_u32_e32 v3, vcc, v3, v7
	v_addc_co_u32_e32 v5, vcc, v5, v9, vcc
	v_ashrrev_i32_e32 v7, 31, v17
	v_add_co_u32_e32 v9, vcc, v16, v7
	v_xor_b32_e32 v9, v9, v7
	v_addc_co_u32_e32 v11, vcc, v17, v7, vcc
	v_mad_u64_u32 v[18:19], s[0:1], v9, v5, 0
	v_mul_hi_u32 v13, v9, v3
	v_xor_b32_e32 v11, v11, v7
	v_add_co_u32_e32 v13, vcc, v13, v18
	v_addc_co_u32_e32 v15, vcc, 0, v19, vcc
	v_mad_u64_u32 v[20:21], s[0:1], v11, v3, 0
	v_add_co_u32_e32 v3, vcc, v13, v20
	v_mad_u64_u32 v[18:19], s[0:1], v11, v5, 0
	v_addc_co_u32_e32 v3, vcc, v15, v21, vcc
	v_addc_co_u32_e32 v5, vcc, 0, v19, vcc
	v_add_co_u32_e32 v3, vcc, v3, v18
	v_addc_co_u32_e32 v5, vcc, 0, v5, vcc
	v_mul_lo_u32 v13, s37, v3
	v_mul_lo_u32 v15, s36, v5
	v_mad_u64_u32 v[18:19], s[0:1], s36, v3, 0
	v_add3_u32 v13, v19, v15, v13
	v_sub_u32_e32 v15, v11, v13
	v_mov_b32_e32 v17, s37
	v_sub_co_u32_e32 v9, vcc, v9, v18
	v_subb_co_u32_e64 v15, s[0:1], v15, v17, vcc
	v_subrev_co_u32_e64 v17, s[0:1], s36, v9
	v_subbrev_co_u32_e64 v15, s[0:1], 0, v15, s[0:1]
	v_cmp_le_u32_e64 s[0:1], s37, v15
	v_cndmask_b32_e64 v18, 0, -1, s[0:1]
	v_cmp_le_u32_e64 s[0:1], s36, v17
	v_cndmask_b32_e64 v17, 0, -1, s[0:1]
	v_cmp_eq_u32_e64 s[0:1], s37, v15
	v_cndmask_b32_e64 v15, v18, v17, s[0:1]
	v_add_co_u32_e64 v17, s[0:1], 2, v3
	v_subb_co_u32_e32 v11, vcc, v11, v13, vcc
	v_addc_co_u32_e64 v18, s[0:1], 0, v5, s[0:1]
	v_cmp_le_u32_e32 vcc, s37, v11
	v_add_co_u32_e64 v19, s[0:1], 1, v3
	v_cndmask_b32_e64 v13, 0, -1, vcc
	v_cmp_le_u32_e32 vcc, s36, v9
	v_addc_co_u32_e64 v20, s[0:1], 0, v5, s[0:1]
	v_cndmask_b32_e64 v9, 0, -1, vcc
	v_cmp_eq_u32_e32 vcc, s37, v11
	v_cmp_ne_u32_e64 s[0:1], 0, v15
	v_cndmask_b32_e32 v9, v13, v9, vcc
	v_cmp_ne_u32_e32 vcc, 0, v9
	v_cndmask_b32_e64 v9, v19, v17, s[0:1]
	v_cndmask_b32_e64 v15, v20, v18, s[0:1]
	v_cndmask_b32_e32 v3, v3, v9, vcc
	v_xor_b32_e32 v9, s35, v7
	v_xor_b32_e32 v7, s34, v7
	v_cndmask_b32_e32 v5, v5, v15, vcc
	v_xor_b32_e32 v3, v3, v7
	v_xor_b32_e32 v5, v5, v9
	v_sub_co_u32_e32 v18, vcc, v3, v7
	v_subb_co_u32_e32 v19, vcc, v5, v9, vcc
.LBB20_41:                              ;   in Loop: Header=BB20_23 Depth=2
	s_andn2_saveexec_b64 s[0:1], s[30:31]
	s_cbranch_execz .LBB20_43
; %bb.42:                               ;   in Loop: Header=BB20_23 Depth=2
	v_cvt_f32_u32_e32 v3, s57
	s_sub_i32 s16, 0, s57
	v_mov_b32_e32 v19, v2
	v_rcp_iflag_f32_e32 v3, v3
	v_mul_f32_e32 v3, 0x4f7ffffe, v3
	v_cvt_u32_f32_e32 v3, v3
	v_mul_lo_u32 v5, s16, v3
	v_mul_hi_u32 v5, v3, v5
	v_add_u32_e32 v3, v3, v5
	v_mul_hi_u32 v3, v16, v3
	v_mul_lo_u32 v5, v3, s57
	v_sub_u32_e32 v5, v16, v5
	v_add_u32_e32 v7, 1, v3
	v_subrev_u32_e32 v9, s57, v5
	v_cmp_le_u32_e32 vcc, s57, v5
	v_cndmask_b32_e32 v5, v5, v9, vcc
	v_cndmask_b32_e32 v3, v3, v7, vcc
	v_add_u32_e32 v7, 1, v3
	v_cmp_le_u32_e32 vcc, s57, v5
	v_cndmask_b32_e32 v18, v3, v7, vcc
.LBB20_43:                              ;   in Loop: Header=BB20_23 Depth=2
	s_or_b64 exec, exec, s[0:1]
	s_add_u32 s0, s43, s28
	s_addc_u32 s1, s44, s29
	s_add_i32 s16, s26, 2
	s_lshl_b64 s[28:29], s[16:17], 2
	s_add_u32 s30, s39, s28
	s_addc_u32 s31, s40, s29
	s_load_dword s59, s[30:31], 0x0
	s_load_dword s60, s[0:1], 0x0
                                        ; implicit-def: $vgpr20_vgpr21
	s_waitcnt lgkmcnt(0)
	s_ashr_i32 s0, s59, 31
	v_or_b32_e32 v3, s0, v19
	v_cmp_ne_u64_e32 vcc, 0, v[2:3]
	s_and_saveexec_b64 s[30:31], vcc
	s_xor_b64 s[30:31], exec, s[30:31]
	s_cbranch_execz .LBB20_45
; %bb.44:                               ;   in Loop: Header=BB20_23 Depth=2
	s_add_u32 s36, s59, s0
	s_mov_b32 s34, s0
	s_mov_b32 s35, s0
	s_addc_u32 s37, s0, s0
	s_xor_b64 s[36:37], s[36:37], s[34:35]
	v_cvt_f32_u32_e32 v3, s36
	v_cvt_f32_u32_e32 v5, s37
	s_sub_u32 s0, 0, s36
	s_subb_u32 s1, 0, s37
	v_mac_f32_e32 v3, 0x4f800000, v5
	v_rcp_f32_e32 v3, v3
	v_mul_f32_e32 v3, 0x5f7ffffc, v3
	v_mul_f32_e32 v5, 0x2f800000, v3
	v_trunc_f32_e32 v5, v5
	v_mac_f32_e32 v3, 0xcf800000, v5
	v_cvt_u32_f32_e32 v5, v5
	v_cvt_u32_f32_e32 v3, v3
	v_mul_lo_u32 v7, s0, v5
	v_mul_hi_u32 v11, s0, v3
	v_mul_lo_u32 v9, s1, v3
	v_add_u32_e32 v7, v11, v7
	v_mul_lo_u32 v13, s0, v3
	v_add_u32_e32 v7, v7, v9
	v_mul_lo_u32 v11, v3, v7
	v_mul_hi_u32 v15, v3, v13
	v_mul_hi_u32 v9, v3, v7
	v_add_co_u32_e32 v11, vcc, v15, v11
	v_addc_co_u32_e32 v9, vcc, 0, v9, vcc
	v_mul_hi_u32 v17, v5, v13
	v_mul_lo_u32 v13, v5, v13
	v_add_co_u32_e32 v11, vcc, v11, v13
	v_mul_hi_u32 v15, v5, v7
	v_addc_co_u32_e32 v9, vcc, v9, v17, vcc
	v_addc_co_u32_e32 v11, vcc, 0, v15, vcc
	v_mul_lo_u32 v7, v5, v7
	v_add_co_u32_e32 v7, vcc, v9, v7
	v_addc_co_u32_e32 v9, vcc, 0, v11, vcc
	v_add_co_u32_e32 v3, vcc, v3, v7
	v_addc_co_u32_e32 v5, vcc, v5, v9, vcc
	v_mul_lo_u32 v7, s0, v5
	v_mul_hi_u32 v9, s0, v3
	v_add_u32_e32 v7, v9, v7
	v_mul_lo_u32 v9, s1, v3
	v_add_u32_e32 v7, v7, v9
	v_mul_lo_u32 v11, s0, v3
	v_mul_hi_u32 v13, v5, v11
	v_mul_lo_u32 v15, v5, v11
	v_mul_lo_u32 v20, v3, v7
	v_mul_hi_u32 v11, v3, v11
	v_mul_hi_u32 v17, v3, v7
	v_add_co_u32_e32 v11, vcc, v11, v20
	v_addc_co_u32_e32 v17, vcc, 0, v17, vcc
	v_add_co_u32_e32 v11, vcc, v11, v15
	v_mul_hi_u32 v9, v5, v7
	v_addc_co_u32_e32 v11, vcc, v17, v13, vcc
	v_addc_co_u32_e32 v9, vcc, 0, v9, vcc
	v_mul_lo_u32 v7, v5, v7
	v_add_co_u32_e32 v7, vcc, v11, v7
	v_addc_co_u32_e32 v9, vcc, 0, v9, vcc
	v_add_co_u32_e32 v3, vcc, v3, v7
	v_addc_co_u32_e32 v5, vcc, v5, v9, vcc
	v_ashrrev_i32_e32 v7, 31, v19
	v_add_co_u32_e32 v9, vcc, v18, v7
	v_xor_b32_e32 v9, v9, v7
	v_addc_co_u32_e32 v11, vcc, v19, v7, vcc
	v_mad_u64_u32 v[20:21], s[0:1], v9, v5, 0
	v_mul_hi_u32 v13, v9, v3
	v_xor_b32_e32 v11, v11, v7
	v_add_co_u32_e32 v13, vcc, v13, v20
	v_addc_co_u32_e32 v15, vcc, 0, v21, vcc
	v_mad_u64_u32 v[22:23], s[0:1], v11, v3, 0
	v_add_co_u32_e32 v3, vcc, v13, v22
	v_mad_u64_u32 v[20:21], s[0:1], v11, v5, 0
	v_addc_co_u32_e32 v3, vcc, v15, v23, vcc
	v_addc_co_u32_e32 v5, vcc, 0, v21, vcc
	v_add_co_u32_e32 v3, vcc, v3, v20
	v_addc_co_u32_e32 v5, vcc, 0, v5, vcc
	v_mul_lo_u32 v13, s37, v3
	v_mul_lo_u32 v15, s36, v5
	v_mad_u64_u32 v[20:21], s[0:1], s36, v3, 0
	v_add3_u32 v13, v21, v15, v13
	v_sub_u32_e32 v15, v11, v13
	v_mov_b32_e32 v17, s37
	v_sub_co_u32_e32 v9, vcc, v9, v20
	v_subb_co_u32_e64 v15, s[0:1], v15, v17, vcc
	v_subrev_co_u32_e64 v17, s[0:1], s36, v9
	v_subbrev_co_u32_e64 v15, s[0:1], 0, v15, s[0:1]
	v_cmp_le_u32_e64 s[0:1], s37, v15
	v_cndmask_b32_e64 v19, 0, -1, s[0:1]
	v_cmp_le_u32_e64 s[0:1], s36, v17
	v_cndmask_b32_e64 v17, 0, -1, s[0:1]
	v_cmp_eq_u32_e64 s[0:1], s37, v15
	v_cndmask_b32_e64 v15, v19, v17, s[0:1]
	v_add_co_u32_e64 v17, s[0:1], 2, v3
	v_subb_co_u32_e32 v11, vcc, v11, v13, vcc
	v_addc_co_u32_e64 v19, s[0:1], 0, v5, s[0:1]
	v_cmp_le_u32_e32 vcc, s37, v11
	v_add_co_u32_e64 v20, s[0:1], 1, v3
	v_cndmask_b32_e64 v13, 0, -1, vcc
	v_cmp_le_u32_e32 vcc, s36, v9
	v_addc_co_u32_e64 v21, s[0:1], 0, v5, s[0:1]
	v_cndmask_b32_e64 v9, 0, -1, vcc
	v_cmp_eq_u32_e32 vcc, s37, v11
	v_cmp_ne_u32_e64 s[0:1], 0, v15
	v_cndmask_b32_e32 v9, v13, v9, vcc
	v_cmp_ne_u32_e32 vcc, 0, v9
	v_cndmask_b32_e64 v9, v20, v17, s[0:1]
	v_cndmask_b32_e64 v15, v21, v19, s[0:1]
	v_cndmask_b32_e32 v3, v3, v9, vcc
	v_xor_b32_e32 v9, s35, v7
	v_xor_b32_e32 v7, s34, v7
	v_cndmask_b32_e32 v5, v5, v15, vcc
	v_xor_b32_e32 v3, v3, v7
	v_xor_b32_e32 v5, v5, v9
	v_sub_co_u32_e32 v20, vcc, v3, v7
	v_subb_co_u32_e32 v21, vcc, v5, v9, vcc
.LBB20_45:                              ;   in Loop: Header=BB20_23 Depth=2
	s_andn2_saveexec_b64 s[0:1], s[30:31]
	s_cbranch_execz .LBB20_47
; %bb.46:                               ;   in Loop: Header=BB20_23 Depth=2
	v_cvt_f32_u32_e32 v3, s59
	s_sub_i32 s16, 0, s59
	v_mov_b32_e32 v21, v2
	v_rcp_iflag_f32_e32 v3, v3
	v_mul_f32_e32 v3, 0x4f7ffffe, v3
	v_cvt_u32_f32_e32 v3, v3
	v_mul_lo_u32 v5, s16, v3
	v_mul_hi_u32 v5, v3, v5
	v_add_u32_e32 v3, v3, v5
	v_mul_hi_u32 v3, v18, v3
	v_mul_lo_u32 v5, v3, s59
	v_sub_u32_e32 v5, v18, v5
	v_add_u32_e32 v7, 1, v3
	v_subrev_u32_e32 v9, s59, v5
	v_cmp_le_u32_e32 vcc, s59, v5
	v_cndmask_b32_e32 v5, v5, v9, vcc
	v_cndmask_b32_e32 v3, v3, v7, vcc
	v_add_u32_e32 v7, 1, v3
	v_cmp_le_u32_e32 vcc, s59, v5
	v_cndmask_b32_e32 v20, v3, v7, vcc
.LBB20_47:                              ;   in Loop: Header=BB20_23 Depth=2
	s_or_b64 exec, exec, s[0:1]
	s_add_u32 s0, s43, s28
	s_addc_u32 s1, s44, s29
	s_add_i32 s16, s26, 1
	s_lshl_b64 s[28:29], s[16:17], 2
	s_add_u32 s30, s39, s28
	s_addc_u32 s31, s40, s29
	s_load_dword s16, s[30:31], 0x0
	s_load_dword s61, s[0:1], 0x0
                                        ; implicit-def: $vgpr22_vgpr23
	s_waitcnt lgkmcnt(0)
	s_ashr_i32 s0, s16, 31
	v_or_b32_e32 v3, s0, v21
	v_cmp_ne_u64_e32 vcc, 0, v[2:3]
	s_and_saveexec_b64 s[30:31], vcc
	s_xor_b64 s[30:31], exec, s[30:31]
	s_cbranch_execz .LBB20_49
; %bb.48:                               ;   in Loop: Header=BB20_23 Depth=2
	s_add_u32 s36, s16, s0
	s_mov_b32 s34, s0
	s_mov_b32 s35, s0
	s_addc_u32 s37, s0, s0
	s_xor_b64 s[36:37], s[36:37], s[34:35]
	v_cvt_f32_u32_e32 v3, s36
	v_cvt_f32_u32_e32 v5, s37
	s_sub_u32 s0, 0, s36
	s_subb_u32 s1, 0, s37
	v_mac_f32_e32 v3, 0x4f800000, v5
	v_rcp_f32_e32 v3, v3
	v_mul_f32_e32 v3, 0x5f7ffffc, v3
	v_mul_f32_e32 v5, 0x2f800000, v3
	v_trunc_f32_e32 v5, v5
	v_mac_f32_e32 v3, 0xcf800000, v5
	v_cvt_u32_f32_e32 v5, v5
	v_cvt_u32_f32_e32 v3, v3
	v_mul_lo_u32 v7, s0, v5
	v_mul_hi_u32 v11, s0, v3
	v_mul_lo_u32 v9, s1, v3
	v_add_u32_e32 v7, v11, v7
	v_mul_lo_u32 v13, s0, v3
	v_add_u32_e32 v7, v7, v9
	v_mul_lo_u32 v11, v3, v7
	v_mul_hi_u32 v15, v3, v13
	v_mul_hi_u32 v9, v3, v7
	v_add_co_u32_e32 v11, vcc, v15, v11
	v_addc_co_u32_e32 v9, vcc, 0, v9, vcc
	v_mul_hi_u32 v17, v5, v13
	v_mul_lo_u32 v13, v5, v13
	v_add_co_u32_e32 v11, vcc, v11, v13
	v_mul_hi_u32 v15, v5, v7
	v_addc_co_u32_e32 v9, vcc, v9, v17, vcc
	v_addc_co_u32_e32 v11, vcc, 0, v15, vcc
	v_mul_lo_u32 v7, v5, v7
	v_add_co_u32_e32 v7, vcc, v9, v7
	v_addc_co_u32_e32 v9, vcc, 0, v11, vcc
	v_add_co_u32_e32 v3, vcc, v3, v7
	v_addc_co_u32_e32 v5, vcc, v5, v9, vcc
	v_mul_lo_u32 v7, s0, v5
	v_mul_hi_u32 v9, s0, v3
	v_add_u32_e32 v7, v9, v7
	v_mul_lo_u32 v9, s1, v3
	v_add_u32_e32 v7, v7, v9
	v_mul_lo_u32 v11, s0, v3
	v_mul_hi_u32 v13, v5, v11
	v_mul_lo_u32 v15, v5, v11
	v_mul_lo_u32 v19, v3, v7
	v_mul_hi_u32 v11, v3, v11
	v_mul_hi_u32 v17, v3, v7
	v_add_co_u32_e32 v11, vcc, v11, v19
	v_addc_co_u32_e32 v17, vcc, 0, v17, vcc
	v_add_co_u32_e32 v11, vcc, v11, v15
	v_mul_hi_u32 v9, v5, v7
	v_addc_co_u32_e32 v11, vcc, v17, v13, vcc
	v_addc_co_u32_e32 v9, vcc, 0, v9, vcc
	v_mul_lo_u32 v7, v5, v7
	v_add_co_u32_e32 v7, vcc, v11, v7
	v_addc_co_u32_e32 v9, vcc, 0, v9, vcc
	v_add_co_u32_e32 v3, vcc, v3, v7
	v_addc_co_u32_e32 v5, vcc, v5, v9, vcc
	v_ashrrev_i32_e32 v7, 31, v21
	v_add_co_u32_e32 v9, vcc, v20, v7
	v_xor_b32_e32 v9, v9, v7
	v_addc_co_u32_e32 v11, vcc, v21, v7, vcc
	v_mad_u64_u32 v[22:23], s[0:1], v9, v5, 0
	v_mul_hi_u32 v13, v9, v3
	v_xor_b32_e32 v11, v11, v7
	v_add_co_u32_e32 v13, vcc, v13, v22
	v_addc_co_u32_e32 v15, vcc, 0, v23, vcc
	v_mad_u64_u32 v[24:25], s[0:1], v11, v3, 0
	v_add_co_u32_e32 v3, vcc, v13, v24
	v_mad_u64_u32 v[22:23], s[0:1], v11, v5, 0
	v_addc_co_u32_e32 v3, vcc, v15, v25, vcc
	v_addc_co_u32_e32 v5, vcc, 0, v23, vcc
	v_add_co_u32_e32 v3, vcc, v3, v22
	v_addc_co_u32_e32 v5, vcc, 0, v5, vcc
	v_mul_lo_u32 v13, s37, v3
	v_mul_lo_u32 v15, s36, v5
	v_mad_u64_u32 v[22:23], s[0:1], s36, v3, 0
	v_add3_u32 v13, v23, v15, v13
	v_sub_u32_e32 v15, v11, v13
	v_mov_b32_e32 v17, s37
	v_sub_co_u32_e32 v9, vcc, v9, v22
	v_subb_co_u32_e64 v15, s[0:1], v15, v17, vcc
	v_subrev_co_u32_e64 v17, s[0:1], s36, v9
	v_subbrev_co_u32_e64 v15, s[0:1], 0, v15, s[0:1]
	v_cmp_le_u32_e64 s[0:1], s37, v15
	v_cndmask_b32_e64 v19, 0, -1, s[0:1]
	v_cmp_le_u32_e64 s[0:1], s36, v17
	v_cndmask_b32_e64 v17, 0, -1, s[0:1]
	v_cmp_eq_u32_e64 s[0:1], s37, v15
	v_cndmask_b32_e64 v15, v19, v17, s[0:1]
	v_add_co_u32_e64 v17, s[0:1], 2, v3
	v_subb_co_u32_e32 v11, vcc, v11, v13, vcc
	v_addc_co_u32_e64 v19, s[0:1], 0, v5, s[0:1]
	v_cmp_le_u32_e32 vcc, s37, v11
	v_add_co_u32_e64 v21, s[0:1], 1, v3
	v_cndmask_b32_e64 v13, 0, -1, vcc
	v_cmp_le_u32_e32 vcc, s36, v9
	v_addc_co_u32_e64 v22, s[0:1], 0, v5, s[0:1]
	v_cndmask_b32_e64 v9, 0, -1, vcc
	v_cmp_eq_u32_e32 vcc, s37, v11
	v_cmp_ne_u32_e64 s[0:1], 0, v15
	v_cndmask_b32_e32 v9, v13, v9, vcc
	v_cmp_ne_u32_e32 vcc, 0, v9
	v_cndmask_b32_e64 v9, v21, v17, s[0:1]
	v_cndmask_b32_e64 v15, v22, v19, s[0:1]
	v_cndmask_b32_e32 v3, v3, v9, vcc
	v_xor_b32_e32 v9, s35, v7
	v_xor_b32_e32 v7, s34, v7
	v_cndmask_b32_e32 v5, v5, v15, vcc
	v_xor_b32_e32 v3, v3, v7
	v_xor_b32_e32 v5, v5, v9
	v_sub_co_u32_e32 v22, vcc, v3, v7
	v_subb_co_u32_e32 v23, vcc, v5, v9, vcc
.LBB20_49:                              ;   in Loop: Header=BB20_23 Depth=2
	s_andn2_saveexec_b64 s[0:1], s[30:31]
	s_cbranch_execz .LBB20_51
; %bb.50:                               ;   in Loop: Header=BB20_23 Depth=2
	v_cvt_f32_u32_e32 v3, s16
	s_sub_i32 s27, 0, s16
	v_mov_b32_e32 v23, v2
	v_rcp_iflag_f32_e32 v3, v3
	v_mul_f32_e32 v3, 0x4f7ffffe, v3
	v_cvt_u32_f32_e32 v3, v3
	v_mul_lo_u32 v5, s27, v3
	v_mul_hi_u32 v5, v3, v5
	v_add_u32_e32 v3, v3, v5
	v_mul_hi_u32 v3, v20, v3
	v_mul_lo_u32 v5, v3, s16
	v_sub_u32_e32 v5, v20, v5
	v_add_u32_e32 v7, 1, v3
	v_subrev_u32_e32 v9, s16, v5
	v_cmp_le_u32_e32 vcc, s16, v5
	v_cndmask_b32_e32 v5, v5, v9, vcc
	v_cndmask_b32_e32 v3, v3, v7, vcc
	v_add_u32_e32 v7, 1, v3
	v_cmp_le_u32_e32 vcc, s16, v5
	v_cndmask_b32_e32 v22, v3, v7, vcc
.LBB20_51:                              ;   in Loop: Header=BB20_23 Depth=2
	s_or_b64 exec, exec, s[0:1]
	s_add_u32 s0, s43, s28
	s_mov_b32 s27, s17
	s_addc_u32 s1, s44, s29
	s_lshl_b64 s[28:29], s[26:27], 2
	s_add_u32 s30, s39, s28
	s_addc_u32 s31, s40, s29
	s_load_dword s27, s[30:31], 0x0
	s_load_dword s62, s[0:1], 0x0
                                        ; implicit-def: $vgpr24_vgpr25
	s_waitcnt lgkmcnt(0)
	s_ashr_i32 s0, s27, 31
	v_or_b32_e32 v3, s0, v23
	v_cmp_ne_u64_e32 vcc, 0, v[2:3]
	s_and_saveexec_b64 s[30:31], vcc
	s_xor_b64 s[30:31], exec, s[30:31]
	s_cbranch_execz .LBB20_53
; %bb.52:                               ;   in Loop: Header=BB20_23 Depth=2
	s_add_u32 s36, s27, s0
	s_mov_b32 s34, s0
	s_mov_b32 s35, s0
	s_addc_u32 s37, s0, s0
	s_xor_b64 s[36:37], s[36:37], s[34:35]
	v_cvt_f32_u32_e32 v3, s36
	v_cvt_f32_u32_e32 v5, s37
	s_sub_u32 s0, 0, s36
	s_subb_u32 s1, 0, s37
	v_mac_f32_e32 v3, 0x4f800000, v5
	v_rcp_f32_e32 v3, v3
	v_mul_f32_e32 v3, 0x5f7ffffc, v3
	v_mul_f32_e32 v5, 0x2f800000, v3
	v_trunc_f32_e32 v5, v5
	v_mac_f32_e32 v3, 0xcf800000, v5
	v_cvt_u32_f32_e32 v5, v5
	v_cvt_u32_f32_e32 v3, v3
	v_mul_lo_u32 v7, s0, v5
	v_mul_hi_u32 v11, s0, v3
	v_mul_lo_u32 v9, s1, v3
	v_add_u32_e32 v7, v11, v7
	v_mul_lo_u32 v13, s0, v3
	v_add_u32_e32 v7, v7, v9
	v_mul_lo_u32 v11, v3, v7
	v_mul_hi_u32 v15, v3, v13
	v_mul_hi_u32 v9, v3, v7
	v_add_co_u32_e32 v11, vcc, v15, v11
	v_addc_co_u32_e32 v9, vcc, 0, v9, vcc
	v_mul_hi_u32 v17, v5, v13
	v_mul_lo_u32 v13, v5, v13
	v_add_co_u32_e32 v11, vcc, v11, v13
	v_mul_hi_u32 v15, v5, v7
	v_addc_co_u32_e32 v9, vcc, v9, v17, vcc
	v_addc_co_u32_e32 v11, vcc, 0, v15, vcc
	v_mul_lo_u32 v7, v5, v7
	v_add_co_u32_e32 v7, vcc, v9, v7
	v_addc_co_u32_e32 v9, vcc, 0, v11, vcc
	v_add_co_u32_e32 v3, vcc, v3, v7
	v_addc_co_u32_e32 v5, vcc, v5, v9, vcc
	v_mul_lo_u32 v7, s0, v5
	v_mul_hi_u32 v9, s0, v3
	v_add_u32_e32 v7, v9, v7
	v_mul_lo_u32 v9, s1, v3
	v_add_u32_e32 v7, v7, v9
	v_mul_lo_u32 v11, s0, v3
	v_mul_hi_u32 v13, v5, v11
	v_mul_lo_u32 v15, v5, v11
	v_mul_lo_u32 v19, v3, v7
	v_mul_hi_u32 v11, v3, v11
	v_mul_hi_u32 v17, v3, v7
	v_add_co_u32_e32 v11, vcc, v11, v19
	v_addc_co_u32_e32 v17, vcc, 0, v17, vcc
	v_add_co_u32_e32 v11, vcc, v11, v15
	v_mul_hi_u32 v9, v5, v7
	v_addc_co_u32_e32 v11, vcc, v17, v13, vcc
	v_addc_co_u32_e32 v9, vcc, 0, v9, vcc
	v_mul_lo_u32 v7, v5, v7
	v_add_co_u32_e32 v7, vcc, v11, v7
	v_addc_co_u32_e32 v9, vcc, 0, v9, vcc
	v_add_co_u32_e32 v3, vcc, v3, v7
	v_addc_co_u32_e32 v5, vcc, v5, v9, vcc
	v_ashrrev_i32_e32 v7, 31, v23
	v_add_co_u32_e32 v9, vcc, v22, v7
	v_xor_b32_e32 v9, v9, v7
	v_addc_co_u32_e32 v11, vcc, v23, v7, vcc
	v_mad_u64_u32 v[24:25], s[0:1], v9, v5, 0
	v_mul_hi_u32 v13, v9, v3
	v_xor_b32_e32 v11, v11, v7
	v_add_co_u32_e32 v13, vcc, v13, v24
	v_addc_co_u32_e32 v15, vcc, 0, v25, vcc
	v_mad_u64_u32 v[30:31], s[0:1], v11, v3, 0
	v_add_co_u32_e32 v3, vcc, v13, v30
	v_mad_u64_u32 v[24:25], s[0:1], v11, v5, 0
	v_addc_co_u32_e32 v3, vcc, v15, v31, vcc
	v_addc_co_u32_e32 v5, vcc, 0, v25, vcc
	v_add_co_u32_e32 v3, vcc, v3, v24
	v_addc_co_u32_e32 v5, vcc, 0, v5, vcc
	v_mul_lo_u32 v13, s37, v3
	v_mul_lo_u32 v15, s36, v5
	v_mad_u64_u32 v[24:25], s[0:1], s36, v3, 0
	v_add3_u32 v13, v25, v15, v13
	v_sub_u32_e32 v15, v11, v13
	v_mov_b32_e32 v17, s37
	v_sub_co_u32_e32 v9, vcc, v9, v24
	v_subb_co_u32_e64 v15, s[0:1], v15, v17, vcc
	v_subrev_co_u32_e64 v17, s[0:1], s36, v9
	v_subbrev_co_u32_e64 v15, s[0:1], 0, v15, s[0:1]
	v_cmp_le_u32_e64 s[0:1], s37, v15
	v_cndmask_b32_e64 v19, 0, -1, s[0:1]
	v_cmp_le_u32_e64 s[0:1], s36, v17
	v_cndmask_b32_e64 v17, 0, -1, s[0:1]
	v_cmp_eq_u32_e64 s[0:1], s37, v15
	v_cndmask_b32_e64 v15, v19, v17, s[0:1]
	v_add_co_u32_e64 v17, s[0:1], 2, v3
	v_subb_co_u32_e32 v11, vcc, v11, v13, vcc
	v_addc_co_u32_e64 v19, s[0:1], 0, v5, s[0:1]
	v_cmp_le_u32_e32 vcc, s37, v11
	v_add_co_u32_e64 v21, s[0:1], 1, v3
	v_cndmask_b32_e64 v13, 0, -1, vcc
	v_cmp_le_u32_e32 vcc, s36, v9
	v_addc_co_u32_e64 v23, s[0:1], 0, v5, s[0:1]
	v_cndmask_b32_e64 v9, 0, -1, vcc
	v_cmp_eq_u32_e32 vcc, s37, v11
	v_cmp_ne_u32_e64 s[0:1], 0, v15
	v_cndmask_b32_e32 v9, v13, v9, vcc
	v_cmp_ne_u32_e32 vcc, 0, v9
	v_cndmask_b32_e64 v9, v21, v17, s[0:1]
	v_cndmask_b32_e64 v15, v23, v19, s[0:1]
	v_cndmask_b32_e32 v3, v3, v9, vcc
	v_xor_b32_e32 v9, s35, v7
	v_xor_b32_e32 v7, s34, v7
	v_cndmask_b32_e32 v5, v5, v15, vcc
	v_xor_b32_e32 v3, v3, v7
	v_xor_b32_e32 v5, v5, v9
	v_sub_co_u32_e32 v24, vcc, v3, v7
	v_subb_co_u32_e32 v25, vcc, v5, v9, vcc
.LBB20_53:                              ;   in Loop: Header=BB20_23 Depth=2
	s_andn2_saveexec_b64 s[0:1], s[30:31]
	s_cbranch_execz .LBB20_55
; %bb.54:                               ;   in Loop: Header=BB20_23 Depth=2
	v_cvt_f32_u32_e32 v3, s27
	s_sub_i32 s30, 0, s27
	v_mov_b32_e32 v25, v2
	v_rcp_iflag_f32_e32 v3, v3
	v_mul_f32_e32 v3, 0x4f7ffffe, v3
	v_cvt_u32_f32_e32 v3, v3
	v_mul_lo_u32 v5, s30, v3
	v_mul_hi_u32 v5, v3, v5
	v_add_u32_e32 v3, v3, v5
	v_mul_hi_u32 v3, v22, v3
	v_mul_lo_u32 v5, v3, s27
	v_sub_u32_e32 v5, v22, v5
	v_add_u32_e32 v7, 1, v3
	v_subrev_u32_e32 v9, s27, v5
	v_cmp_le_u32_e32 vcc, s27, v5
	v_cndmask_b32_e32 v5, v5, v9, vcc
	v_cndmask_b32_e32 v3, v3, v7, vcc
	v_add_u32_e32 v7, 1, v3
	v_cmp_le_u32_e32 vcc, s27, v5
	v_cndmask_b32_e32 v24, v3, v7, vcc
.LBB20_55:                              ;   in Loop: Header=BB20_23 Depth=2
	s_or_b64 exec, exec, s[0:1]
	v_mul_lo_u32 v3, v10, s50
	v_mul_lo_u32 v5, v12, s51
	v_sub_u32_e32 v3, v8, v3
	v_sub_u32_e32 v5, v10, v5
	v_mul_lo_u32 v3, s52, v3
	v_mul_lo_u32 v5, s54, v5
	v_add3_u32 v3, v3, v6, v5
	v_mul_lo_u32 v5, v14, s53
	v_mul_lo_u32 v6, v16, s55
	v_sub_u32_e32 v5, v12, v5
	v_sub_u32_e32 v6, v14, v6
	s_add_u32 s0, s43, s28
	v_mul_lo_u32 v5, s56, v5
	v_mul_lo_u32 v6, s58, v6
	s_addc_u32 s1, s44, s29
	v_add3_u32 v3, v5, v3, v6
	v_mul_lo_u32 v5, v18, s57
	v_mul_lo_u32 v6, v20, s59
	s_load_dword s0, s[0:1], 0x0
	v_sub_u32_e32 v5, v16, v5
	v_sub_u32_e32 v6, v18, v6
	v_mul_lo_u32 v5, s60, v5
	v_mul_lo_u32 v6, s61, v6
	v_add3_u32 v3, v5, v3, v6
	v_mul_lo_u32 v5, v22, s16
	v_mul_lo_u32 v6, v24, s27
	v_sub_u32_e32 v5, v20, v5
	v_sub_u32_e32 v6, v22, v6
	v_mul_lo_u32 v5, s62, v5
	s_waitcnt lgkmcnt(0)
	v_mul_lo_u32 v6, s0, v6
	s_add_i32 s26, s26, -8
	s_cmp_eq_u32 s26, -8
	v_add3_u32 v6, v5, v3, v6
	s_cbranch_scc1 .LBB20_57
; %bb.56:                               ;   in Loop: Header=BB20_23 Depth=2
	v_pk_mov_b32 v[8:9], v[24:25], v[24:25] op_sel:[0,1]
	s_branch .LBB20_23
.LBB20_57:                              ;   in Loop: Header=BB20_3 Depth=1
	s_load_dword s16, s[14:15], 0x0
	s_waitcnt lgkmcnt(0)
	v_cmp_gt_i32_e32 vcc, s16, v28
	s_and_b64 exec, exec, vcc
	s_cbranch_execz .LBB20_2
; %bb.58:                               ;   in Loop: Header=BB20_3 Depth=1
	v_ashrrev_i32_e32 v5, 31, v4
	v_cmp_lt_i64_e32 vcc, s[8:9], v[4:5]
	s_and_saveexec_b64 s[0:1], vcc
	s_cbranch_execz .LBB20_60
; %bb.59:                               ;   in Loop: Header=BB20_3 Depth=1
	v_ashrrev_i32_e32 v7, 31, v6
	v_lshlrev_b64 v[4:5], 3, v[6:7]
	v_mov_b32_e32 v3, s3
	v_add_co_u32_e32 v4, vcc, s2, v4
	v_addc_co_u32_e32 v5, vcc, v3, v5, vcc
	v_mov_b32_e32 v3, v2
	global_store_dwordx2 v[4:5], v[2:3], off
.LBB20_60:                              ;   in Loop: Header=BB20_3 Depth=1
	s_or_b64 exec, exec, s[0:1]
	v_add_u32_e32 v3, 1, v28
	v_cmp_gt_i32_e32 vcc, s16, v3
	s_and_b64 exec, exec, vcc
	s_cbranch_execz .LBB20_2
; %bb.61:                               ;   in Loop: Header=BB20_3 Depth=1
	v_sub_u32_e32 v4, v3, v27
	v_ashrrev_i32_e32 v5, 31, v4
	v_cmp_lt_i64_e32 vcc, s[8:9], v[4:5]
	s_and_b64 exec, exec, vcc
	s_cbranch_execz .LBB20_2
; %bb.62:                               ;   in Loop: Header=BB20_3 Depth=1
	v_add_u32_e32 v4, s49, v6
	v_ashrrev_i32_e32 v5, 31, v4
	v_lshlrev_b64 v[4:5], 3, v[4:5]
	v_mov_b32_e32 v3, s3
	v_add_co_u32_e32 v4, vcc, s2, v4
	v_addc_co_u32_e32 v5, vcc, v3, v5, vcc
	v_mov_b32_e32 v3, v2
	global_store_dwordx2 v[4:5], v[2:3], off
	s_branch .LBB20_2
.LBB20_63:
	s_endpgm
	.section	.rodata,"a",@progbits
	.p2align	6, 0x0
	.amdhsa_kernel _ZN2at6native16triu_tril_kernelIdiLb0ELi2ELb1EEEvNS_4cuda6detail10TensorInfoIT_T0_EENS4_IKS5_S6_EEllS6_
		.amdhsa_group_segment_fixed_size 0
		.amdhsa_private_segment_fixed_size 0
		.amdhsa_kernarg_size 712
		.amdhsa_user_sgpr_count 6
		.amdhsa_user_sgpr_private_segment_buffer 1
		.amdhsa_user_sgpr_dispatch_ptr 0
		.amdhsa_user_sgpr_queue_ptr 0
		.amdhsa_user_sgpr_kernarg_segment_ptr 1
		.amdhsa_user_sgpr_dispatch_id 0
		.amdhsa_user_sgpr_flat_scratch_init 0
		.amdhsa_user_sgpr_kernarg_preload_length 0
		.amdhsa_user_sgpr_kernarg_preload_offset 0
		.amdhsa_user_sgpr_private_segment_size 0
		.amdhsa_uses_dynamic_stack 0
		.amdhsa_system_sgpr_private_segment_wavefront_offset 0
		.amdhsa_system_sgpr_workgroup_id_x 1
		.amdhsa_system_sgpr_workgroup_id_y 0
		.amdhsa_system_sgpr_workgroup_id_z 0
		.amdhsa_system_sgpr_workgroup_info 0
		.amdhsa_system_vgpr_workitem_id 0
		.amdhsa_next_free_vgpr 32
		.amdhsa_next_free_sgpr 63
		.amdhsa_accum_offset 32
		.amdhsa_reserve_vcc 1
		.amdhsa_reserve_flat_scratch 0
		.amdhsa_float_round_mode_32 0
		.amdhsa_float_round_mode_16_64 0
		.amdhsa_float_denorm_mode_32 3
		.amdhsa_float_denorm_mode_16_64 3
		.amdhsa_dx10_clamp 1
		.amdhsa_ieee_mode 1
		.amdhsa_fp16_overflow 0
		.amdhsa_tg_split 0
		.amdhsa_exception_fp_ieee_invalid_op 0
		.amdhsa_exception_fp_denorm_src 0
		.amdhsa_exception_fp_ieee_div_zero 0
		.amdhsa_exception_fp_ieee_overflow 0
		.amdhsa_exception_fp_ieee_underflow 0
		.amdhsa_exception_fp_ieee_inexact 0
		.amdhsa_exception_int_div_zero 0
	.end_amdhsa_kernel
	.section	.text._ZN2at6native16triu_tril_kernelIdiLb0ELi2ELb1EEEvNS_4cuda6detail10TensorInfoIT_T0_EENS4_IKS5_S6_EEllS6_,"axG",@progbits,_ZN2at6native16triu_tril_kernelIdiLb0ELi2ELb1EEEvNS_4cuda6detail10TensorInfoIT_T0_EENS4_IKS5_S6_EEllS6_,comdat
.Lfunc_end20:
	.size	_ZN2at6native16triu_tril_kernelIdiLb0ELi2ELb1EEEvNS_4cuda6detail10TensorInfoIT_T0_EENS4_IKS5_S6_EEllS6_, .Lfunc_end20-_ZN2at6native16triu_tril_kernelIdiLb0ELi2ELb1EEEvNS_4cuda6detail10TensorInfoIT_T0_EENS4_IKS5_S6_EEllS6_
                                        ; -- End function
	.section	.AMDGPU.csdata,"",@progbits
; Kernel info:
; codeLenInByte = 10144
; NumSgprs: 67
; NumVgprs: 32
; NumAgprs: 0
; TotalNumVgprs: 32
; ScratchSize: 0
; MemoryBound: 0
; FloatMode: 240
; IeeeMode: 1
; LDSByteSize: 0 bytes/workgroup (compile time only)
; SGPRBlocks: 8
; VGPRBlocks: 3
; NumSGPRsForWavesPerEU: 67
; NumVGPRsForWavesPerEU: 32
; AccumOffset: 32
; Occupancy: 8
; WaveLimiterHint : 0
; COMPUTE_PGM_RSRC2:SCRATCH_EN: 0
; COMPUTE_PGM_RSRC2:USER_SGPR: 6
; COMPUTE_PGM_RSRC2:TRAP_HANDLER: 0
; COMPUTE_PGM_RSRC2:TGID_X_EN: 1
; COMPUTE_PGM_RSRC2:TGID_Y_EN: 0
; COMPUTE_PGM_RSRC2:TGID_Z_EN: 0
; COMPUTE_PGM_RSRC2:TIDIG_COMP_CNT: 0
; COMPUTE_PGM_RSRC3_GFX90A:ACCUM_OFFSET: 7
; COMPUTE_PGM_RSRC3_GFX90A:TG_SPLIT: 0
	.section	.text._ZN2at6native16triu_tril_kernelIdiLb0ELi2ELb0EEEvNS_4cuda6detail10TensorInfoIT_T0_EENS4_IKS5_S6_EEllS6_,"axG",@progbits,_ZN2at6native16triu_tril_kernelIdiLb0ELi2ELb0EEEvNS_4cuda6detail10TensorInfoIT_T0_EENS4_IKS5_S6_EEllS6_,comdat
	.protected	_ZN2at6native16triu_tril_kernelIdiLb0ELi2ELb0EEEvNS_4cuda6detail10TensorInfoIT_T0_EENS4_IKS5_S6_EEllS6_ ; -- Begin function _ZN2at6native16triu_tril_kernelIdiLb0ELi2ELb0EEEvNS_4cuda6detail10TensorInfoIT_T0_EENS4_IKS5_S6_EEllS6_
	.globl	_ZN2at6native16triu_tril_kernelIdiLb0ELi2ELb0EEEvNS_4cuda6detail10TensorInfoIT_T0_EENS4_IKS5_S6_EEllS6_
	.p2align	8
	.type	_ZN2at6native16triu_tril_kernelIdiLb0ELi2ELb0EEEvNS_4cuda6detail10TensorInfoIT_T0_EENS4_IKS5_S6_EEllS6_,@function
_ZN2at6native16triu_tril_kernelIdiLb0ELi2ELb0EEEvNS_4cuda6detail10TensorInfoIT_T0_EENS4_IKS5_S6_EEllS6_: ; @_ZN2at6native16triu_tril_kernelIdiLb0ELi2ELb0EEEvNS_4cuda6detail10TensorInfoIT_T0_EENS4_IKS5_S6_EEllS6_
; %bb.0:
	s_load_dword s2, s[4:5], 0x1d4
	s_load_dwordx4 s[8:11], s[4:5], 0x1b0
	s_add_u32 s0, s4, 0x1c8
	v_mov_b32_e32 v2, 0
	s_addc_u32 s1, s5, 0
	s_waitcnt lgkmcnt(0)
	s_and_b32 s2, s2, 0xffff
	v_mov_b32_e32 v1, v2
	v_mov_b32_e32 v3, s6
	v_mad_u64_u32 v[0:1], s[6:7], s2, v3, v[0:1]
	v_lshlrev_b64 v[0:1], 1, v[0:1]
	v_cmp_gt_i64_e32 vcc, s[10:11], v[0:1]
	s_and_saveexec_b64 s[6:7], vcc
	s_cbranch_execz .LBB21_52
; %bb.1:
	s_load_dword s20, s[4:5], 0x1a8
	s_add_u32 s33, s4, 0xd8
	s_addc_u32 s42, s5, 0
	s_load_dword s3, s[0:1], 0x0
	s_load_dwordx2 s[6:7], s[4:5], 0xd8
	s_mov_b64 s[26:27], 0
	s_waitcnt lgkmcnt(0)
	s_ashr_i32 s21, s20, 31
	s_lshl_b64 s[0:1], s[20:21], 2
	s_add_u32 s18, s0, -8
	s_addc_u32 s19, s1, -1
	s_add_u32 s0, s33, s18
	s_addc_u32 s1, s42, s19
	s_load_dwordx2 s[12:13], s[0:1], 0x8
	s_load_dword s43, s[4:5], 0x1c0
	s_load_dwordx2 s[16:17], s[0:1], 0x6c
	s_mul_i32 s3, s3, s2
	v_cmp_gt_i64_e64 s[14:15], s[20:21], 2
	s_waitcnt lgkmcnt(0)
	s_ashr_i32 s44, s12, 31
	v_cvt_f32_u32_e32 v3, s43
	s_ashr_i32 s45, s43, 31
	s_add_u32 s46, s4, 0x6c
	s_addc_u32 s47, s5, 0
	s_add_u32 s0, s46, s18
	v_rcp_iflag_f32_e32 v3, v3
	s_addc_u32 s1, s47, s19
	s_load_dwordx2 s[18:19], s[0:1], 0x0
	s_add_i32 s48, s20, -3
	s_load_dwordx2 s[4:5], s[4:5], 0x0
	s_lshl_b32 s49, s3, 1
	s_and_b32 s51, s20, 3
	v_mul_f32_e32 v3, 0x4f7ffffe, v3
	s_cmp_lg_u32 s51, 2
	v_cvt_u32_f32_e32 v22, v3
	s_cselect_b64 s[22:23], -1, 0
	s_cmp_gt_u32 s48, 2
	s_mov_b32 s21, 0
	s_cselect_b64 s[24:25], -1, 0
	s_ashr_i32 s1, s17, 31
	s_mov_b32 s0, s17
	s_waitcnt lgkmcnt(0)
	s_ashr_i32 s3, s19, 31
	s_mov_b32 s2, s19
	s_mov_b32 s50, s21
	s_lshl_b64 s[28:29], s[0:1], 3
	s_lshl_b64 s[30:31], s[2:3], 3
	s_branch .LBB21_3
.LBB21_2:                               ;   in Loop: Header=BB21_3 Depth=1
	s_or_b64 exec, exec, s[0:1]
	v_mov_b32_e32 v3, s50
	v_add_co_u32_e32 v0, vcc, s49, v0
	v_addc_co_u32_e32 v1, vcc, v1, v3, vcc
	v_cmp_le_i64_e32 vcc, s[10:11], v[0:1]
	s_or_b64 s[26:27], vcc, s[26:27]
	s_andn2_b64 exec, exec, s[26:27]
	s_cbranch_execz .LBB21_52
.LBB21_3:                               ; =>This Loop Header: Depth=1
                                        ;     Child Loop BB21_37 Depth 2
                                        ;     Child Loop BB21_18 Depth 2
	v_or_b32_e32 v3, s45, v1
	v_cmp_ne_u64_e32 vcc, 0, v[2:3]
                                        ; implicit-def: $vgpr4_vgpr5
                                        ; implicit-def: $vgpr14_vgpr15
	s_and_saveexec_b64 s[0:1], vcc
	s_xor_b64 s[34:35], exec, s[0:1]
	s_cbranch_execz .LBB21_5
; %bb.4:                                ;   in Loop: Header=BB21_3 Depth=1
	s_add_u32 s0, s43, s45
	s_mov_b32 s2, s45
	s_mov_b32 s3, s45
	s_addc_u32 s1, s45, s45
	s_xor_b64 s[36:37], s[0:1], s[2:3]
	v_cvt_f32_u32_e32 v3, s36
	v_cvt_f32_u32_e32 v4, s37
	s_sub_u32 s0, 0, s36
	s_subb_u32 s1, 0, s37
	v_mac_f32_e32 v3, 0x4f800000, v4
	v_rcp_f32_e32 v3, v3
	v_mul_f32_e32 v3, 0x5f7ffffc, v3
	v_mul_f32_e32 v4, 0x2f800000, v3
	v_trunc_f32_e32 v4, v4
	v_mac_f32_e32 v3, 0xcf800000, v4
	v_cvt_u32_f32_e32 v4, v4
	v_cvt_u32_f32_e32 v3, v3
	v_mul_lo_u32 v5, s0, v4
	v_mul_hi_u32 v7, s0, v3
	v_mul_lo_u32 v6, s1, v3
	v_add_u32_e32 v5, v7, v5
	v_mul_lo_u32 v8, s0, v3
	v_add_u32_e32 v5, v5, v6
	v_mul_lo_u32 v7, v3, v5
	v_mul_hi_u32 v9, v3, v8
	v_mul_hi_u32 v6, v3, v5
	v_add_co_u32_e32 v7, vcc, v9, v7
	v_addc_co_u32_e32 v6, vcc, 0, v6, vcc
	v_mul_hi_u32 v10, v4, v8
	v_mul_lo_u32 v8, v4, v8
	v_add_co_u32_e32 v7, vcc, v7, v8
	v_mul_hi_u32 v9, v4, v5
	v_addc_co_u32_e32 v6, vcc, v6, v10, vcc
	v_addc_co_u32_e32 v7, vcc, 0, v9, vcc
	v_mul_lo_u32 v5, v4, v5
	v_add_co_u32_e32 v5, vcc, v6, v5
	v_addc_co_u32_e32 v6, vcc, 0, v7, vcc
	v_add_co_u32_e32 v3, vcc, v3, v5
	v_addc_co_u32_e32 v4, vcc, v4, v6, vcc
	v_mul_lo_u32 v5, s0, v4
	v_mul_hi_u32 v6, s0, v3
	v_add_u32_e32 v5, v6, v5
	v_mul_lo_u32 v6, s1, v3
	v_add_u32_e32 v5, v5, v6
	v_mul_lo_u32 v7, s0, v3
	v_mul_hi_u32 v8, v4, v7
	v_mul_lo_u32 v9, v4, v7
	v_mul_lo_u32 v11, v3, v5
	v_mul_hi_u32 v7, v3, v7
	v_mul_hi_u32 v10, v3, v5
	v_add_co_u32_e32 v7, vcc, v7, v11
	v_addc_co_u32_e32 v10, vcc, 0, v10, vcc
	v_add_co_u32_e32 v7, vcc, v7, v9
	v_mul_hi_u32 v6, v4, v5
	v_addc_co_u32_e32 v7, vcc, v10, v8, vcc
	v_addc_co_u32_e32 v6, vcc, 0, v6, vcc
	v_mul_lo_u32 v5, v4, v5
	v_add_co_u32_e32 v5, vcc, v7, v5
	v_addc_co_u32_e32 v6, vcc, 0, v6, vcc
	v_add_co_u32_e32 v3, vcc, v3, v5
	v_addc_co_u32_e32 v6, vcc, v4, v6, vcc
	v_ashrrev_i32_e32 v8, 31, v1
	v_add_co_u32_e32 v4, vcc, v0, v8
	v_addc_co_u32_e32 v5, vcc, v1, v8, vcc
	v_xor_b32_e32 v10, v4, v8
	v_xor_b32_e32 v9, v5, v8
	v_mad_u64_u32 v[4:5], s[0:1], v10, v6, 0
	v_mul_hi_u32 v7, v10, v3
	v_add_co_u32_e32 v11, vcc, v7, v4
	v_addc_co_u32_e32 v12, vcc, 0, v5, vcc
	v_mad_u64_u32 v[4:5], s[0:1], v9, v6, 0
	v_mad_u64_u32 v[6:7], s[0:1], v9, v3, 0
	v_add_co_u32_e32 v3, vcc, v11, v6
	v_addc_co_u32_e32 v3, vcc, v12, v7, vcc
	v_addc_co_u32_e32 v5, vcc, 0, v5, vcc
	v_add_co_u32_e32 v3, vcc, v3, v4
	v_addc_co_u32_e32 v6, vcc, 0, v5, vcc
	v_mul_lo_u32 v7, s37, v3
	v_mul_lo_u32 v11, s36, v6
	v_mad_u64_u32 v[4:5], s[0:1], s36, v3, 0
	v_add3_u32 v5, v5, v11, v7
	v_sub_u32_e32 v7, v9, v5
	v_mov_b32_e32 v11, s37
	v_sub_co_u32_e32 v4, vcc, v10, v4
	v_subb_co_u32_e64 v7, s[0:1], v7, v11, vcc
	v_subrev_co_u32_e64 v10, s[0:1], s36, v4
	v_subbrev_co_u32_e64 v7, s[0:1], 0, v7, s[0:1]
	v_cmp_le_u32_e64 s[0:1], s37, v7
	v_cndmask_b32_e64 v11, 0, -1, s[0:1]
	v_cmp_le_u32_e64 s[0:1], s36, v10
	v_cndmask_b32_e64 v12, 0, -1, s[0:1]
	v_cmp_eq_u32_e64 s[0:1], s37, v7
	v_cndmask_b32_e64 v7, v11, v12, s[0:1]
	v_add_co_u32_e64 v11, s[0:1], 2, v3
	v_addc_co_u32_e64 v12, s[0:1], 0, v6, s[0:1]
	v_add_co_u32_e64 v13, s[0:1], 1, v3
	v_subb_co_u32_e32 v5, vcc, v9, v5, vcc
	v_addc_co_u32_e64 v14, s[0:1], 0, v6, s[0:1]
	v_cmp_le_u32_e32 vcc, s37, v5
	v_cmp_ne_u32_e64 s[0:1], 0, v7
	v_cndmask_b32_e64 v9, 0, -1, vcc
	v_cmp_le_u32_e32 vcc, s36, v4
	v_cndmask_b32_e64 v7, v14, v12, s[0:1]
	v_cndmask_b32_e64 v12, 0, -1, vcc
	v_cmp_eq_u32_e32 vcc, s37, v5
	v_cndmask_b32_e32 v5, v9, v12, vcc
	v_cmp_ne_u32_e32 vcc, 0, v5
	v_cndmask_b32_e32 v5, v6, v7, vcc
	v_cndmask_b32_e64 v6, v13, v11, s[0:1]
	v_cndmask_b32_e32 v3, v3, v6, vcc
	v_xor_b32_e32 v7, s2, v8
	v_xor_b32_e32 v6, s3, v8
	;; [unrolled: 1-line block ×4, first 2 shown]
	v_sub_co_u32_e64 v14, s[2:3], v3, v7
	v_subb_co_u32_e64 v15, s[2:3], v5, v6, s[2:3]
	v_subrev_co_u32_e64 v3, s[2:3], s36, v10
	v_cndmask_b32_e64 v3, v10, v3, s[0:1]
	v_cndmask_b32_e32 v3, v4, v3, vcc
	v_xor_b32_e32 v3, v3, v8
	v_sub_co_u32_e32 v4, vcc, v3, v8
.LBB21_5:                               ;   in Loop: Header=BB21_3 Depth=1
	s_andn2_saveexec_b64 s[2:3], s[34:35]
	s_cbranch_execz .LBB21_7
; %bb.6:                                ;   in Loop: Header=BB21_3 Depth=1
	s_sub_i32 s0, 0, s43
	v_mul_lo_u32 v3, s0, v22
	v_mul_hi_u32 v3, v22, v3
	v_add_u32_e32 v3, v22, v3
	v_mul_hi_u32 v3, v0, v3
	v_mul_lo_u32 v4, v3, s43
	v_sub_u32_e32 v4, v0, v4
	v_subrev_u32_e32 v5, s43, v4
	v_cmp_le_u32_e32 vcc, s43, v4
	v_cndmask_b32_e32 v4, v4, v5, vcc
	v_subrev_u32_e32 v5, s43, v4
	v_cmp_le_u32_e64 s[0:1], s43, v4
	v_cndmask_b32_e64 v4, v4, v5, s[0:1]
	v_add_u32_e32 v5, 1, v3
	v_cndmask_b32_e32 v3, v3, v5, vcc
	v_add_u32_e32 v5, 1, v3
	v_cndmask_b32_e64 v14, v3, v5, s[0:1]
	v_mov_b32_e32 v15, v2
.LBB21_7:                               ;   in Loop: Header=BB21_3 Depth=1
	s_or_b64 exec, exec, s[2:3]
	v_or_b32_e32 v3, s44, v15
	v_cmp_ne_u64_e32 vcc, 0, v[2:3]
                                        ; implicit-def: $vgpr6_vgpr7
	s_and_saveexec_b64 s[0:1], vcc
	s_xor_b64 s[2:3], exec, s[0:1]
	s_cbranch_execz .LBB21_9
; %bb.8:                                ;   in Loop: Header=BB21_3 Depth=1
	s_add_u32 s34, s12, s44
	s_mov_b32 s0, s44
	s_mov_b32 s1, s44
	s_addc_u32 s35, s44, s44
	s_xor_b64 s[34:35], s[34:35], s[0:1]
	v_cvt_f32_u32_e32 v5, s34
	v_cvt_f32_u32_e32 v6, s35
	s_sub_u32 s0, 0, s34
	s_subb_u32 s1, 0, s35
	v_mac_f32_e32 v5, 0x4f800000, v6
	v_rcp_f32_e32 v5, v5
	v_mul_f32_e32 v5, 0x5f7ffffc, v5
	v_mul_f32_e32 v6, 0x2f800000, v5
	v_trunc_f32_e32 v6, v6
	v_mac_f32_e32 v5, 0xcf800000, v6
	v_cvt_u32_f32_e32 v6, v6
	v_cvt_u32_f32_e32 v5, v5
	v_mul_lo_u32 v7, s0, v6
	v_mul_hi_u32 v9, s0, v5
	v_mul_lo_u32 v8, s1, v5
	v_add_u32_e32 v7, v9, v7
	v_mul_lo_u32 v10, s0, v5
	v_add_u32_e32 v7, v7, v8
	v_mul_lo_u32 v9, v5, v7
	v_mul_hi_u32 v11, v5, v10
	v_mul_hi_u32 v8, v5, v7
	v_add_co_u32_e32 v9, vcc, v11, v9
	v_addc_co_u32_e32 v8, vcc, 0, v8, vcc
	v_mul_hi_u32 v12, v6, v10
	v_mul_lo_u32 v10, v6, v10
	v_add_co_u32_e32 v9, vcc, v9, v10
	v_mul_hi_u32 v11, v6, v7
	v_addc_co_u32_e32 v8, vcc, v8, v12, vcc
	v_addc_co_u32_e32 v9, vcc, 0, v11, vcc
	v_mul_lo_u32 v7, v6, v7
	v_add_co_u32_e32 v7, vcc, v8, v7
	v_addc_co_u32_e32 v8, vcc, 0, v9, vcc
	v_add_co_u32_e32 v5, vcc, v5, v7
	v_addc_co_u32_e32 v6, vcc, v6, v8, vcc
	v_mul_lo_u32 v7, s0, v6
	v_mul_hi_u32 v8, s0, v5
	v_add_u32_e32 v7, v8, v7
	v_mul_lo_u32 v8, s1, v5
	v_add_u32_e32 v7, v7, v8
	v_mul_lo_u32 v9, s0, v5
	v_mul_hi_u32 v10, v6, v9
	v_mul_lo_u32 v11, v6, v9
	v_mul_lo_u32 v13, v5, v7
	v_mul_hi_u32 v9, v5, v9
	v_mul_hi_u32 v12, v5, v7
	v_add_co_u32_e32 v9, vcc, v9, v13
	v_addc_co_u32_e32 v12, vcc, 0, v12, vcc
	v_add_co_u32_e32 v9, vcc, v9, v11
	v_mul_hi_u32 v8, v6, v7
	v_addc_co_u32_e32 v9, vcc, v12, v10, vcc
	v_addc_co_u32_e32 v8, vcc, 0, v8, vcc
	v_mul_lo_u32 v7, v6, v7
	v_add_co_u32_e32 v7, vcc, v9, v7
	v_addc_co_u32_e32 v8, vcc, 0, v8, vcc
	v_add_co_u32_e32 v5, vcc, v5, v7
	v_addc_co_u32_e32 v8, vcc, v6, v8, vcc
	v_ashrrev_i32_e32 v10, 31, v15
	v_add_co_u32_e32 v6, vcc, v14, v10
	v_addc_co_u32_e32 v7, vcc, v15, v10, vcc
	v_xor_b32_e32 v12, v6, v10
	v_xor_b32_e32 v11, v7, v10
	v_mad_u64_u32 v[6:7], s[0:1], v12, v8, 0
	v_mul_hi_u32 v9, v12, v5
	v_add_co_u32_e32 v13, vcc, v9, v6
	v_addc_co_u32_e32 v16, vcc, 0, v7, vcc
	v_mad_u64_u32 v[6:7], s[0:1], v11, v8, 0
	v_mad_u64_u32 v[8:9], s[0:1], v11, v5, 0
	v_add_co_u32_e32 v5, vcc, v13, v8
	v_addc_co_u32_e32 v5, vcc, v16, v9, vcc
	v_addc_co_u32_e32 v7, vcc, 0, v7, vcc
	v_add_co_u32_e32 v5, vcc, v5, v6
	v_addc_co_u32_e32 v6, vcc, 0, v7, vcc
	v_mul_lo_u32 v8, s35, v5
	v_mul_lo_u32 v9, s34, v6
	v_mad_u64_u32 v[6:7], s[0:1], s34, v5, 0
	v_add3_u32 v5, v7, v9, v8
	v_sub_u32_e32 v7, v11, v5
	v_mov_b32_e32 v8, s35
	v_sub_co_u32_e32 v6, vcc, v12, v6
	v_subb_co_u32_e64 v7, s[0:1], v7, v8, vcc
	v_subrev_co_u32_e64 v8, s[0:1], s34, v6
	v_subbrev_co_u32_e64 v7, s[0:1], 0, v7, s[0:1]
	v_cmp_le_u32_e64 s[0:1], s35, v7
	v_subb_co_u32_e32 v5, vcc, v11, v5, vcc
	v_cndmask_b32_e64 v9, 0, -1, s[0:1]
	v_cmp_le_u32_e64 s[0:1], s34, v8
	v_cmp_le_u32_e32 vcc, s35, v5
	v_cndmask_b32_e64 v12, 0, -1, s[0:1]
	v_cmp_eq_u32_e64 s[0:1], s35, v7
	v_cndmask_b32_e64 v11, 0, -1, vcc
	v_cmp_le_u32_e32 vcc, s34, v6
	v_cndmask_b32_e64 v7, v9, v12, s[0:1]
	v_cndmask_b32_e64 v12, 0, -1, vcc
	v_cmp_eq_u32_e32 vcc, s35, v5
	v_subrev_co_u32_e64 v9, s[0:1], s34, v8
	v_cndmask_b32_e32 v5, v11, v12, vcc
	v_cmp_ne_u32_e32 vcc, 0, v7
	v_cndmask_b32_e32 v7, v8, v9, vcc
	v_cmp_ne_u32_e32 vcc, 0, v5
	v_cndmask_b32_e32 v5, v6, v7, vcc
	v_xor_b32_e32 v5, v5, v10
	v_sub_co_u32_e32 v6, vcc, v5, v10
.LBB21_9:                               ;   in Loop: Header=BB21_3 Depth=1
	s_andn2_saveexec_b64 s[0:1], s[2:3]
	s_cbranch_execz .LBB21_11
; %bb.10:                               ;   in Loop: Header=BB21_3 Depth=1
	v_cvt_f32_u32_e32 v5, s12
	s_sub_i32 s2, 0, s12
	v_rcp_iflag_f32_e32 v5, v5
	v_mul_f32_e32 v5, 0x4f7ffffe, v5
	v_cvt_u32_f32_e32 v5, v5
	v_mul_lo_u32 v6, s2, v5
	v_mul_hi_u32 v6, v5, v6
	v_add_u32_e32 v5, v5, v6
	v_mul_hi_u32 v5, v14, v5
	v_mul_lo_u32 v5, v5, s12
	v_sub_u32_e32 v5, v14, v5
	v_subrev_u32_e32 v6, s12, v5
	v_cmp_le_u32_e32 vcc, s12, v5
	v_cndmask_b32_e32 v5, v5, v6, vcc
	v_subrev_u32_e32 v6, s12, v5
	v_cmp_le_u32_e32 vcc, s12, v5
	v_cndmask_b32_e32 v6, v5, v6, vcc
.LBB21_11:                              ;   in Loop: Header=BB21_3 Depth=1
	s_or_b64 exec, exec, s[0:1]
	v_mul_lo_u32 v8, s17, v4
	v_mad_u64_u32 v[10:11], s[0:1], s16, v6, v[8:9]
	v_mul_lo_u32 v8, s19, v4
	s_andn2_b64 vcc, exec, s[14:15]
	v_mad_u64_u32 v[8:9], s[0:1], s18, v6, v[8:9]
	s_cbranch_vccnz .LBB21_41
; %bb.12:                               ;   in Loop: Header=BB21_3 Depth=1
	v_cmp_ne_u64_e32 vcc, 0, v[2:3]
                                        ; implicit-def: $vgpr12_vgpr13
	s_and_saveexec_b64 s[0:1], vcc
	s_xor_b64 s[2:3], exec, s[0:1]
	s_cbranch_execz .LBB21_14
; %bb.13:                               ;   in Loop: Header=BB21_3 Depth=1
	s_add_u32 s0, s12, s44
	s_mov_b32 s34, s44
	s_mov_b32 s35, s44
	s_addc_u32 s1, s44, s44
	s_xor_b64 s[36:37], s[0:1], s[34:35]
	v_cvt_f32_u32_e32 v3, s36
	v_cvt_f32_u32_e32 v5, s37
	s_sub_u32 s0, 0, s36
	s_subb_u32 s1, 0, s37
	v_mac_f32_e32 v3, 0x4f800000, v5
	v_rcp_f32_e32 v3, v3
	v_mul_f32_e32 v3, 0x5f7ffffc, v3
	v_mul_f32_e32 v5, 0x2f800000, v3
	v_trunc_f32_e32 v5, v5
	v_mac_f32_e32 v3, 0xcf800000, v5
	v_cvt_u32_f32_e32 v5, v5
	v_cvt_u32_f32_e32 v3, v3
	v_mul_lo_u32 v7, s0, v5
	v_mul_hi_u32 v11, s0, v3
	v_mul_lo_u32 v9, s1, v3
	v_add_u32_e32 v7, v11, v7
	v_mul_lo_u32 v12, s0, v3
	v_add_u32_e32 v7, v7, v9
	v_mul_lo_u32 v11, v3, v7
	v_mul_hi_u32 v13, v3, v12
	v_mul_hi_u32 v9, v3, v7
	v_add_co_u32_e32 v11, vcc, v13, v11
	v_addc_co_u32_e32 v9, vcc, 0, v9, vcc
	v_mul_hi_u32 v16, v5, v12
	v_mul_lo_u32 v12, v5, v12
	v_add_co_u32_e32 v11, vcc, v11, v12
	v_mul_hi_u32 v13, v5, v7
	v_addc_co_u32_e32 v9, vcc, v9, v16, vcc
	v_addc_co_u32_e32 v11, vcc, 0, v13, vcc
	v_mul_lo_u32 v7, v5, v7
	v_add_co_u32_e32 v7, vcc, v9, v7
	v_addc_co_u32_e32 v9, vcc, 0, v11, vcc
	v_add_co_u32_e32 v3, vcc, v3, v7
	v_addc_co_u32_e32 v5, vcc, v5, v9, vcc
	v_mul_lo_u32 v7, s0, v5
	v_mul_hi_u32 v9, s0, v3
	v_add_u32_e32 v7, v9, v7
	v_mul_lo_u32 v9, s1, v3
	v_add_u32_e32 v7, v7, v9
	v_mul_lo_u32 v11, s0, v3
	v_mul_hi_u32 v12, v5, v11
	v_mul_lo_u32 v13, v5, v11
	v_mul_lo_u32 v17, v3, v7
	v_mul_hi_u32 v11, v3, v11
	v_mul_hi_u32 v16, v3, v7
	v_add_co_u32_e32 v11, vcc, v11, v17
	v_addc_co_u32_e32 v16, vcc, 0, v16, vcc
	v_add_co_u32_e32 v11, vcc, v11, v13
	v_mul_hi_u32 v9, v5, v7
	v_addc_co_u32_e32 v11, vcc, v16, v12, vcc
	v_addc_co_u32_e32 v9, vcc, 0, v9, vcc
	v_mul_lo_u32 v7, v5, v7
	v_add_co_u32_e32 v7, vcc, v11, v7
	v_addc_co_u32_e32 v9, vcc, 0, v9, vcc
	v_add_co_u32_e32 v3, vcc, v3, v7
	v_addc_co_u32_e32 v5, vcc, v5, v9, vcc
	v_ashrrev_i32_e32 v7, 31, v15
	v_add_co_u32_e32 v9, vcc, v14, v7
	v_xor_b32_e32 v9, v9, v7
	v_addc_co_u32_e32 v11, vcc, v15, v7, vcc
	v_mad_u64_u32 v[12:13], s[0:1], v9, v5, 0
	v_mul_hi_u32 v14, v9, v3
	v_xor_b32_e32 v11, v11, v7
	v_add_co_u32_e32 v16, vcc, v14, v12
	v_addc_co_u32_e32 v17, vcc, 0, v13, vcc
	v_mad_u64_u32 v[14:15], s[0:1], v11, v3, 0
	v_add_co_u32_e32 v3, vcc, v16, v14
	v_mad_u64_u32 v[12:13], s[0:1], v11, v5, 0
	v_addc_co_u32_e32 v3, vcc, v17, v15, vcc
	v_addc_co_u32_e32 v5, vcc, 0, v13, vcc
	v_add_co_u32_e32 v3, vcc, v3, v12
	v_addc_co_u32_e32 v5, vcc, 0, v5, vcc
	v_mul_lo_u32 v14, s37, v3
	v_mul_lo_u32 v15, s36, v5
	v_mad_u64_u32 v[12:13], s[0:1], s36, v3, 0
	v_add3_u32 v13, v13, v15, v14
	v_sub_u32_e32 v14, v11, v13
	v_mov_b32_e32 v15, s37
	v_sub_co_u32_e32 v9, vcc, v9, v12
	v_subb_co_u32_e64 v12, s[0:1], v14, v15, vcc
	v_subrev_co_u32_e64 v14, s[0:1], s36, v9
	v_subbrev_co_u32_e64 v12, s[0:1], 0, v12, s[0:1]
	v_cmp_le_u32_e64 s[0:1], s37, v12
	v_cndmask_b32_e64 v15, 0, -1, s[0:1]
	v_cmp_le_u32_e64 s[0:1], s36, v14
	v_cndmask_b32_e64 v14, 0, -1, s[0:1]
	v_cmp_eq_u32_e64 s[0:1], s37, v12
	v_cndmask_b32_e64 v12, v15, v14, s[0:1]
	v_add_co_u32_e64 v14, s[0:1], 2, v3
	v_subb_co_u32_e32 v11, vcc, v11, v13, vcc
	v_addc_co_u32_e64 v15, s[0:1], 0, v5, s[0:1]
	v_cmp_le_u32_e32 vcc, s37, v11
	v_add_co_u32_e64 v16, s[0:1], 1, v3
	v_cndmask_b32_e64 v13, 0, -1, vcc
	v_cmp_le_u32_e32 vcc, s36, v9
	v_addc_co_u32_e64 v17, s[0:1], 0, v5, s[0:1]
	v_cndmask_b32_e64 v9, 0, -1, vcc
	v_cmp_eq_u32_e32 vcc, s37, v11
	v_cmp_ne_u32_e64 s[0:1], 0, v12
	v_cndmask_b32_e32 v9, v13, v9, vcc
	v_cmp_ne_u32_e32 vcc, 0, v9
	v_cndmask_b32_e64 v9, v16, v14, s[0:1]
	v_cndmask_b32_e64 v12, v17, v15, s[0:1]
	v_cndmask_b32_e32 v3, v3, v9, vcc
	v_xor_b32_e32 v9, s35, v7
	v_xor_b32_e32 v7, s34, v7
	v_cndmask_b32_e32 v5, v5, v12, vcc
	v_xor_b32_e32 v3, v3, v7
	v_xor_b32_e32 v5, v5, v9
	v_sub_co_u32_e32 v12, vcc, v3, v7
	v_subb_co_u32_e32 v13, vcc, v5, v9, vcc
                                        ; implicit-def: $vgpr14_vgpr15
.LBB21_14:                              ;   in Loop: Header=BB21_3 Depth=1
	s_andn2_saveexec_b64 s[0:1], s[2:3]
	s_cbranch_execz .LBB21_16
; %bb.15:                               ;   in Loop: Header=BB21_3 Depth=1
	v_cvt_f32_u32_e32 v3, s12
	s_sub_i32 s2, 0, s12
	v_mov_b32_e32 v13, v2
	v_rcp_iflag_f32_e32 v3, v3
	v_mul_f32_e32 v3, 0x4f7ffffe, v3
	v_cvt_u32_f32_e32 v3, v3
	v_mul_lo_u32 v5, s2, v3
	v_mul_hi_u32 v5, v3, v5
	v_add_u32_e32 v3, v3, v5
	v_mul_hi_u32 v3, v14, v3
	v_mul_lo_u32 v5, v3, s12
	v_sub_u32_e32 v5, v14, v5
	v_add_u32_e32 v7, 1, v3
	v_subrev_u32_e32 v9, s12, v5
	v_cmp_le_u32_e32 vcc, s12, v5
	v_cndmask_b32_e32 v5, v5, v9, vcc
	v_cndmask_b32_e32 v3, v3, v7, vcc
	v_add_u32_e32 v7, 1, v3
	v_cmp_le_u32_e32 vcc, s12, v5
	v_cndmask_b32_e32 v12, v3, v7, vcc
.LBB21_16:                              ;   in Loop: Header=BB21_3 Depth=1
	s_or_b64 exec, exec, s[0:1]
	s_andn2_b64 vcc, exec, s[22:23]
	s_mov_b32 s52, 1
	s_mov_b32 s20, s48
	s_cbranch_vccz .LBB21_37
.LBB21_17:                              ;   in Loop: Header=BB21_3 Depth=1
	s_and_b64 vcc, exec, s[24:25]
	s_cbranch_vccz .LBB21_41
.LBB21_18:                              ;   Parent Loop BB21_3 Depth=1
                                        ; =>  This Inner Loop Header: Depth=2
	s_lshl_b64 s[2:3], s[20:21], 2
	s_add_u32 s34, s33, s2
	s_addc_u32 s35, s42, s3
	s_load_dword s52, s[34:35], 0x8
                                        ; implicit-def: $vgpr14_vgpr15
	s_waitcnt lgkmcnt(0)
	s_ashr_i32 s0, s52, 31
	v_or_b32_e32 v3, s0, v13
	v_cmp_ne_u64_e32 vcc, 0, v[2:3]
	s_and_saveexec_b64 s[36:37], vcc
	s_xor_b64 s[36:37], exec, s[36:37]
	s_cbranch_execz .LBB21_20
; %bb.19:                               ;   in Loop: Header=BB21_18 Depth=2
	s_add_u32 s40, s52, s0
	s_mov_b32 s38, s0
	s_mov_b32 s39, s0
	s_addc_u32 s41, s0, s0
	s_xor_b64 s[40:41], s[40:41], s[38:39]
	v_cvt_f32_u32_e32 v3, s40
	v_cvt_f32_u32_e32 v5, s41
	s_sub_u32 s0, 0, s40
	s_subb_u32 s1, 0, s41
	v_mac_f32_e32 v3, 0x4f800000, v5
	v_rcp_f32_e32 v3, v3
	v_mul_f32_e32 v3, 0x5f7ffffc, v3
	v_mul_f32_e32 v5, 0x2f800000, v3
	v_trunc_f32_e32 v5, v5
	v_mac_f32_e32 v3, 0xcf800000, v5
	v_cvt_u32_f32_e32 v5, v5
	v_cvt_u32_f32_e32 v3, v3
	v_mul_lo_u32 v7, s0, v5
	v_mul_hi_u32 v11, s0, v3
	v_mul_lo_u32 v9, s1, v3
	v_add_u32_e32 v7, v11, v7
	v_mul_lo_u32 v14, s0, v3
	v_add_u32_e32 v7, v7, v9
	v_mul_lo_u32 v11, v3, v7
	v_mul_hi_u32 v15, v3, v14
	v_mul_hi_u32 v9, v3, v7
	v_add_co_u32_e32 v11, vcc, v15, v11
	v_addc_co_u32_e32 v9, vcc, 0, v9, vcc
	v_mul_hi_u32 v16, v5, v14
	v_mul_lo_u32 v14, v5, v14
	v_add_co_u32_e32 v11, vcc, v11, v14
	v_mul_hi_u32 v15, v5, v7
	v_addc_co_u32_e32 v9, vcc, v9, v16, vcc
	v_addc_co_u32_e32 v11, vcc, 0, v15, vcc
	v_mul_lo_u32 v7, v5, v7
	v_add_co_u32_e32 v7, vcc, v9, v7
	v_addc_co_u32_e32 v9, vcc, 0, v11, vcc
	v_add_co_u32_e32 v3, vcc, v3, v7
	v_addc_co_u32_e32 v5, vcc, v5, v9, vcc
	v_mul_lo_u32 v7, s0, v5
	v_mul_hi_u32 v9, s0, v3
	v_add_u32_e32 v7, v9, v7
	v_mul_lo_u32 v9, s1, v3
	v_add_u32_e32 v7, v7, v9
	v_mul_lo_u32 v11, s0, v3
	v_mul_hi_u32 v14, v5, v11
	v_mul_lo_u32 v15, v5, v11
	v_mul_lo_u32 v17, v3, v7
	v_mul_hi_u32 v11, v3, v11
	v_mul_hi_u32 v16, v3, v7
	v_add_co_u32_e32 v11, vcc, v11, v17
	v_addc_co_u32_e32 v16, vcc, 0, v16, vcc
	v_add_co_u32_e32 v11, vcc, v11, v15
	v_mul_hi_u32 v9, v5, v7
	v_addc_co_u32_e32 v11, vcc, v16, v14, vcc
	v_addc_co_u32_e32 v9, vcc, 0, v9, vcc
	v_mul_lo_u32 v7, v5, v7
	v_add_co_u32_e32 v7, vcc, v11, v7
	v_addc_co_u32_e32 v9, vcc, 0, v9, vcc
	v_add_co_u32_e32 v3, vcc, v3, v7
	v_addc_co_u32_e32 v5, vcc, v5, v9, vcc
	v_ashrrev_i32_e32 v7, 31, v13
	v_add_co_u32_e32 v9, vcc, v12, v7
	v_xor_b32_e32 v9, v9, v7
	v_addc_co_u32_e32 v11, vcc, v13, v7, vcc
	v_mad_u64_u32 v[14:15], s[0:1], v9, v5, 0
	v_mul_hi_u32 v13, v9, v3
	v_xor_b32_e32 v11, v11, v7
	v_add_co_u32_e32 v13, vcc, v13, v14
	v_addc_co_u32_e32 v18, vcc, 0, v15, vcc
	v_mad_u64_u32 v[16:17], s[0:1], v11, v3, 0
	v_add_co_u32_e32 v3, vcc, v13, v16
	v_mad_u64_u32 v[14:15], s[0:1], v11, v5, 0
	v_addc_co_u32_e32 v3, vcc, v18, v17, vcc
	v_addc_co_u32_e32 v5, vcc, 0, v15, vcc
	v_add_co_u32_e32 v3, vcc, v3, v14
	v_addc_co_u32_e32 v5, vcc, 0, v5, vcc
	v_mul_lo_u32 v13, s41, v3
	v_mul_lo_u32 v16, s40, v5
	v_mad_u64_u32 v[14:15], s[0:1], s40, v3, 0
	v_add3_u32 v13, v15, v16, v13
	v_sub_u32_e32 v15, v11, v13
	v_mov_b32_e32 v16, s41
	v_sub_co_u32_e32 v9, vcc, v9, v14
	v_subb_co_u32_e64 v14, s[0:1], v15, v16, vcc
	v_subrev_co_u32_e64 v15, s[0:1], s40, v9
	v_subbrev_co_u32_e64 v14, s[0:1], 0, v14, s[0:1]
	v_cmp_le_u32_e64 s[0:1], s41, v14
	v_cndmask_b32_e64 v16, 0, -1, s[0:1]
	v_cmp_le_u32_e64 s[0:1], s40, v15
	v_cndmask_b32_e64 v15, 0, -1, s[0:1]
	v_cmp_eq_u32_e64 s[0:1], s41, v14
	v_cndmask_b32_e64 v14, v16, v15, s[0:1]
	v_add_co_u32_e64 v15, s[0:1], 2, v3
	v_subb_co_u32_e32 v11, vcc, v11, v13, vcc
	v_addc_co_u32_e64 v16, s[0:1], 0, v5, s[0:1]
	v_cmp_le_u32_e32 vcc, s41, v11
	v_add_co_u32_e64 v17, s[0:1], 1, v3
	v_cndmask_b32_e64 v13, 0, -1, vcc
	v_cmp_le_u32_e32 vcc, s40, v9
	v_addc_co_u32_e64 v18, s[0:1], 0, v5, s[0:1]
	v_cndmask_b32_e64 v9, 0, -1, vcc
	v_cmp_eq_u32_e32 vcc, s41, v11
	v_cmp_ne_u32_e64 s[0:1], 0, v14
	v_cndmask_b32_e32 v9, v13, v9, vcc
	v_cmp_ne_u32_e32 vcc, 0, v9
	v_cndmask_b32_e64 v9, v17, v15, s[0:1]
	v_cndmask_b32_e64 v14, v18, v16, s[0:1]
	v_cndmask_b32_e32 v3, v3, v9, vcc
	v_xor_b32_e32 v9, s39, v7
	v_xor_b32_e32 v7, s38, v7
	v_cndmask_b32_e32 v5, v5, v14, vcc
	v_xor_b32_e32 v3, v3, v7
	v_xor_b32_e32 v5, v5, v9
	v_sub_co_u32_e32 v14, vcc, v3, v7
	v_subb_co_u32_e32 v15, vcc, v5, v9, vcc
.LBB21_20:                              ;   in Loop: Header=BB21_18 Depth=2
	s_andn2_saveexec_b64 s[0:1], s[36:37]
	s_cbranch_execz .LBB21_22
; %bb.21:                               ;   in Loop: Header=BB21_18 Depth=2
	v_cvt_f32_u32_e32 v3, s52
	s_sub_i32 s36, 0, s52
	v_mov_b32_e32 v15, v2
	v_rcp_iflag_f32_e32 v3, v3
	v_mul_f32_e32 v3, 0x4f7ffffe, v3
	v_cvt_u32_f32_e32 v3, v3
	v_mul_lo_u32 v5, s36, v3
	v_mul_hi_u32 v5, v3, v5
	v_add_u32_e32 v3, v3, v5
	v_mul_hi_u32 v3, v12, v3
	v_mul_lo_u32 v5, v3, s52
	v_sub_u32_e32 v5, v12, v5
	v_add_u32_e32 v7, 1, v3
	v_subrev_u32_e32 v9, s52, v5
	v_cmp_le_u32_e32 vcc, s52, v5
	v_cndmask_b32_e32 v5, v5, v9, vcc
	v_cndmask_b32_e32 v3, v3, v7, vcc
	v_add_u32_e32 v7, 1, v3
	v_cmp_le_u32_e32 vcc, s52, v5
	v_cndmask_b32_e32 v14, v3, v7, vcc
.LBB21_22:                              ;   in Loop: Header=BB21_18 Depth=2
	s_or_b64 exec, exec, s[0:1]
	s_add_u32 s0, s46, s2
	s_addc_u32 s1, s47, s3
	s_add_i32 s2, s20, -1
	s_mov_b32 s3, s21
	s_lshl_b64 s[36:37], s[2:3], 2
	s_add_u32 s2, s33, s36
	s_addc_u32 s3, s42, s37
	s_load_dword s53, s[2:3], 0x8
	s_load_dword s54, s[34:35], 0x6c
	;; [unrolled: 1-line block ×3, first 2 shown]
                                        ; implicit-def: $vgpr16_vgpr17
	s_waitcnt lgkmcnt(0)
	s_ashr_i32 s0, s53, 31
	v_or_b32_e32 v3, s0, v15
	v_cmp_ne_u64_e32 vcc, 0, v[2:3]
	s_and_saveexec_b64 s[34:35], vcc
	s_xor_b64 s[34:35], exec, s[34:35]
	s_cbranch_execz .LBB21_24
; %bb.23:                               ;   in Loop: Header=BB21_18 Depth=2
	s_add_u32 s40, s53, s0
	s_mov_b32 s38, s0
	s_mov_b32 s39, s0
	s_addc_u32 s41, s0, s0
	s_xor_b64 s[40:41], s[40:41], s[38:39]
	v_cvt_f32_u32_e32 v3, s40
	v_cvt_f32_u32_e32 v5, s41
	s_sub_u32 s0, 0, s40
	s_subb_u32 s1, 0, s41
	v_mac_f32_e32 v3, 0x4f800000, v5
	v_rcp_f32_e32 v3, v3
	v_mul_f32_e32 v3, 0x5f7ffffc, v3
	v_mul_f32_e32 v5, 0x2f800000, v3
	v_trunc_f32_e32 v5, v5
	v_mac_f32_e32 v3, 0xcf800000, v5
	v_cvt_u32_f32_e32 v5, v5
	v_cvt_u32_f32_e32 v3, v3
	v_mul_lo_u32 v7, s0, v5
	v_mul_hi_u32 v11, s0, v3
	v_mul_lo_u32 v9, s1, v3
	v_add_u32_e32 v7, v11, v7
	v_mul_lo_u32 v13, s0, v3
	v_add_u32_e32 v7, v7, v9
	v_mul_lo_u32 v11, v3, v7
	v_mul_hi_u32 v16, v3, v13
	v_mul_hi_u32 v9, v3, v7
	v_add_co_u32_e32 v11, vcc, v16, v11
	v_addc_co_u32_e32 v9, vcc, 0, v9, vcc
	v_mul_hi_u32 v17, v5, v13
	v_mul_lo_u32 v13, v5, v13
	v_add_co_u32_e32 v11, vcc, v11, v13
	v_mul_hi_u32 v16, v5, v7
	v_addc_co_u32_e32 v9, vcc, v9, v17, vcc
	v_addc_co_u32_e32 v11, vcc, 0, v16, vcc
	v_mul_lo_u32 v7, v5, v7
	v_add_co_u32_e32 v7, vcc, v9, v7
	v_addc_co_u32_e32 v9, vcc, 0, v11, vcc
	v_add_co_u32_e32 v3, vcc, v3, v7
	v_addc_co_u32_e32 v5, vcc, v5, v9, vcc
	v_mul_lo_u32 v7, s0, v5
	v_mul_hi_u32 v9, s0, v3
	v_add_u32_e32 v7, v9, v7
	v_mul_lo_u32 v9, s1, v3
	v_add_u32_e32 v7, v7, v9
	v_mul_lo_u32 v11, s0, v3
	v_mul_hi_u32 v13, v5, v11
	v_mul_lo_u32 v16, v5, v11
	v_mul_lo_u32 v18, v3, v7
	v_mul_hi_u32 v11, v3, v11
	v_mul_hi_u32 v17, v3, v7
	v_add_co_u32_e32 v11, vcc, v11, v18
	v_addc_co_u32_e32 v17, vcc, 0, v17, vcc
	v_add_co_u32_e32 v11, vcc, v11, v16
	v_mul_hi_u32 v9, v5, v7
	v_addc_co_u32_e32 v11, vcc, v17, v13, vcc
	v_addc_co_u32_e32 v9, vcc, 0, v9, vcc
	v_mul_lo_u32 v7, v5, v7
	v_add_co_u32_e32 v7, vcc, v11, v7
	v_addc_co_u32_e32 v9, vcc, 0, v9, vcc
	v_add_co_u32_e32 v3, vcc, v3, v7
	v_addc_co_u32_e32 v5, vcc, v5, v9, vcc
	v_ashrrev_i32_e32 v7, 31, v15
	v_add_co_u32_e32 v9, vcc, v14, v7
	v_xor_b32_e32 v9, v9, v7
	v_addc_co_u32_e32 v11, vcc, v15, v7, vcc
	v_mad_u64_u32 v[16:17], s[0:1], v9, v5, 0
	v_mul_hi_u32 v13, v9, v3
	v_xor_b32_e32 v11, v11, v7
	v_add_co_u32_e32 v13, vcc, v13, v16
	v_addc_co_u32_e32 v15, vcc, 0, v17, vcc
	v_mad_u64_u32 v[18:19], s[0:1], v11, v3, 0
	v_add_co_u32_e32 v3, vcc, v13, v18
	v_mad_u64_u32 v[16:17], s[0:1], v11, v5, 0
	v_addc_co_u32_e32 v3, vcc, v15, v19, vcc
	v_addc_co_u32_e32 v5, vcc, 0, v17, vcc
	v_add_co_u32_e32 v3, vcc, v3, v16
	v_addc_co_u32_e32 v5, vcc, 0, v5, vcc
	v_mul_lo_u32 v13, s41, v3
	v_mul_lo_u32 v15, s40, v5
	v_mad_u64_u32 v[16:17], s[0:1], s40, v3, 0
	v_add3_u32 v13, v17, v15, v13
	v_sub_u32_e32 v15, v11, v13
	v_mov_b32_e32 v17, s41
	v_sub_co_u32_e32 v9, vcc, v9, v16
	v_subb_co_u32_e64 v15, s[0:1], v15, v17, vcc
	v_subrev_co_u32_e64 v16, s[0:1], s40, v9
	v_subbrev_co_u32_e64 v15, s[0:1], 0, v15, s[0:1]
	v_cmp_le_u32_e64 s[0:1], s41, v15
	v_cndmask_b32_e64 v17, 0, -1, s[0:1]
	v_cmp_le_u32_e64 s[0:1], s40, v16
	v_cndmask_b32_e64 v16, 0, -1, s[0:1]
	v_cmp_eq_u32_e64 s[0:1], s41, v15
	v_cndmask_b32_e64 v15, v17, v16, s[0:1]
	v_add_co_u32_e64 v16, s[0:1], 2, v3
	v_subb_co_u32_e32 v11, vcc, v11, v13, vcc
	v_addc_co_u32_e64 v17, s[0:1], 0, v5, s[0:1]
	v_cmp_le_u32_e32 vcc, s41, v11
	v_add_co_u32_e64 v18, s[0:1], 1, v3
	v_cndmask_b32_e64 v13, 0, -1, vcc
	v_cmp_le_u32_e32 vcc, s40, v9
	v_addc_co_u32_e64 v19, s[0:1], 0, v5, s[0:1]
	v_cndmask_b32_e64 v9, 0, -1, vcc
	v_cmp_eq_u32_e32 vcc, s41, v11
	v_cmp_ne_u32_e64 s[0:1], 0, v15
	v_cndmask_b32_e32 v9, v13, v9, vcc
	v_cmp_ne_u32_e32 vcc, 0, v9
	v_cndmask_b32_e64 v9, v18, v16, s[0:1]
	v_cndmask_b32_e64 v15, v19, v17, s[0:1]
	v_cndmask_b32_e32 v3, v3, v9, vcc
	v_xor_b32_e32 v9, s39, v7
	v_xor_b32_e32 v7, s38, v7
	v_cndmask_b32_e32 v5, v5, v15, vcc
	v_xor_b32_e32 v3, v3, v7
	v_xor_b32_e32 v5, v5, v9
	v_sub_co_u32_e32 v16, vcc, v3, v7
	v_subb_co_u32_e32 v17, vcc, v5, v9, vcc
.LBB21_24:                              ;   in Loop: Header=BB21_18 Depth=2
	s_andn2_saveexec_b64 s[0:1], s[34:35]
	s_cbranch_execz .LBB21_26
; %bb.25:                               ;   in Loop: Header=BB21_18 Depth=2
	v_cvt_f32_u32_e32 v3, s53
	s_sub_i32 s34, 0, s53
	v_mov_b32_e32 v17, v2
	v_rcp_iflag_f32_e32 v3, v3
	v_mul_f32_e32 v3, 0x4f7ffffe, v3
	v_cvt_u32_f32_e32 v3, v3
	v_mul_lo_u32 v5, s34, v3
	v_mul_hi_u32 v5, v3, v5
	v_add_u32_e32 v3, v3, v5
	v_mul_hi_u32 v3, v14, v3
	v_mul_lo_u32 v5, v3, s53
	v_sub_u32_e32 v5, v14, v5
	v_add_u32_e32 v7, 1, v3
	v_subrev_u32_e32 v9, s53, v5
	v_cmp_le_u32_e32 vcc, s53, v5
	v_cndmask_b32_e32 v5, v5, v9, vcc
	v_cndmask_b32_e32 v3, v3, v7, vcc
	v_add_u32_e32 v7, 1, v3
	v_cmp_le_u32_e32 vcc, s53, v5
	v_cndmask_b32_e32 v16, v3, v7, vcc
.LBB21_26:                              ;   in Loop: Header=BB21_18 Depth=2
	s_or_b64 exec, exec, s[0:1]
	s_add_u32 s0, s46, s36
	s_addc_u32 s1, s47, s37
	s_add_i32 s34, s20, -2
	s_mov_b32 s35, s21
	s_lshl_b64 s[34:35], s[34:35], 2
	s_add_u32 s36, s33, s34
	s_addc_u32 s37, s42, s35
	s_load_dword s56, s[36:37], 0x8
	s_load_dword s58, s[2:3], 0x6c
	;; [unrolled: 1-line block ×3, first 2 shown]
                                        ; implicit-def: $vgpr18_vgpr19
	s_waitcnt lgkmcnt(0)
	s_ashr_i32 s0, s56, 31
	v_or_b32_e32 v3, s0, v17
	v_cmp_ne_u64_e32 vcc, 0, v[2:3]
	s_and_saveexec_b64 s[2:3], vcc
	s_xor_b64 s[2:3], exec, s[2:3]
	s_cbranch_execz .LBB21_28
; %bb.27:                               ;   in Loop: Header=BB21_18 Depth=2
	s_add_u32 s40, s56, s0
	s_mov_b32 s38, s0
	s_mov_b32 s39, s0
	s_addc_u32 s41, s0, s0
	s_xor_b64 s[40:41], s[40:41], s[38:39]
	v_cvt_f32_u32_e32 v3, s40
	v_cvt_f32_u32_e32 v5, s41
	s_sub_u32 s0, 0, s40
	s_subb_u32 s1, 0, s41
	v_mac_f32_e32 v3, 0x4f800000, v5
	v_rcp_f32_e32 v3, v3
	v_mul_f32_e32 v3, 0x5f7ffffc, v3
	v_mul_f32_e32 v5, 0x2f800000, v3
	v_trunc_f32_e32 v5, v5
	v_mac_f32_e32 v3, 0xcf800000, v5
	v_cvt_u32_f32_e32 v5, v5
	v_cvt_u32_f32_e32 v3, v3
	v_mul_lo_u32 v7, s0, v5
	v_mul_hi_u32 v11, s0, v3
	v_mul_lo_u32 v9, s1, v3
	v_add_u32_e32 v7, v11, v7
	v_mul_lo_u32 v13, s0, v3
	v_add_u32_e32 v7, v7, v9
	v_mul_lo_u32 v11, v3, v7
	v_mul_hi_u32 v15, v3, v13
	v_mul_hi_u32 v9, v3, v7
	v_add_co_u32_e32 v11, vcc, v15, v11
	v_addc_co_u32_e32 v9, vcc, 0, v9, vcc
	v_mul_hi_u32 v18, v5, v13
	v_mul_lo_u32 v13, v5, v13
	v_add_co_u32_e32 v11, vcc, v11, v13
	v_mul_hi_u32 v15, v5, v7
	v_addc_co_u32_e32 v9, vcc, v9, v18, vcc
	v_addc_co_u32_e32 v11, vcc, 0, v15, vcc
	v_mul_lo_u32 v7, v5, v7
	v_add_co_u32_e32 v7, vcc, v9, v7
	v_addc_co_u32_e32 v9, vcc, 0, v11, vcc
	v_add_co_u32_e32 v3, vcc, v3, v7
	v_addc_co_u32_e32 v5, vcc, v5, v9, vcc
	v_mul_lo_u32 v7, s0, v5
	v_mul_hi_u32 v9, s0, v3
	v_add_u32_e32 v7, v9, v7
	v_mul_lo_u32 v9, s1, v3
	v_add_u32_e32 v7, v7, v9
	v_mul_lo_u32 v11, s0, v3
	v_mul_hi_u32 v13, v5, v11
	v_mul_lo_u32 v15, v5, v11
	v_mul_lo_u32 v19, v3, v7
	v_mul_hi_u32 v11, v3, v11
	v_mul_hi_u32 v18, v3, v7
	v_add_co_u32_e32 v11, vcc, v11, v19
	v_addc_co_u32_e32 v18, vcc, 0, v18, vcc
	v_add_co_u32_e32 v11, vcc, v11, v15
	v_mul_hi_u32 v9, v5, v7
	v_addc_co_u32_e32 v11, vcc, v18, v13, vcc
	v_addc_co_u32_e32 v9, vcc, 0, v9, vcc
	v_mul_lo_u32 v7, v5, v7
	v_add_co_u32_e32 v7, vcc, v11, v7
	v_addc_co_u32_e32 v9, vcc, 0, v9, vcc
	v_add_co_u32_e32 v3, vcc, v3, v7
	v_addc_co_u32_e32 v5, vcc, v5, v9, vcc
	v_ashrrev_i32_e32 v7, 31, v17
	v_add_co_u32_e32 v9, vcc, v16, v7
	v_xor_b32_e32 v9, v9, v7
	v_addc_co_u32_e32 v11, vcc, v17, v7, vcc
	v_mad_u64_u32 v[18:19], s[0:1], v9, v5, 0
	v_mul_hi_u32 v13, v9, v3
	v_xor_b32_e32 v11, v11, v7
	v_add_co_u32_e32 v13, vcc, v13, v18
	v_addc_co_u32_e32 v15, vcc, 0, v19, vcc
	v_mad_u64_u32 v[20:21], s[0:1], v11, v3, 0
	v_add_co_u32_e32 v3, vcc, v13, v20
	v_mad_u64_u32 v[18:19], s[0:1], v11, v5, 0
	v_addc_co_u32_e32 v3, vcc, v15, v21, vcc
	v_addc_co_u32_e32 v5, vcc, 0, v19, vcc
	v_add_co_u32_e32 v3, vcc, v3, v18
	v_addc_co_u32_e32 v5, vcc, 0, v5, vcc
	v_mul_lo_u32 v13, s41, v3
	v_mul_lo_u32 v15, s40, v5
	v_mad_u64_u32 v[18:19], s[0:1], s40, v3, 0
	v_add3_u32 v13, v19, v15, v13
	v_sub_u32_e32 v15, v11, v13
	v_mov_b32_e32 v17, s41
	v_sub_co_u32_e32 v9, vcc, v9, v18
	v_subb_co_u32_e64 v15, s[0:1], v15, v17, vcc
	v_subrev_co_u32_e64 v17, s[0:1], s40, v9
	v_subbrev_co_u32_e64 v15, s[0:1], 0, v15, s[0:1]
	v_cmp_le_u32_e64 s[0:1], s41, v15
	v_cndmask_b32_e64 v18, 0, -1, s[0:1]
	v_cmp_le_u32_e64 s[0:1], s40, v17
	v_cndmask_b32_e64 v17, 0, -1, s[0:1]
	v_cmp_eq_u32_e64 s[0:1], s41, v15
	v_cndmask_b32_e64 v15, v18, v17, s[0:1]
	v_add_co_u32_e64 v17, s[0:1], 2, v3
	v_subb_co_u32_e32 v11, vcc, v11, v13, vcc
	v_addc_co_u32_e64 v18, s[0:1], 0, v5, s[0:1]
	v_cmp_le_u32_e32 vcc, s41, v11
	v_add_co_u32_e64 v19, s[0:1], 1, v3
	v_cndmask_b32_e64 v13, 0, -1, vcc
	v_cmp_le_u32_e32 vcc, s40, v9
	v_addc_co_u32_e64 v20, s[0:1], 0, v5, s[0:1]
	v_cndmask_b32_e64 v9, 0, -1, vcc
	v_cmp_eq_u32_e32 vcc, s41, v11
	v_cmp_ne_u32_e64 s[0:1], 0, v15
	v_cndmask_b32_e32 v9, v13, v9, vcc
	v_cmp_ne_u32_e32 vcc, 0, v9
	v_cndmask_b32_e64 v9, v19, v17, s[0:1]
	v_cndmask_b32_e64 v15, v20, v18, s[0:1]
	v_cndmask_b32_e32 v3, v3, v9, vcc
	v_xor_b32_e32 v9, s39, v7
	v_xor_b32_e32 v7, s38, v7
	v_cndmask_b32_e32 v5, v5, v15, vcc
	v_xor_b32_e32 v3, v3, v7
	v_xor_b32_e32 v5, v5, v9
	v_sub_co_u32_e32 v18, vcc, v3, v7
	v_subb_co_u32_e32 v19, vcc, v5, v9, vcc
.LBB21_28:                              ;   in Loop: Header=BB21_18 Depth=2
	s_andn2_saveexec_b64 s[0:1], s[2:3]
	s_cbranch_execz .LBB21_30
; %bb.29:                               ;   in Loop: Header=BB21_18 Depth=2
	v_cvt_f32_u32_e32 v3, s56
	s_sub_i32 s2, 0, s56
	v_mov_b32_e32 v19, v2
	v_rcp_iflag_f32_e32 v3, v3
	v_mul_f32_e32 v3, 0x4f7ffffe, v3
	v_cvt_u32_f32_e32 v3, v3
	v_mul_lo_u32 v5, s2, v3
	v_mul_hi_u32 v5, v3, v5
	v_add_u32_e32 v3, v3, v5
	v_mul_hi_u32 v3, v16, v3
	v_mul_lo_u32 v5, v3, s56
	v_sub_u32_e32 v5, v16, v5
	v_add_u32_e32 v7, 1, v3
	v_subrev_u32_e32 v9, s56, v5
	v_cmp_le_u32_e32 vcc, s56, v5
	v_cndmask_b32_e32 v5, v5, v9, vcc
	v_cndmask_b32_e32 v3, v3, v7, vcc
	v_add_u32_e32 v7, 1, v3
	v_cmp_le_u32_e32 vcc, s56, v5
	v_cndmask_b32_e32 v18, v3, v7, vcc
.LBB21_30:                              ;   in Loop: Header=BB21_18 Depth=2
	s_or_b64 exec, exec, s[0:1]
	s_add_u32 s0, s46, s34
	s_addc_u32 s1, s47, s35
	s_add_i32 s2, s20, -3
	s_mov_b32 s3, s21
	s_lshl_b64 s[2:3], s[2:3], 2
	s_add_u32 s34, s33, s2
	s_addc_u32 s35, s42, s3
	s_load_dword s59, s[34:35], 0x8
	s_load_dword s60, s[36:37], 0x6c
	;; [unrolled: 1-line block ×3, first 2 shown]
                                        ; implicit-def: $vgpr20_vgpr21
	s_waitcnt lgkmcnt(0)
	s_ashr_i32 s0, s59, 31
	v_or_b32_e32 v3, s0, v19
	v_cmp_ne_u64_e32 vcc, 0, v[2:3]
	s_and_saveexec_b64 s[36:37], vcc
	s_xor_b64 s[36:37], exec, s[36:37]
	s_cbranch_execz .LBB21_32
; %bb.31:                               ;   in Loop: Header=BB21_18 Depth=2
	s_add_u32 s40, s59, s0
	s_mov_b32 s38, s0
	s_mov_b32 s39, s0
	s_addc_u32 s41, s0, s0
	s_xor_b64 s[40:41], s[40:41], s[38:39]
	v_cvt_f32_u32_e32 v3, s40
	v_cvt_f32_u32_e32 v5, s41
	s_sub_u32 s0, 0, s40
	s_subb_u32 s1, 0, s41
	v_mac_f32_e32 v3, 0x4f800000, v5
	v_rcp_f32_e32 v3, v3
	v_mul_f32_e32 v3, 0x5f7ffffc, v3
	v_mul_f32_e32 v5, 0x2f800000, v3
	v_trunc_f32_e32 v5, v5
	v_mac_f32_e32 v3, 0xcf800000, v5
	v_cvt_u32_f32_e32 v5, v5
	v_cvt_u32_f32_e32 v3, v3
	v_mul_lo_u32 v7, s0, v5
	v_mul_hi_u32 v11, s0, v3
	v_mul_lo_u32 v9, s1, v3
	v_add_u32_e32 v7, v11, v7
	v_mul_lo_u32 v13, s0, v3
	v_add_u32_e32 v7, v7, v9
	v_mul_lo_u32 v11, v3, v7
	v_mul_hi_u32 v15, v3, v13
	v_mul_hi_u32 v9, v3, v7
	v_add_co_u32_e32 v11, vcc, v15, v11
	v_addc_co_u32_e32 v9, vcc, 0, v9, vcc
	v_mul_hi_u32 v17, v5, v13
	v_mul_lo_u32 v13, v5, v13
	v_add_co_u32_e32 v11, vcc, v11, v13
	v_mul_hi_u32 v15, v5, v7
	v_addc_co_u32_e32 v9, vcc, v9, v17, vcc
	v_addc_co_u32_e32 v11, vcc, 0, v15, vcc
	v_mul_lo_u32 v7, v5, v7
	v_add_co_u32_e32 v7, vcc, v9, v7
	v_addc_co_u32_e32 v9, vcc, 0, v11, vcc
	v_add_co_u32_e32 v3, vcc, v3, v7
	v_addc_co_u32_e32 v5, vcc, v5, v9, vcc
	v_mul_lo_u32 v7, s0, v5
	v_mul_hi_u32 v9, s0, v3
	v_add_u32_e32 v7, v9, v7
	v_mul_lo_u32 v9, s1, v3
	v_add_u32_e32 v7, v7, v9
	v_mul_lo_u32 v11, s0, v3
	v_mul_hi_u32 v13, v5, v11
	v_mul_lo_u32 v15, v5, v11
	v_mul_lo_u32 v20, v3, v7
	v_mul_hi_u32 v11, v3, v11
	v_mul_hi_u32 v17, v3, v7
	v_add_co_u32_e32 v11, vcc, v11, v20
	v_addc_co_u32_e32 v17, vcc, 0, v17, vcc
	v_add_co_u32_e32 v11, vcc, v11, v15
	v_mul_hi_u32 v9, v5, v7
	v_addc_co_u32_e32 v11, vcc, v17, v13, vcc
	v_addc_co_u32_e32 v9, vcc, 0, v9, vcc
	v_mul_lo_u32 v7, v5, v7
	v_add_co_u32_e32 v7, vcc, v11, v7
	v_addc_co_u32_e32 v9, vcc, 0, v9, vcc
	v_add_co_u32_e32 v3, vcc, v3, v7
	v_addc_co_u32_e32 v5, vcc, v5, v9, vcc
	v_ashrrev_i32_e32 v7, 31, v19
	v_add_co_u32_e32 v9, vcc, v18, v7
	v_xor_b32_e32 v9, v9, v7
	v_addc_co_u32_e32 v11, vcc, v19, v7, vcc
	v_mad_u64_u32 v[20:21], s[0:1], v9, v5, 0
	v_mul_hi_u32 v13, v9, v3
	v_xor_b32_e32 v11, v11, v7
	v_add_co_u32_e32 v13, vcc, v13, v20
	v_addc_co_u32_e32 v15, vcc, 0, v21, vcc
	v_mad_u64_u32 v[24:25], s[0:1], v11, v3, 0
	v_add_co_u32_e32 v3, vcc, v13, v24
	v_mad_u64_u32 v[20:21], s[0:1], v11, v5, 0
	v_addc_co_u32_e32 v3, vcc, v15, v25, vcc
	v_addc_co_u32_e32 v5, vcc, 0, v21, vcc
	v_add_co_u32_e32 v3, vcc, v3, v20
	v_addc_co_u32_e32 v5, vcc, 0, v5, vcc
	v_mul_lo_u32 v13, s41, v3
	v_mul_lo_u32 v15, s40, v5
	v_mad_u64_u32 v[20:21], s[0:1], s40, v3, 0
	v_add3_u32 v13, v21, v15, v13
	v_sub_u32_e32 v15, v11, v13
	v_mov_b32_e32 v17, s41
	v_sub_co_u32_e32 v9, vcc, v9, v20
	v_subb_co_u32_e64 v15, s[0:1], v15, v17, vcc
	v_subrev_co_u32_e64 v17, s[0:1], s40, v9
	v_subbrev_co_u32_e64 v15, s[0:1], 0, v15, s[0:1]
	v_cmp_le_u32_e64 s[0:1], s41, v15
	v_cndmask_b32_e64 v19, 0, -1, s[0:1]
	v_cmp_le_u32_e64 s[0:1], s40, v17
	v_cndmask_b32_e64 v17, 0, -1, s[0:1]
	v_cmp_eq_u32_e64 s[0:1], s41, v15
	v_cndmask_b32_e64 v15, v19, v17, s[0:1]
	v_add_co_u32_e64 v17, s[0:1], 2, v3
	v_subb_co_u32_e32 v11, vcc, v11, v13, vcc
	v_addc_co_u32_e64 v19, s[0:1], 0, v5, s[0:1]
	v_cmp_le_u32_e32 vcc, s41, v11
	v_add_co_u32_e64 v20, s[0:1], 1, v3
	v_cndmask_b32_e64 v13, 0, -1, vcc
	v_cmp_le_u32_e32 vcc, s40, v9
	v_addc_co_u32_e64 v21, s[0:1], 0, v5, s[0:1]
	v_cndmask_b32_e64 v9, 0, -1, vcc
	v_cmp_eq_u32_e32 vcc, s41, v11
	v_cmp_ne_u32_e64 s[0:1], 0, v15
	v_cndmask_b32_e32 v9, v13, v9, vcc
	v_cmp_ne_u32_e32 vcc, 0, v9
	v_cndmask_b32_e64 v9, v20, v17, s[0:1]
	v_cndmask_b32_e64 v15, v21, v19, s[0:1]
	v_cndmask_b32_e32 v3, v3, v9, vcc
	v_xor_b32_e32 v9, s39, v7
	v_xor_b32_e32 v7, s38, v7
	v_cndmask_b32_e32 v5, v5, v15, vcc
	v_xor_b32_e32 v3, v3, v7
	v_xor_b32_e32 v5, v5, v9
	v_sub_co_u32_e32 v20, vcc, v3, v7
	v_subb_co_u32_e32 v21, vcc, v5, v9, vcc
.LBB21_32:                              ;   in Loop: Header=BB21_18 Depth=2
	s_andn2_saveexec_b64 s[0:1], s[36:37]
	s_cbranch_execz .LBB21_34
; %bb.33:                               ;   in Loop: Header=BB21_18 Depth=2
	v_cvt_f32_u32_e32 v3, s59
	s_sub_i32 s36, 0, s59
	v_mov_b32_e32 v21, v2
	v_rcp_iflag_f32_e32 v3, v3
	v_mul_f32_e32 v3, 0x4f7ffffe, v3
	v_cvt_u32_f32_e32 v3, v3
	v_mul_lo_u32 v5, s36, v3
	v_mul_hi_u32 v5, v3, v5
	v_add_u32_e32 v3, v3, v5
	v_mul_hi_u32 v3, v18, v3
	v_mul_lo_u32 v5, v3, s59
	v_sub_u32_e32 v5, v18, v5
	v_add_u32_e32 v7, 1, v3
	v_subrev_u32_e32 v9, s59, v5
	v_cmp_le_u32_e32 vcc, s59, v5
	v_cndmask_b32_e32 v5, v5, v9, vcc
	v_cndmask_b32_e32 v3, v3, v7, vcc
	v_add_u32_e32 v7, 1, v3
	v_cmp_le_u32_e32 vcc, s59, v5
	v_cndmask_b32_e32 v20, v3, v7, vcc
.LBB21_34:                              ;   in Loop: Header=BB21_18 Depth=2
	s_or_b64 exec, exec, s[0:1]
	s_add_u32 s0, s46, s2
	v_mul_lo_u32 v3, v14, s52
	v_mul_lo_u32 v7, v16, s53
	s_load_dword s2, s[34:35], 0x6c
	s_addc_u32 s1, s47, s3
	s_load_dword s0, s[0:1], 0x0
	v_sub_u32_e32 v3, v12, v3
	v_sub_u32_e32 v7, v14, v7
	v_mul_lo_u32 v5, s54, v3
	v_mul_lo_u32 v3, s55, v3
	;; [unrolled: 1-line block ×4, first 2 shown]
	v_add3_u32 v5, v5, v10, v9
	v_add3_u32 v3, v3, v8, v7
	v_mul_lo_u32 v7, v18, s56
	v_mul_lo_u32 v9, v20, s59
	v_sub_u32_e32 v7, v16, v7
	v_sub_u32_e32 v9, v18, v9
	v_mul_lo_u32 v8, s60, v7
	s_waitcnt lgkmcnt(0)
	v_mul_lo_u32 v10, s2, v9
	v_mul_lo_u32 v7, s61, v7
	v_add3_u32 v10, v8, v5, v10
	v_mul_lo_u32 v5, s0, v9
	s_add_i32 s20, s20, -4
	s_cmp_eq_u32 s20, -1
	v_add3_u32 v8, v7, v3, v5
	s_cbranch_scc1 .LBB21_41
; %bb.35:                               ;   in Loop: Header=BB21_18 Depth=2
	v_pk_mov_b32 v[12:13], v[20:21], v[20:21] op_sel:[0,1]
	s_branch .LBB21_18
.LBB21_36:                              ;   in Loop: Header=BB21_37 Depth=2
	s_or_b64 exec, exec, s[0:1]
	s_load_dword s34, s[34:35], 0x6c
	s_add_u32 s0, s46, s2
	s_addc_u32 s1, s47, s3
	s_load_dword s2, s[0:1], 0x0
	v_mul_lo_u32 v3, v12, s53
	v_sub_u32_e32 v3, v14, v3
	s_waitcnt lgkmcnt(0)
	v_mad_u64_u32 v[10:11], s[0:1], s34, v3, v[10:11]
	s_add_i32 s20, s20, -1
	s_xor_b32 s0, s51, s52
	s_add_i32 s52, s52, 1
	s_cmp_lg_u32 s0, 2
	v_mad_u64_u32 v[8:9], s[0:1], s2, v3, v[8:9]
	s_cbranch_scc0 .LBB21_17
.LBB21_37:                              ;   Parent Loop BB21_3 Depth=1
                                        ; =>  This Inner Loop Header: Depth=2
	s_lshl_b64 s[2:3], s[20:21], 2
	s_add_u32 s34, s33, s2
	s_addc_u32 s35, s42, s3
	s_load_dword s53, s[34:35], 0x8
	v_pk_mov_b32 v[14:15], v[12:13], v[12:13] op_sel:[0,1]
                                        ; implicit-def: $vgpr12_vgpr13
	s_waitcnt lgkmcnt(0)
	s_ashr_i32 s0, s53, 31
	v_or_b32_e32 v3, s0, v15
	v_cmp_ne_u64_e32 vcc, 0, v[2:3]
	s_and_saveexec_b64 s[36:37], vcc
	s_xor_b64 s[36:37], exec, s[36:37]
	s_cbranch_execz .LBB21_39
; %bb.38:                               ;   in Loop: Header=BB21_37 Depth=2
	s_add_u32 s40, s53, s0
	s_mov_b32 s38, s0
	s_mov_b32 s39, s0
	s_addc_u32 s41, s0, s0
	s_xor_b64 s[40:41], s[40:41], s[38:39]
	v_cvt_f32_u32_e32 v3, s40
	v_cvt_f32_u32_e32 v5, s41
	s_sub_u32 s0, 0, s40
	s_subb_u32 s1, 0, s41
	v_mac_f32_e32 v3, 0x4f800000, v5
	v_rcp_f32_e32 v3, v3
	v_mul_f32_e32 v3, 0x5f7ffffc, v3
	v_mul_f32_e32 v5, 0x2f800000, v3
	v_trunc_f32_e32 v5, v5
	v_mac_f32_e32 v3, 0xcf800000, v5
	v_cvt_u32_f32_e32 v5, v5
	v_cvt_u32_f32_e32 v3, v3
	v_mul_lo_u32 v7, s0, v5
	v_mul_hi_u32 v11, s0, v3
	v_mul_lo_u32 v9, s1, v3
	v_add_u32_e32 v7, v11, v7
	v_mul_lo_u32 v12, s0, v3
	v_add_u32_e32 v7, v7, v9
	v_mul_lo_u32 v11, v3, v7
	v_mul_hi_u32 v13, v3, v12
	v_mul_hi_u32 v9, v3, v7
	v_add_co_u32_e32 v11, vcc, v13, v11
	v_addc_co_u32_e32 v9, vcc, 0, v9, vcc
	v_mul_hi_u32 v16, v5, v12
	v_mul_lo_u32 v12, v5, v12
	v_add_co_u32_e32 v11, vcc, v11, v12
	v_mul_hi_u32 v13, v5, v7
	v_addc_co_u32_e32 v9, vcc, v9, v16, vcc
	v_addc_co_u32_e32 v11, vcc, 0, v13, vcc
	v_mul_lo_u32 v7, v5, v7
	v_add_co_u32_e32 v7, vcc, v9, v7
	v_addc_co_u32_e32 v9, vcc, 0, v11, vcc
	v_add_co_u32_e32 v3, vcc, v3, v7
	v_addc_co_u32_e32 v5, vcc, v5, v9, vcc
	v_mul_lo_u32 v7, s0, v5
	v_mul_hi_u32 v9, s0, v3
	v_add_u32_e32 v7, v9, v7
	v_mul_lo_u32 v9, s1, v3
	v_add_u32_e32 v7, v7, v9
	v_mul_lo_u32 v11, s0, v3
	v_mul_hi_u32 v12, v5, v11
	v_mul_lo_u32 v13, v5, v11
	v_mul_lo_u32 v17, v3, v7
	v_mul_hi_u32 v11, v3, v11
	v_mul_hi_u32 v16, v3, v7
	v_add_co_u32_e32 v11, vcc, v11, v17
	v_addc_co_u32_e32 v16, vcc, 0, v16, vcc
	v_add_co_u32_e32 v11, vcc, v11, v13
	v_mul_hi_u32 v9, v5, v7
	v_addc_co_u32_e32 v11, vcc, v16, v12, vcc
	v_addc_co_u32_e32 v9, vcc, 0, v9, vcc
	v_mul_lo_u32 v7, v5, v7
	v_add_co_u32_e32 v7, vcc, v11, v7
	v_addc_co_u32_e32 v9, vcc, 0, v9, vcc
	v_add_co_u32_e32 v3, vcc, v3, v7
	v_addc_co_u32_e32 v5, vcc, v5, v9, vcc
	v_ashrrev_i32_e32 v7, 31, v15
	v_add_co_u32_e32 v9, vcc, v14, v7
	v_xor_b32_e32 v9, v9, v7
	v_addc_co_u32_e32 v11, vcc, v15, v7, vcc
	v_mad_u64_u32 v[12:13], s[0:1], v9, v5, 0
	v_mul_hi_u32 v15, v9, v3
	v_xor_b32_e32 v11, v11, v7
	v_add_co_u32_e32 v15, vcc, v15, v12
	v_addc_co_u32_e32 v18, vcc, 0, v13, vcc
	v_mad_u64_u32 v[16:17], s[0:1], v11, v3, 0
	v_add_co_u32_e32 v3, vcc, v15, v16
	v_mad_u64_u32 v[12:13], s[0:1], v11, v5, 0
	v_addc_co_u32_e32 v3, vcc, v18, v17, vcc
	v_addc_co_u32_e32 v5, vcc, 0, v13, vcc
	v_add_co_u32_e32 v3, vcc, v3, v12
	v_addc_co_u32_e32 v5, vcc, 0, v5, vcc
	v_mul_lo_u32 v15, s41, v3
	v_mul_lo_u32 v16, s40, v5
	v_mad_u64_u32 v[12:13], s[0:1], s40, v3, 0
	v_add3_u32 v13, v13, v16, v15
	v_sub_u32_e32 v15, v11, v13
	v_mov_b32_e32 v16, s41
	v_sub_co_u32_e32 v9, vcc, v9, v12
	v_subb_co_u32_e64 v12, s[0:1], v15, v16, vcc
	v_subrev_co_u32_e64 v15, s[0:1], s40, v9
	v_subbrev_co_u32_e64 v12, s[0:1], 0, v12, s[0:1]
	v_cmp_le_u32_e64 s[0:1], s41, v12
	v_cndmask_b32_e64 v16, 0, -1, s[0:1]
	v_cmp_le_u32_e64 s[0:1], s40, v15
	v_cndmask_b32_e64 v15, 0, -1, s[0:1]
	v_cmp_eq_u32_e64 s[0:1], s41, v12
	v_cndmask_b32_e64 v12, v16, v15, s[0:1]
	v_add_co_u32_e64 v15, s[0:1], 2, v3
	v_subb_co_u32_e32 v11, vcc, v11, v13, vcc
	v_addc_co_u32_e64 v16, s[0:1], 0, v5, s[0:1]
	v_cmp_le_u32_e32 vcc, s41, v11
	v_add_co_u32_e64 v17, s[0:1], 1, v3
	v_cndmask_b32_e64 v13, 0, -1, vcc
	v_cmp_le_u32_e32 vcc, s40, v9
	v_addc_co_u32_e64 v18, s[0:1], 0, v5, s[0:1]
	v_cndmask_b32_e64 v9, 0, -1, vcc
	v_cmp_eq_u32_e32 vcc, s41, v11
	v_cmp_ne_u32_e64 s[0:1], 0, v12
	v_cndmask_b32_e32 v9, v13, v9, vcc
	v_cmp_ne_u32_e32 vcc, 0, v9
	v_cndmask_b32_e64 v9, v17, v15, s[0:1]
	v_cndmask_b32_e64 v12, v18, v16, s[0:1]
	v_cndmask_b32_e32 v3, v3, v9, vcc
	v_xor_b32_e32 v9, s39, v7
	v_xor_b32_e32 v7, s38, v7
	v_cndmask_b32_e32 v5, v5, v12, vcc
	v_xor_b32_e32 v3, v3, v7
	v_xor_b32_e32 v5, v5, v9
	v_sub_co_u32_e32 v12, vcc, v3, v7
	v_subb_co_u32_e32 v13, vcc, v5, v9, vcc
.LBB21_39:                              ;   in Loop: Header=BB21_37 Depth=2
	s_andn2_saveexec_b64 s[0:1], s[36:37]
	s_cbranch_execz .LBB21_36
; %bb.40:                               ;   in Loop: Header=BB21_37 Depth=2
	v_cvt_f32_u32_e32 v3, s53
	s_sub_i32 s36, 0, s53
	v_mov_b32_e32 v13, v2
	v_rcp_iflag_f32_e32 v3, v3
	v_mul_f32_e32 v3, 0x4f7ffffe, v3
	v_cvt_u32_f32_e32 v3, v3
	v_mul_lo_u32 v5, s36, v3
	v_mul_hi_u32 v5, v3, v5
	v_add_u32_e32 v3, v3, v5
	v_mul_hi_u32 v3, v14, v3
	v_mul_lo_u32 v5, v3, s53
	v_sub_u32_e32 v5, v14, v5
	v_add_u32_e32 v7, 1, v3
	v_subrev_u32_e32 v9, s53, v5
	v_cmp_le_u32_e32 vcc, s53, v5
	v_cndmask_b32_e32 v5, v5, v9, vcc
	v_cndmask_b32_e32 v3, v3, v7, vcc
	v_add_u32_e32 v7, 1, v3
	v_cmp_le_u32_e32 vcc, s53, v5
	v_cndmask_b32_e32 v12, v3, v7, vcc
	s_branch .LBB21_36
.LBB21_41:                              ;   in Loop: Header=BB21_3 Depth=1
	v_mov_b32_e32 v3, v4
	v_sub_u32_e32 v4, v4, v6
	v_ashrrev_i32_e32 v5, 31, v4
	v_cmp_ge_i64_e32 vcc, s[8:9], v[4:5]
                                        ; implicit-def: $vgpr4_vgpr5
                                        ; implicit-def: $vgpr12_vgpr13
	s_and_saveexec_b64 s[0:1], vcc
	s_xor_b64 s[0:1], exec, s[0:1]
	s_cbranch_execnz .LBB21_44
; %bb.42:                               ;   in Loop: Header=BB21_3 Depth=1
	s_andn2_saveexec_b64 s[0:1], s[0:1]
	s_cbranch_execnz .LBB21_49
.LBB21_43:                              ;   in Loop: Header=BB21_3 Depth=1
	s_or_b64 exec, exec, s[0:1]
	v_cmp_gt_i32_e32 vcc, s13, v3
	s_and_saveexec_b64 s[0:1], vcc
	s_cbranch_execz .LBB21_2
	s_branch .LBB21_50
.LBB21_44:                              ;   in Loop: Header=BB21_3 Depth=1
	v_pk_mov_b32 v[4:5], 0, 0
	v_cmp_gt_i32_e32 vcc, s13, v3
	v_pk_mov_b32 v[14:15], v[4:5], v[4:5] op_sel:[0,1]
	s_and_saveexec_b64 s[2:3], vcc
	s_cbranch_execz .LBB21_48
; %bb.45:                               ;   in Loop: Header=BB21_3 Depth=1
	v_ashrrev_i32_e32 v11, 31, v10
	v_lshlrev_b64 v[4:5], 3, v[10:11]
	v_mov_b32_e32 v7, s7
	v_add_co_u32_e32 v10, vcc, s6, v4
	v_addc_co_u32_e32 v11, vcc, v7, v5, vcc
	global_load_dwordx2 v[4:5], v[10:11], off
	v_add_u32_e32 v7, 1, v3
	v_cmp_gt_i32_e32 vcc, s13, v7
	v_pk_mov_b32 v[14:15], 0, 0
	s_and_saveexec_b64 s[34:35], vcc
	s_xor_b64 s[34:35], exec, s[34:35]
	s_cbranch_execz .LBB21_47
; %bb.46:                               ;   in Loop: Header=BB21_3 Depth=1
	v_mov_b32_e32 v7, s29
	v_add_co_u32_e32 v10, vcc, s28, v10
	v_addc_co_u32_e32 v11, vcc, v11, v7, vcc
	global_load_dwordx2 v[14:15], v[10:11], off
.LBB21_47:                              ;   in Loop: Header=BB21_3 Depth=1
	s_or_b64 exec, exec, s[34:35]
.LBB21_48:                              ;   in Loop: Header=BB21_3 Depth=1
	s_or_b64 exec, exec, s[2:3]
	v_sub_u32_e32 v6, v3, v6
	v_ashrrev_i32_e32 v7, 31, v6
	v_cmp_ge_i64_e32 vcc, s[8:9], v[6:7]
	s_waitcnt vmcnt(0)
	v_cndmask_b32_e32 v12, 0, v4, vcc
	v_add_u32_e32 v4, 1, v6
	v_cndmask_b32_e32 v13, 0, v5, vcc
	v_ashrrev_i32_e32 v5, 31, v4
	v_cmp_ge_i64_e32 vcc, s[8:9], v[4:5]
	v_cndmask_b32_e32 v5, 0, v15, vcc
	v_cndmask_b32_e32 v4, 0, v14, vcc
	s_andn2_saveexec_b64 s[0:1], s[0:1]
	s_cbranch_execz .LBB21_43
.LBB21_49:                              ;   in Loop: Header=BB21_3 Depth=1
	v_pk_mov_b32 v[12:13], 0, 0
	v_pk_mov_b32 v[4:5], v[12:13], v[12:13] op_sel:[0,1]
	s_or_b64 exec, exec, s[0:1]
	v_cmp_gt_i32_e32 vcc, s13, v3
	s_and_saveexec_b64 s[0:1], vcc
	s_cbranch_execz .LBB21_2
.LBB21_50:                              ;   in Loop: Header=BB21_3 Depth=1
	v_ashrrev_i32_e32 v9, 31, v8
	v_lshlrev_b64 v[6:7], 3, v[8:9]
	v_mov_b32_e32 v8, s5
	v_add_co_u32_e32 v6, vcc, s4, v6
	v_addc_co_u32_e32 v7, vcc, v8, v7, vcc
	v_add_u32_e32 v3, 1, v3
	v_cmp_gt_i32_e32 vcc, s13, v3
	global_store_dwordx2 v[6:7], v[12:13], off
	s_and_saveexec_b64 s[2:3], vcc
	s_xor_b64 s[2:3], exec, s[2:3]
	s_cbranch_execz .LBB21_2
; %bb.51:                               ;   in Loop: Header=BB21_3 Depth=1
	v_mov_b32_e32 v3, s31
	v_add_co_u32_e32 v6, vcc, s30, v6
	v_addc_co_u32_e32 v7, vcc, v7, v3, vcc
	global_store_dwordx2 v[6:7], v[4:5], off
	s_branch .LBB21_2
.LBB21_52:
	s_endpgm
	.section	.rodata,"a",@progbits
	.p2align	6, 0x0
	.amdhsa_kernel _ZN2at6native16triu_tril_kernelIdiLb0ELi2ELb0EEEvNS_4cuda6detail10TensorInfoIT_T0_EENS4_IKS5_S6_EEllS6_
		.amdhsa_group_segment_fixed_size 0
		.amdhsa_private_segment_fixed_size 0
		.amdhsa_kernarg_size 712
		.amdhsa_user_sgpr_count 6
		.amdhsa_user_sgpr_private_segment_buffer 1
		.amdhsa_user_sgpr_dispatch_ptr 0
		.amdhsa_user_sgpr_queue_ptr 0
		.amdhsa_user_sgpr_kernarg_segment_ptr 1
		.amdhsa_user_sgpr_dispatch_id 0
		.amdhsa_user_sgpr_flat_scratch_init 0
		.amdhsa_user_sgpr_kernarg_preload_length 0
		.amdhsa_user_sgpr_kernarg_preload_offset 0
		.amdhsa_user_sgpr_private_segment_size 0
		.amdhsa_uses_dynamic_stack 0
		.amdhsa_system_sgpr_private_segment_wavefront_offset 0
		.amdhsa_system_sgpr_workgroup_id_x 1
		.amdhsa_system_sgpr_workgroup_id_y 0
		.amdhsa_system_sgpr_workgroup_id_z 0
		.amdhsa_system_sgpr_workgroup_info 0
		.amdhsa_system_vgpr_workitem_id 0
		.amdhsa_next_free_vgpr 26
		.amdhsa_next_free_sgpr 62
		.amdhsa_accum_offset 28
		.amdhsa_reserve_vcc 1
		.amdhsa_reserve_flat_scratch 0
		.amdhsa_float_round_mode_32 0
		.amdhsa_float_round_mode_16_64 0
		.amdhsa_float_denorm_mode_32 3
		.amdhsa_float_denorm_mode_16_64 3
		.amdhsa_dx10_clamp 1
		.amdhsa_ieee_mode 1
		.amdhsa_fp16_overflow 0
		.amdhsa_tg_split 0
		.amdhsa_exception_fp_ieee_invalid_op 0
		.amdhsa_exception_fp_denorm_src 0
		.amdhsa_exception_fp_ieee_div_zero 0
		.amdhsa_exception_fp_ieee_overflow 0
		.amdhsa_exception_fp_ieee_underflow 0
		.amdhsa_exception_fp_ieee_inexact 0
		.amdhsa_exception_int_div_zero 0
	.end_amdhsa_kernel
	.section	.text._ZN2at6native16triu_tril_kernelIdiLb0ELi2ELb0EEEvNS_4cuda6detail10TensorInfoIT_T0_EENS4_IKS5_S6_EEllS6_,"axG",@progbits,_ZN2at6native16triu_tril_kernelIdiLb0ELi2ELb0EEEvNS_4cuda6detail10TensorInfoIT_T0_EENS4_IKS5_S6_EEllS6_,comdat
.Lfunc_end21:
	.size	_ZN2at6native16triu_tril_kernelIdiLb0ELi2ELb0EEEvNS_4cuda6detail10TensorInfoIT_T0_EENS4_IKS5_S6_EEllS6_, .Lfunc_end21-_ZN2at6native16triu_tril_kernelIdiLb0ELi2ELb0EEEvNS_4cuda6detail10TensorInfoIT_T0_EENS4_IKS5_S6_EEllS6_
                                        ; -- End function
	.section	.AMDGPU.csdata,"",@progbits
; Kernel info:
; codeLenInByte = 7664
; NumSgprs: 66
; NumVgprs: 26
; NumAgprs: 0
; TotalNumVgprs: 26
; ScratchSize: 0
; MemoryBound: 0
; FloatMode: 240
; IeeeMode: 1
; LDSByteSize: 0 bytes/workgroup (compile time only)
; SGPRBlocks: 8
; VGPRBlocks: 3
; NumSGPRsForWavesPerEU: 66
; NumVGPRsForWavesPerEU: 26
; AccumOffset: 28
; Occupancy: 8
; WaveLimiterHint : 0
; COMPUTE_PGM_RSRC2:SCRATCH_EN: 0
; COMPUTE_PGM_RSRC2:USER_SGPR: 6
; COMPUTE_PGM_RSRC2:TRAP_HANDLER: 0
; COMPUTE_PGM_RSRC2:TGID_X_EN: 1
; COMPUTE_PGM_RSRC2:TGID_Y_EN: 0
; COMPUTE_PGM_RSRC2:TGID_Z_EN: 0
; COMPUTE_PGM_RSRC2:TIDIG_COMP_CNT: 0
; COMPUTE_PGM_RSRC3_GFX90A:ACCUM_OFFSET: 6
; COMPUTE_PGM_RSRC3_GFX90A:TG_SPLIT: 0
	.section	.text._ZN2at6native16triu_tril_kernelIdlLb0ELi2ELb1EEEvNS_4cuda6detail10TensorInfoIT_T0_EENS4_IKS5_S6_EEllS6_,"axG",@progbits,_ZN2at6native16triu_tril_kernelIdlLb0ELi2ELb1EEEvNS_4cuda6detail10TensorInfoIT_T0_EENS4_IKS5_S6_EEllS6_,comdat
	.protected	_ZN2at6native16triu_tril_kernelIdlLb0ELi2ELb1EEEvNS_4cuda6detail10TensorInfoIT_T0_EENS4_IKS5_S6_EEllS6_ ; -- Begin function _ZN2at6native16triu_tril_kernelIdlLb0ELi2ELb1EEEvNS_4cuda6detail10TensorInfoIT_T0_EENS4_IKS5_S6_EEllS6_
	.globl	_ZN2at6native16triu_tril_kernelIdlLb0ELi2ELb1EEEvNS_4cuda6detail10TensorInfoIT_T0_EENS4_IKS5_S6_EEllS6_
	.p2align	8
	.type	_ZN2at6native16triu_tril_kernelIdlLb0ELi2ELb1EEEvNS_4cuda6detail10TensorInfoIT_T0_EENS4_IKS5_S6_EEllS6_,@function
_ZN2at6native16triu_tril_kernelIdlLb0ELi2ELb1EEEvNS_4cuda6detail10TensorInfoIT_T0_EENS4_IKS5_S6_EEllS6_: ; @_ZN2at6native16triu_tril_kernelIdlLb0ELi2ELb1EEEvNS_4cuda6detail10TensorInfoIT_T0_EENS4_IKS5_S6_EEllS6_
; %bb.0:
	s_load_dword s2, s[4:5], 0x364
	s_load_dwordx4 s[8:11], s[4:5], 0x340
	s_add_u32 s0, s4, 0x358
	v_mov_b32_e32 v2, 0
	s_addc_u32 s1, s5, 0
	s_waitcnt lgkmcnt(0)
	s_and_b32 s12, s2, 0xffff
	v_mov_b32_e32 v1, v2
	v_mov_b32_e32 v3, s6
	v_mad_u64_u32 v[0:1], s[2:3], s12, v3, v[0:1]
	v_lshlrev_b64 v[0:1], 1, v[0:1]
	v_cmp_gt_i64_e32 vcc, s[10:11], v[0:1]
	s_and_saveexec_b64 s[2:3], vcc
	s_cbranch_execz .LBB22_23
; %bb.1:
	s_load_dword s13, s[0:1], 0x0
	s_load_dword s18, s[4:5], 0x338
	s_load_dwordx2 s[2:3], s[4:5], 0x350
	s_load_dwordx2 s[6:7], s[4:5], 0x0
	s_mov_b32 s48, 0
	s_waitcnt lgkmcnt(0)
	s_mul_i32 s20, s13, s12
	s_ashr_i32 s19, s18, 31
	s_add_u32 s24, s4, 0x1a8
	s_addc_u32 s25, s5, 0
	s_lshl_b64 s[0:1], s[18:19], 3
	s_add_u32 s16, s0, -16
	s_addc_u32 s17, s1, -1
	s_add_u32 s14, s24, s16
	s_addc_u32 s15, s25, s17
	v_cmp_gt_i64_e64 s[12:13], s[18:19], 2
	s_add_u32 s19, s0, -8
	s_addc_u32 s21, s1, -1
	s_add_u32 s26, s4, 0xd0
	s_addc_u32 s27, s5, 0
	s_add_u32 s4, s26, s19
	v_cvt_f32_u32_e32 v3, s2
	s_addc_u32 s5, s27, s21
	s_add_u32 s16, s26, s16
	s_addc_u32 s17, s27, s17
	s_add_i32 s0, s18, -3
	s_ashr_i32 s1, s0, 31
	v_rcp_iflag_f32_e32 v3, v3
	s_add_u32 s18, s24, s19
	s_addc_u32 s19, s25, s21
	s_lshl_b32 s33, s20, 1
	s_lshl_b64 s[22:23], s[0:1], 3
	s_add_u32 s20, s26, s22
	s_load_dwordx2 s[14:15], s[14:15], 0x0
	s_addc_u32 s21, s27, s23
	v_mul_f32_e32 v3, 0x4f7ffffe, v3
	s_add_u32 s22, s24, s22
	v_cvt_u32_f32_e32 v14, v3
	s_addc_u32 s23, s25, s23
	s_add_u32 s24, s0, 1
	s_addc_u32 s25, s1, 0
	s_mov_b64 s[26:27], 0
	s_branch .LBB22_3
.LBB22_2:                               ;   in Loop: Header=BB22_3 Depth=1
	s_or_b64 exec, exec, s[28:29]
	v_mov_b32_e32 v3, s48
	v_add_co_u32_e32 v0, vcc, s33, v0
	v_addc_co_u32_e32 v1, vcc, v1, v3, vcc
	v_cmp_le_i64_e32 vcc, s[10:11], v[0:1]
	s_or_b64 s[26:27], vcc, s[26:27]
	s_andn2_b64 exec, exec, s[26:27]
	s_cbranch_execz .LBB22_23
.LBB22_3:                               ; =>This Loop Header: Depth=1
                                        ;     Child Loop BB22_19 Depth 2
	v_or_b32_e32 v3, s3, v1
	v_cmp_ne_u64_e32 vcc, 0, v[2:3]
                                        ; implicit-def: $vgpr6_vgpr7
	s_and_saveexec_b64 s[0:1], vcc
	s_xor_b64 s[28:29], exec, s[0:1]
	s_cbranch_execz .LBB22_5
; %bb.4:                                ;   in Loop: Header=BB22_3 Depth=1
	s_ashr_i32 s30, s3, 31
	s_add_u32 s0, s2, s30
	s_mov_b32 s31, s30
	s_addc_u32 s1, s3, s30
	s_xor_b64 s[34:35], s[0:1], s[30:31]
	v_cvt_f32_u32_e32 v3, s34
	v_cvt_f32_u32_e32 v4, s35
	s_sub_u32 s0, 0, s34
	s_subb_u32 s1, 0, s35
	v_mac_f32_e32 v3, 0x4f800000, v4
	v_rcp_f32_e32 v3, v3
	v_mul_f32_e32 v3, 0x5f7ffffc, v3
	v_mul_f32_e32 v4, 0x2f800000, v3
	v_trunc_f32_e32 v4, v4
	v_mac_f32_e32 v3, 0xcf800000, v4
	v_cvt_u32_f32_e32 v4, v4
	v_cvt_u32_f32_e32 v3, v3
	v_mul_lo_u32 v5, s0, v4
	v_mul_hi_u32 v7, s0, v3
	v_mul_lo_u32 v6, s1, v3
	v_add_u32_e32 v5, v7, v5
	v_mul_lo_u32 v8, s0, v3
	v_add_u32_e32 v5, v5, v6
	v_mul_lo_u32 v7, v3, v5
	v_mul_hi_u32 v9, v3, v8
	v_mul_hi_u32 v6, v3, v5
	v_add_co_u32_e32 v7, vcc, v9, v7
	v_addc_co_u32_e32 v6, vcc, 0, v6, vcc
	v_mul_hi_u32 v10, v4, v8
	v_mul_lo_u32 v8, v4, v8
	v_add_co_u32_e32 v7, vcc, v7, v8
	v_mul_hi_u32 v9, v4, v5
	v_addc_co_u32_e32 v6, vcc, v6, v10, vcc
	v_addc_co_u32_e32 v7, vcc, 0, v9, vcc
	v_mul_lo_u32 v5, v4, v5
	v_add_co_u32_e32 v5, vcc, v6, v5
	v_addc_co_u32_e32 v6, vcc, 0, v7, vcc
	v_add_co_u32_e32 v3, vcc, v3, v5
	v_addc_co_u32_e32 v4, vcc, v4, v6, vcc
	v_mul_lo_u32 v5, s0, v4
	v_mul_hi_u32 v6, s0, v3
	v_add_u32_e32 v5, v6, v5
	v_mul_lo_u32 v6, s1, v3
	v_add_u32_e32 v5, v5, v6
	v_mul_lo_u32 v7, s0, v3
	v_mul_hi_u32 v8, v4, v7
	v_mul_lo_u32 v9, v4, v7
	v_mul_lo_u32 v11, v3, v5
	v_mul_hi_u32 v7, v3, v7
	v_mul_hi_u32 v10, v3, v5
	v_add_co_u32_e32 v7, vcc, v7, v11
	v_addc_co_u32_e32 v10, vcc, 0, v10, vcc
	v_add_co_u32_e32 v7, vcc, v7, v9
	v_mul_hi_u32 v6, v4, v5
	v_addc_co_u32_e32 v7, vcc, v10, v8, vcc
	v_addc_co_u32_e32 v6, vcc, 0, v6, vcc
	v_mul_lo_u32 v5, v4, v5
	v_add_co_u32_e32 v5, vcc, v7, v5
	v_addc_co_u32_e32 v6, vcc, 0, v6, vcc
	v_add_co_u32_e32 v3, vcc, v3, v5
	v_addc_co_u32_e32 v6, vcc, v4, v6, vcc
	v_ashrrev_i32_e32 v8, 31, v1
	v_add_co_u32_e32 v4, vcc, v0, v8
	v_addc_co_u32_e32 v5, vcc, v1, v8, vcc
	v_xor_b32_e32 v10, v4, v8
	v_xor_b32_e32 v9, v5, v8
	v_mad_u64_u32 v[4:5], s[0:1], v10, v6, 0
	v_mul_hi_u32 v7, v10, v3
	v_add_co_u32_e32 v11, vcc, v7, v4
	v_addc_co_u32_e32 v12, vcc, 0, v5, vcc
	v_mad_u64_u32 v[4:5], s[0:1], v9, v6, 0
	v_mad_u64_u32 v[6:7], s[0:1], v9, v3, 0
	v_add_co_u32_e32 v3, vcc, v11, v6
	v_addc_co_u32_e32 v3, vcc, v12, v7, vcc
	v_addc_co_u32_e32 v5, vcc, 0, v5, vcc
	v_add_co_u32_e32 v3, vcc, v3, v4
	v_addc_co_u32_e32 v6, vcc, 0, v5, vcc
	v_mul_lo_u32 v7, s35, v3
	v_mul_lo_u32 v11, s34, v6
	v_mad_u64_u32 v[4:5], s[0:1], s34, v3, 0
	v_add3_u32 v5, v5, v11, v7
	v_sub_u32_e32 v7, v9, v5
	v_mov_b32_e32 v11, s35
	v_sub_co_u32_e32 v4, vcc, v10, v4
	v_subb_co_u32_e64 v7, s[0:1], v7, v11, vcc
	v_subrev_co_u32_e64 v10, s[0:1], s34, v4
	v_subbrev_co_u32_e64 v7, s[0:1], 0, v7, s[0:1]
	v_cmp_le_u32_e64 s[0:1], s35, v7
	v_cndmask_b32_e64 v11, 0, -1, s[0:1]
	v_cmp_le_u32_e64 s[0:1], s34, v10
	v_cndmask_b32_e64 v10, 0, -1, s[0:1]
	v_cmp_eq_u32_e64 s[0:1], s35, v7
	v_cndmask_b32_e64 v7, v11, v10, s[0:1]
	v_add_co_u32_e64 v10, s[0:1], 2, v3
	v_subb_co_u32_e32 v5, vcc, v9, v5, vcc
	v_addc_co_u32_e64 v11, s[0:1], 0, v6, s[0:1]
	v_cmp_le_u32_e32 vcc, s35, v5
	v_add_co_u32_e64 v12, s[0:1], 1, v3
	v_cndmask_b32_e64 v9, 0, -1, vcc
	v_cmp_le_u32_e32 vcc, s34, v4
	v_addc_co_u32_e64 v13, s[0:1], 0, v6, s[0:1]
	v_cndmask_b32_e64 v4, 0, -1, vcc
	v_cmp_eq_u32_e32 vcc, s35, v5
	v_cmp_ne_u32_e64 s[0:1], 0, v7
	v_cndmask_b32_e32 v4, v9, v4, vcc
	v_cmp_ne_u32_e32 vcc, 0, v4
	v_cndmask_b32_e64 v5, v12, v10, s[0:1]
	v_cndmask_b32_e64 v7, v13, v11, s[0:1]
	v_cndmask_b32_e32 v3, v3, v5, vcc
	v_xor_b32_e32 v5, s30, v8
	v_cndmask_b32_e32 v4, v6, v7, vcc
	v_xor_b32_e32 v3, v3, v5
	v_xor_b32_e32 v4, v4, v5
	v_sub_co_u32_e32 v6, vcc, v3, v5
	v_subb_co_u32_e32 v7, vcc, v4, v5, vcc
.LBB22_5:                               ;   in Loop: Header=BB22_3 Depth=1
	s_andn2_saveexec_b64 s[0:1], s[28:29]
	s_cbranch_execz .LBB22_7
; %bb.6:                                ;   in Loop: Header=BB22_3 Depth=1
	s_sub_i32 s28, 0, s2
	v_mul_lo_u32 v3, s28, v14
	v_mul_hi_u32 v3, v14, v3
	v_add_u32_e32 v3, v14, v3
	v_mul_hi_u32 v3, v0, v3
	v_mul_lo_u32 v4, v3, s2
	v_sub_u32_e32 v4, v0, v4
	v_subrev_u32_e32 v5, s2, v4
	v_cmp_le_u32_e32 vcc, s2, v4
	v_cndmask_b32_e32 v4, v4, v5, vcc
	v_add_u32_e32 v5, 1, v3
	v_cndmask_b32_e32 v3, v3, v5, vcc
	v_add_u32_e32 v5, 1, v3
	v_cmp_le_u32_e32 vcc, s2, v4
	v_cndmask_b32_e32 v6, v3, v5, vcc
	v_mov_b32_e32 v7, v2
.LBB22_7:                               ;   in Loop: Header=BB22_3 Depth=1
	s_or_b64 exec, exec, s[0:1]
	s_waitcnt lgkmcnt(0)
	v_or_b32_e32 v3, s15, v7
	v_cmp_ne_u64_e32 vcc, 0, v[2:3]
                                        ; implicit-def: $vgpr8_vgpr9
	s_and_saveexec_b64 s[0:1], vcc
	s_xor_b64 s[28:29], exec, s[0:1]
	s_cbranch_execz .LBB22_9
; %bb.8:                                ;   in Loop: Header=BB22_3 Depth=1
	s_ashr_i32 s30, s15, 31
	s_add_u32 s0, s14, s30
	s_mov_b32 s31, s30
	s_addc_u32 s1, s15, s30
	s_xor_b64 s[34:35], s[0:1], s[30:31]
	v_cvt_f32_u32_e32 v3, s34
	v_cvt_f32_u32_e32 v4, s35
	s_sub_u32 s0, 0, s34
	s_subb_u32 s1, 0, s35
	v_mac_f32_e32 v3, 0x4f800000, v4
	v_rcp_f32_e32 v3, v3
	v_mul_f32_e32 v3, 0x5f7ffffc, v3
	v_mul_f32_e32 v4, 0x2f800000, v3
	v_trunc_f32_e32 v4, v4
	v_mac_f32_e32 v3, 0xcf800000, v4
	v_cvt_u32_f32_e32 v4, v4
	v_cvt_u32_f32_e32 v3, v3
	v_mul_lo_u32 v5, s0, v4
	v_mul_hi_u32 v9, s0, v3
	v_mul_lo_u32 v8, s1, v3
	v_add_u32_e32 v5, v9, v5
	v_mul_lo_u32 v10, s0, v3
	v_add_u32_e32 v5, v5, v8
	v_mul_lo_u32 v9, v3, v5
	v_mul_hi_u32 v11, v3, v10
	v_mul_hi_u32 v8, v3, v5
	v_add_co_u32_e32 v9, vcc, v11, v9
	v_addc_co_u32_e32 v8, vcc, 0, v8, vcc
	v_mul_hi_u32 v12, v4, v10
	v_mul_lo_u32 v10, v4, v10
	v_add_co_u32_e32 v9, vcc, v9, v10
	v_mul_hi_u32 v11, v4, v5
	v_addc_co_u32_e32 v8, vcc, v8, v12, vcc
	v_addc_co_u32_e32 v9, vcc, 0, v11, vcc
	v_mul_lo_u32 v5, v4, v5
	v_add_co_u32_e32 v5, vcc, v8, v5
	v_addc_co_u32_e32 v8, vcc, 0, v9, vcc
	v_add_co_u32_e32 v3, vcc, v3, v5
	v_addc_co_u32_e32 v4, vcc, v4, v8, vcc
	v_mul_lo_u32 v5, s0, v4
	v_mul_hi_u32 v8, s0, v3
	v_add_u32_e32 v5, v8, v5
	v_mul_lo_u32 v8, s1, v3
	v_add_u32_e32 v5, v5, v8
	v_mul_lo_u32 v9, s0, v3
	v_mul_hi_u32 v10, v4, v9
	v_mul_lo_u32 v11, v4, v9
	v_mul_lo_u32 v13, v3, v5
	v_mul_hi_u32 v9, v3, v9
	v_mul_hi_u32 v12, v3, v5
	v_add_co_u32_e32 v9, vcc, v9, v13
	v_addc_co_u32_e32 v12, vcc, 0, v12, vcc
	v_add_co_u32_e32 v9, vcc, v9, v11
	v_mul_hi_u32 v8, v4, v5
	v_addc_co_u32_e32 v9, vcc, v12, v10, vcc
	v_addc_co_u32_e32 v8, vcc, 0, v8, vcc
	v_mul_lo_u32 v5, v4, v5
	v_add_co_u32_e32 v5, vcc, v9, v5
	v_addc_co_u32_e32 v8, vcc, 0, v8, vcc
	v_add_co_u32_e32 v3, vcc, v3, v5
	v_addc_co_u32_e32 v8, vcc, v4, v8, vcc
	v_ashrrev_i32_e32 v10, 31, v7
	v_add_co_u32_e32 v4, vcc, v6, v10
	v_addc_co_u32_e32 v5, vcc, v7, v10, vcc
	v_xor_b32_e32 v12, v4, v10
	v_xor_b32_e32 v11, v5, v10
	v_mad_u64_u32 v[4:5], s[0:1], v12, v8, 0
	v_mul_hi_u32 v9, v12, v3
	v_add_co_u32_e32 v13, vcc, v9, v4
	v_addc_co_u32_e32 v15, vcc, 0, v5, vcc
	v_mad_u64_u32 v[4:5], s[0:1], v11, v8, 0
	v_mad_u64_u32 v[8:9], s[0:1], v11, v3, 0
	v_add_co_u32_e32 v3, vcc, v13, v8
	v_addc_co_u32_e32 v3, vcc, v15, v9, vcc
	v_addc_co_u32_e32 v5, vcc, 0, v5, vcc
	v_add_co_u32_e32 v3, vcc, v3, v4
	v_addc_co_u32_e32 v8, vcc, 0, v5, vcc
	v_mul_lo_u32 v9, s35, v3
	v_mul_lo_u32 v13, s34, v8
	v_mad_u64_u32 v[4:5], s[0:1], s34, v3, 0
	v_add3_u32 v5, v5, v13, v9
	v_sub_u32_e32 v9, v11, v5
	v_mov_b32_e32 v13, s35
	v_sub_co_u32_e32 v4, vcc, v12, v4
	v_subb_co_u32_e64 v9, s[0:1], v9, v13, vcc
	v_subrev_co_u32_e64 v12, s[0:1], s34, v4
	v_subbrev_co_u32_e64 v9, s[0:1], 0, v9, s[0:1]
	v_cmp_le_u32_e64 s[0:1], s35, v9
	v_cndmask_b32_e64 v13, 0, -1, s[0:1]
	v_cmp_le_u32_e64 s[0:1], s34, v12
	v_cndmask_b32_e64 v12, 0, -1, s[0:1]
	v_cmp_eq_u32_e64 s[0:1], s35, v9
	v_cndmask_b32_e64 v9, v13, v12, s[0:1]
	v_add_co_u32_e64 v12, s[0:1], 2, v3
	v_subb_co_u32_e32 v5, vcc, v11, v5, vcc
	v_addc_co_u32_e64 v13, s[0:1], 0, v8, s[0:1]
	v_cmp_le_u32_e32 vcc, s35, v5
	v_add_co_u32_e64 v15, s[0:1], 1, v3
	v_cndmask_b32_e64 v11, 0, -1, vcc
	v_cmp_le_u32_e32 vcc, s34, v4
	v_addc_co_u32_e64 v16, s[0:1], 0, v8, s[0:1]
	v_cndmask_b32_e64 v4, 0, -1, vcc
	v_cmp_eq_u32_e32 vcc, s35, v5
	v_cmp_ne_u32_e64 s[0:1], 0, v9
	v_cndmask_b32_e32 v4, v11, v4, vcc
	v_cmp_ne_u32_e32 vcc, 0, v4
	v_cndmask_b32_e64 v5, v15, v12, s[0:1]
	v_cndmask_b32_e64 v9, v16, v13, s[0:1]
	v_cndmask_b32_e32 v3, v3, v5, vcc
	v_xor_b32_e32 v5, s30, v10
	v_cndmask_b32_e32 v4, v8, v9, vcc
	v_xor_b32_e32 v3, v3, v5
	v_xor_b32_e32 v4, v4, v5
	v_sub_co_u32_e32 v8, vcc, v3, v5
	v_subb_co_u32_e32 v9, vcc, v4, v5, vcc
.LBB22_9:                               ;   in Loop: Header=BB22_3 Depth=1
	s_andn2_saveexec_b64 s[0:1], s[28:29]
	s_cbranch_execz .LBB22_11
; %bb.10:                               ;   in Loop: Header=BB22_3 Depth=1
	v_cvt_f32_u32_e32 v3, s14
	s_sub_i32 s28, 0, s14
	v_mov_b32_e32 v9, v2
	v_rcp_iflag_f32_e32 v3, v3
	v_mul_f32_e32 v3, 0x4f7ffffe, v3
	v_cvt_u32_f32_e32 v3, v3
	v_mul_lo_u32 v4, s28, v3
	v_mul_hi_u32 v4, v3, v4
	v_add_u32_e32 v3, v3, v4
	v_mul_hi_u32 v3, v6, v3
	v_mul_lo_u32 v4, v3, s14
	v_sub_u32_e32 v4, v6, v4
	v_add_u32_e32 v5, 1, v3
	v_subrev_u32_e32 v8, s14, v4
	v_cmp_le_u32_e32 vcc, s14, v4
	v_cndmask_b32_e32 v4, v4, v8, vcc
	v_cndmask_b32_e32 v3, v3, v5, vcc
	v_add_u32_e32 v5, 1, v3
	v_cmp_le_u32_e32 vcc, s14, v4
	v_cndmask_b32_e32 v8, v3, v5, vcc
.LBB22_11:                              ;   in Loop: Header=BB22_3 Depth=1
	s_or_b64 exec, exec, s[0:1]
	v_mul_lo_u32 v3, v7, s2
	v_mul_lo_u32 v10, v6, s3
	v_mad_u64_u32 v[4:5], s[0:1], v6, s2, 0
	v_add3_u32 v3, v5, v10, v3
	v_sub_co_u32_e32 v4, vcc, v0, v4
	v_subb_co_u32_e32 v5, vcc, v1, v3, vcc
	v_mul_lo_u32 v3, v9, s14
	v_mul_lo_u32 v12, v8, s15
	v_mad_u64_u32 v[10:11], s[0:1], v8, s14, 0
	v_add3_u32 v3, v11, v12, v3
	v_sub_co_u32_e32 v15, vcc, v6, v10
	v_subb_co_u32_e32 v16, vcc, v7, v3, vcc
	v_sub_co_u32_e32 v6, vcc, v4, v15
	v_subb_co_u32_e32 v7, vcc, v5, v16, vcc
	v_add_co_u32_e32 v10, vcc, 2, v6
	v_addc_co_u32_e32 v11, vcc, 0, v7, vcc
	v_cmp_lt_i64_e32 vcc, s[8:9], v[10:11]
	s_and_saveexec_b64 s[28:29], vcc
	s_cbranch_execz .LBB22_2
; %bb.12:                               ;   in Loop: Header=BB22_3 Depth=1
	s_load_dwordx2 s[30:31], s[4:5], 0x0
	s_load_dwordx2 s[0:1], s[16:17], 0x0
	s_and_b64 vcc, exec, s[12:13]
	s_mov_b64 s[36:37], s[22:23]
	s_mov_b64 s[38:39], s[20:21]
	s_waitcnt lgkmcnt(0)
	v_mul_lo_u32 v3, s31, v4
	v_mul_lo_u32 v12, s30, v5
	v_mad_u64_u32 v[10:11], s[34:35], s30, v4, 0
	v_add3_u32 v11, v11, v12, v3
	v_mad_u64_u32 v[10:11], s[34:35], s0, v15, v[10:11]
	v_mul_lo_u32 v3, s0, v16
	v_mul_lo_u32 v12, s1, v15
	v_add3_u32 v11, v12, v11, v3
	s_mov_b64 s[34:35], s[24:25]
	s_cbranch_vccnz .LBB22_19
.LBB22_13:                              ;   in Loop: Header=BB22_3 Depth=1
	s_load_dwordx2 s[0:1], s[18:19], 0x0
	s_waitcnt lgkmcnt(0)
	v_cmp_gt_i64_e32 vcc, s[0:1], v[4:5]
	s_and_b64 exec, exec, vcc
	s_cbranch_execz .LBB22_2
; %bb.14:                               ;   in Loop: Header=BB22_3 Depth=1
	v_lshlrev_b64 v[8:9], 3, v[10:11]
	v_mov_b32_e32 v3, s7
	v_add_co_u32_e32 v8, vcc, s6, v8
	v_addc_co_u32_e32 v9, vcc, v3, v9, vcc
	v_cmp_lt_i64_e32 vcc, s[8:9], v[6:7]
	s_and_saveexec_b64 s[34:35], vcc
	s_cbranch_execz .LBB22_16
; %bb.15:                               ;   in Loop: Header=BB22_3 Depth=1
	v_mov_b32_e32 v3, v2
	global_store_dwordx2 v[8:9], v[2:3], off
.LBB22_16:                              ;   in Loop: Header=BB22_3 Depth=1
	s_or_b64 exec, exec, s[34:35]
	v_add_co_u32_e32 v4, vcc, 1, v4
	v_addc_co_u32_e32 v5, vcc, 0, v5, vcc
	v_cmp_gt_i64_e32 vcc, s[0:1], v[4:5]
	v_sub_co_u32_e64 v4, s[0:1], v4, v15
	v_subb_co_u32_e64 v5, s[0:1], v5, v16, s[0:1]
	v_cmp_lt_i64_e64 s[0:1], s[8:9], v[4:5]
	s_and_b64 s[0:1], vcc, s[0:1]
	s_and_b64 exec, exec, s[0:1]
	s_cbranch_execz .LBB22_2
; %bb.17:                               ;   in Loop: Header=BB22_3 Depth=1
	s_lshl_b64 s[0:1], s[30:31], 3
	v_mov_b32_e32 v3, s1
	v_add_co_u32_e32 v4, vcc, s0, v8
	v_addc_co_u32_e32 v5, vcc, v9, v3, vcc
	v_mov_b32_e32 v3, v2
	global_store_dwordx2 v[4:5], v[2:3], off
	s_branch .LBB22_2
.LBB22_18:                              ;   in Loop: Header=BB22_19 Depth=2
	s_or_b64 exec, exec, s[0:1]
	v_mad_u64_u32 v[18:19], s[0:1], v12, s40, 0
	s_load_dwordx2 s[0:1], s[38:39], 0x0
	s_add_u32 s38, s38, -8
	s_addc_u32 s39, s39, -1
	v_mul_lo_u32 v3, v13, s40
	v_mul_lo_u32 v17, v12, s41
	s_add_u32 s36, s36, -8
	v_add3_u32 v3, v19, v17, v3
	v_sub_co_u32_e32 v8, vcc, v8, v18
	s_addc_u32 s37, s37, -1
	v_subb_co_u32_e32 v3, vcc, v9, v3, vcc
	s_add_u32 s34, s34, -1
	s_waitcnt lgkmcnt(0)
	v_mul_lo_u32 v3, s0, v3
	v_mul_lo_u32 v9, s1, v8
	v_mad_u64_u32 v[10:11], s[0:1], s0, v8, v[10:11]
	s_addc_u32 s35, s35, -1
	v_cmp_lt_i64_e64 s[0:1], s[34:35], 1
	v_add3_u32 v11, v9, v11, v3
	s_and_b64 vcc, exec, s[0:1]
	v_pk_mov_b32 v[8:9], v[12:13], v[12:13] op_sel:[0,1]
	s_cbranch_vccnz .LBB22_13
.LBB22_19:                              ;   Parent Loop BB22_3 Depth=1
                                        ; =>  This Inner Loop Header: Depth=2
	s_load_dwordx2 s[40:41], s[36:37], 0x0
                                        ; implicit-def: $vgpr12_vgpr13
	s_waitcnt lgkmcnt(0)
	v_or_b32_e32 v3, s41, v9
	v_cmp_ne_u64_e32 vcc, 0, v[2:3]
	s_and_saveexec_b64 s[0:1], vcc
	s_xor_b64 s[42:43], exec, s[0:1]
	s_cbranch_execz .LBB22_21
; %bb.20:                               ;   in Loop: Header=BB22_19 Depth=2
	s_ashr_i32 s44, s41, 31
	s_add_u32 s0, s40, s44
	s_mov_b32 s45, s44
	s_addc_u32 s1, s41, s44
	s_xor_b64 s[46:47], s[0:1], s[44:45]
	v_cvt_f32_u32_e32 v3, s46
	v_cvt_f32_u32_e32 v12, s47
	s_sub_u32 s0, 0, s46
	s_subb_u32 s1, 0, s47
	v_mac_f32_e32 v3, 0x4f800000, v12
	v_rcp_f32_e32 v3, v3
	v_mul_f32_e32 v3, 0x5f7ffffc, v3
	v_mul_f32_e32 v12, 0x2f800000, v3
	v_trunc_f32_e32 v12, v12
	v_mac_f32_e32 v3, 0xcf800000, v12
	v_cvt_u32_f32_e32 v12, v12
	v_cvt_u32_f32_e32 v3, v3
	v_mul_lo_u32 v13, s0, v12
	v_mul_hi_u32 v18, s0, v3
	v_mul_lo_u32 v17, s1, v3
	v_add_u32_e32 v13, v18, v13
	v_mul_lo_u32 v19, s0, v3
	v_add_u32_e32 v13, v13, v17
	v_mul_lo_u32 v18, v3, v13
	v_mul_hi_u32 v20, v3, v19
	v_mul_hi_u32 v17, v3, v13
	v_add_co_u32_e32 v18, vcc, v20, v18
	v_addc_co_u32_e32 v17, vcc, 0, v17, vcc
	v_mul_hi_u32 v21, v12, v19
	v_mul_lo_u32 v19, v12, v19
	v_add_co_u32_e32 v18, vcc, v18, v19
	v_mul_hi_u32 v20, v12, v13
	v_addc_co_u32_e32 v17, vcc, v17, v21, vcc
	v_addc_co_u32_e32 v18, vcc, 0, v20, vcc
	v_mul_lo_u32 v13, v12, v13
	v_add_co_u32_e32 v13, vcc, v17, v13
	v_addc_co_u32_e32 v17, vcc, 0, v18, vcc
	v_add_co_u32_e32 v3, vcc, v3, v13
	v_addc_co_u32_e32 v12, vcc, v12, v17, vcc
	v_mul_lo_u32 v13, s0, v12
	v_mul_hi_u32 v17, s0, v3
	v_add_u32_e32 v13, v17, v13
	v_mul_lo_u32 v17, s1, v3
	v_add_u32_e32 v13, v13, v17
	v_mul_lo_u32 v18, s0, v3
	v_mul_hi_u32 v19, v12, v18
	v_mul_lo_u32 v20, v12, v18
	v_mul_lo_u32 v22, v3, v13
	v_mul_hi_u32 v18, v3, v18
	v_mul_hi_u32 v21, v3, v13
	v_add_co_u32_e32 v18, vcc, v18, v22
	v_addc_co_u32_e32 v21, vcc, 0, v21, vcc
	v_add_co_u32_e32 v18, vcc, v18, v20
	v_mul_hi_u32 v17, v12, v13
	v_addc_co_u32_e32 v18, vcc, v21, v19, vcc
	v_addc_co_u32_e32 v17, vcc, 0, v17, vcc
	v_mul_lo_u32 v13, v12, v13
	v_add_co_u32_e32 v13, vcc, v18, v13
	v_addc_co_u32_e32 v17, vcc, 0, v17, vcc
	v_add_co_u32_e32 v3, vcc, v3, v13
	v_addc_co_u32_e32 v17, vcc, v12, v17, vcc
	v_ashrrev_i32_e32 v20, 31, v9
	v_add_co_u32_e32 v12, vcc, v8, v20
	v_addc_co_u32_e32 v13, vcc, v9, v20, vcc
	v_xor_b32_e32 v22, v12, v20
	v_xor_b32_e32 v21, v13, v20
	v_mad_u64_u32 v[12:13], s[0:1], v22, v17, 0
	v_mul_hi_u32 v18, v22, v3
	v_add_co_u32_e32 v23, vcc, v18, v12
	v_addc_co_u32_e32 v24, vcc, 0, v13, vcc
	v_mad_u64_u32 v[18:19], s[0:1], v21, v3, 0
	v_add_co_u32_e32 v3, vcc, v23, v18
	v_mad_u64_u32 v[12:13], s[0:1], v21, v17, 0
	v_addc_co_u32_e32 v3, vcc, v24, v19, vcc
	v_addc_co_u32_e32 v13, vcc, 0, v13, vcc
	v_add_co_u32_e32 v3, vcc, v3, v12
	v_addc_co_u32_e32 v17, vcc, 0, v13, vcc
	v_mul_lo_u32 v18, s47, v3
	v_mul_lo_u32 v19, s46, v17
	v_mad_u64_u32 v[12:13], s[0:1], s46, v3, 0
	v_add3_u32 v13, v13, v19, v18
	v_sub_u32_e32 v18, v21, v13
	v_mov_b32_e32 v19, s47
	v_sub_co_u32_e32 v12, vcc, v22, v12
	v_subb_co_u32_e64 v18, s[0:1], v18, v19, vcc
	v_subrev_co_u32_e64 v19, s[0:1], s46, v12
	v_subbrev_co_u32_e64 v18, s[0:1], 0, v18, s[0:1]
	v_cmp_le_u32_e64 s[0:1], s47, v18
	v_cndmask_b32_e64 v22, 0, -1, s[0:1]
	v_cmp_le_u32_e64 s[0:1], s46, v19
	v_cndmask_b32_e64 v19, 0, -1, s[0:1]
	v_cmp_eq_u32_e64 s[0:1], s47, v18
	v_cndmask_b32_e64 v18, v22, v19, s[0:1]
	v_add_co_u32_e64 v19, s[0:1], 2, v3
	v_subb_co_u32_e32 v13, vcc, v21, v13, vcc
	v_addc_co_u32_e64 v22, s[0:1], 0, v17, s[0:1]
	v_cmp_le_u32_e32 vcc, s47, v13
	v_add_co_u32_e64 v23, s[0:1], 1, v3
	v_cndmask_b32_e64 v21, 0, -1, vcc
	v_cmp_le_u32_e32 vcc, s46, v12
	v_addc_co_u32_e64 v24, s[0:1], 0, v17, s[0:1]
	v_cndmask_b32_e64 v12, 0, -1, vcc
	v_cmp_eq_u32_e32 vcc, s47, v13
	v_cmp_ne_u32_e64 s[0:1], 0, v18
	v_cndmask_b32_e32 v12, v21, v12, vcc
	v_cmp_ne_u32_e32 vcc, 0, v12
	v_cndmask_b32_e64 v13, v23, v19, s[0:1]
	v_cndmask_b32_e64 v18, v24, v22, s[0:1]
	v_cndmask_b32_e32 v3, v3, v13, vcc
	v_xor_b32_e32 v13, s44, v20
	v_cndmask_b32_e32 v12, v17, v18, vcc
	v_xor_b32_e32 v3, v3, v13
	v_xor_b32_e32 v17, v12, v13
	v_sub_co_u32_e32 v12, vcc, v3, v13
	v_subb_co_u32_e32 v13, vcc, v17, v13, vcc
.LBB22_21:                              ;   in Loop: Header=BB22_19 Depth=2
	s_andn2_saveexec_b64 s[0:1], s[42:43]
	s_cbranch_execz .LBB22_18
; %bb.22:                               ;   in Loop: Header=BB22_19 Depth=2
	v_cvt_f32_u32_e32 v3, s40
	s_sub_i32 s42, 0, s40
	v_rcp_iflag_f32_e32 v3, v3
	v_mul_f32_e32 v3, 0x4f7ffffe, v3
	v_cvt_u32_f32_e32 v3, v3
	v_mul_lo_u32 v12, s42, v3
	v_mul_hi_u32 v12, v3, v12
	v_add_u32_e32 v3, v3, v12
	v_mul_hi_u32 v3, v8, v3
	v_mul_lo_u32 v12, v3, s40
	v_sub_u32_e32 v12, v8, v12
	v_add_u32_e32 v13, 1, v3
	v_subrev_u32_e32 v17, s40, v12
	v_cmp_le_u32_e32 vcc, s40, v12
	v_cndmask_b32_e32 v12, v12, v17, vcc
	v_cndmask_b32_e32 v3, v3, v13, vcc
	v_add_u32_e32 v13, 1, v3
	v_cmp_le_u32_e32 vcc, s40, v12
	v_cndmask_b32_e32 v12, v3, v13, vcc
	v_mov_b32_e32 v13, v2
	s_branch .LBB22_18
.LBB22_23:
	s_endpgm
	.section	.rodata,"a",@progbits
	.p2align	6, 0x0
	.amdhsa_kernel _ZN2at6native16triu_tril_kernelIdlLb0ELi2ELb1EEEvNS_4cuda6detail10TensorInfoIT_T0_EENS4_IKS5_S6_EEllS6_
		.amdhsa_group_segment_fixed_size 0
		.amdhsa_private_segment_fixed_size 0
		.amdhsa_kernarg_size 1112
		.amdhsa_user_sgpr_count 6
		.amdhsa_user_sgpr_private_segment_buffer 1
		.amdhsa_user_sgpr_dispatch_ptr 0
		.amdhsa_user_sgpr_queue_ptr 0
		.amdhsa_user_sgpr_kernarg_segment_ptr 1
		.amdhsa_user_sgpr_dispatch_id 0
		.amdhsa_user_sgpr_flat_scratch_init 0
		.amdhsa_user_sgpr_kernarg_preload_length 0
		.amdhsa_user_sgpr_kernarg_preload_offset 0
		.amdhsa_user_sgpr_private_segment_size 0
		.amdhsa_uses_dynamic_stack 0
		.amdhsa_system_sgpr_private_segment_wavefront_offset 0
		.amdhsa_system_sgpr_workgroup_id_x 1
		.amdhsa_system_sgpr_workgroup_id_y 0
		.amdhsa_system_sgpr_workgroup_id_z 0
		.amdhsa_system_sgpr_workgroup_info 0
		.amdhsa_system_vgpr_workitem_id 0
		.amdhsa_next_free_vgpr 25
		.amdhsa_next_free_sgpr 49
		.amdhsa_accum_offset 28
		.amdhsa_reserve_vcc 1
		.amdhsa_reserve_flat_scratch 0
		.amdhsa_float_round_mode_32 0
		.amdhsa_float_round_mode_16_64 0
		.amdhsa_float_denorm_mode_32 3
		.amdhsa_float_denorm_mode_16_64 3
		.amdhsa_dx10_clamp 1
		.amdhsa_ieee_mode 1
		.amdhsa_fp16_overflow 0
		.amdhsa_tg_split 0
		.amdhsa_exception_fp_ieee_invalid_op 0
		.amdhsa_exception_fp_denorm_src 0
		.amdhsa_exception_fp_ieee_div_zero 0
		.amdhsa_exception_fp_ieee_overflow 0
		.amdhsa_exception_fp_ieee_underflow 0
		.amdhsa_exception_fp_ieee_inexact 0
		.amdhsa_exception_int_div_zero 0
	.end_amdhsa_kernel
	.section	.text._ZN2at6native16triu_tril_kernelIdlLb0ELi2ELb1EEEvNS_4cuda6detail10TensorInfoIT_T0_EENS4_IKS5_S6_EEllS6_,"axG",@progbits,_ZN2at6native16triu_tril_kernelIdlLb0ELi2ELb1EEEvNS_4cuda6detail10TensorInfoIT_T0_EENS4_IKS5_S6_EEllS6_,comdat
.Lfunc_end22:
	.size	_ZN2at6native16triu_tril_kernelIdlLb0ELi2ELb1EEEvNS_4cuda6detail10TensorInfoIT_T0_EENS4_IKS5_S6_EEllS6_, .Lfunc_end22-_ZN2at6native16triu_tril_kernelIdlLb0ELi2ELb1EEEvNS_4cuda6detail10TensorInfoIT_T0_EENS4_IKS5_S6_EEllS6_
                                        ; -- End function
	.section	.AMDGPU.csdata,"",@progbits
; Kernel info:
; codeLenInByte = 3220
; NumSgprs: 53
; NumVgprs: 25
; NumAgprs: 0
; TotalNumVgprs: 25
; ScratchSize: 0
; MemoryBound: 0
; FloatMode: 240
; IeeeMode: 1
; LDSByteSize: 0 bytes/workgroup (compile time only)
; SGPRBlocks: 6
; VGPRBlocks: 3
; NumSGPRsForWavesPerEU: 53
; NumVGPRsForWavesPerEU: 25
; AccumOffset: 28
; Occupancy: 8
; WaveLimiterHint : 0
; COMPUTE_PGM_RSRC2:SCRATCH_EN: 0
; COMPUTE_PGM_RSRC2:USER_SGPR: 6
; COMPUTE_PGM_RSRC2:TRAP_HANDLER: 0
; COMPUTE_PGM_RSRC2:TGID_X_EN: 1
; COMPUTE_PGM_RSRC2:TGID_Y_EN: 0
; COMPUTE_PGM_RSRC2:TGID_Z_EN: 0
; COMPUTE_PGM_RSRC2:TIDIG_COMP_CNT: 0
; COMPUTE_PGM_RSRC3_GFX90A:ACCUM_OFFSET: 6
; COMPUTE_PGM_RSRC3_GFX90A:TG_SPLIT: 0
	.section	.text._ZN2at6native16triu_tril_kernelIdlLb0ELi2ELb0EEEvNS_4cuda6detail10TensorInfoIT_T0_EENS4_IKS5_S6_EEllS6_,"axG",@progbits,_ZN2at6native16triu_tril_kernelIdlLb0ELi2ELb0EEEvNS_4cuda6detail10TensorInfoIT_T0_EENS4_IKS5_S6_EEllS6_,comdat
	.protected	_ZN2at6native16triu_tril_kernelIdlLb0ELi2ELb0EEEvNS_4cuda6detail10TensorInfoIT_T0_EENS4_IKS5_S6_EEllS6_ ; -- Begin function _ZN2at6native16triu_tril_kernelIdlLb0ELi2ELb0EEEvNS_4cuda6detail10TensorInfoIT_T0_EENS4_IKS5_S6_EEllS6_
	.globl	_ZN2at6native16triu_tril_kernelIdlLb0ELi2ELb0EEEvNS_4cuda6detail10TensorInfoIT_T0_EENS4_IKS5_S6_EEllS6_
	.p2align	8
	.type	_ZN2at6native16triu_tril_kernelIdlLb0ELi2ELb0EEEvNS_4cuda6detail10TensorInfoIT_T0_EENS4_IKS5_S6_EEllS6_,@function
_ZN2at6native16triu_tril_kernelIdlLb0ELi2ELb0EEEvNS_4cuda6detail10TensorInfoIT_T0_EENS4_IKS5_S6_EEllS6_: ; @_ZN2at6native16triu_tril_kernelIdlLb0ELi2ELb0EEEvNS_4cuda6detail10TensorInfoIT_T0_EENS4_IKS5_S6_EEllS6_
; %bb.0:
	s_load_dword s2, s[4:5], 0x364
	s_load_dwordx4 s[8:11], s[4:5], 0x340
	s_add_u32 s0, s4, 0x358
	v_mov_b32_e32 v2, 0
	s_addc_u32 s1, s5, 0
	s_waitcnt lgkmcnt(0)
	s_and_b32 s7, s2, 0xffff
	v_mov_b32_e32 v1, v2
	v_mov_b32_e32 v3, s6
	v_mad_u64_u32 v[0:1], s[2:3], s7, v3, v[0:1]
	v_lshlrev_b64 v[0:1], 1, v[0:1]
	v_cmp_gt_i64_e32 vcc, s[10:11], v[0:1]
	s_and_saveexec_b64 s[2:3], vcc
	s_cbranch_execz .LBB23_26
; %bb.1:
	s_load_dword s6, s[0:1], 0x0
	s_load_dwordx2 s[2:3], s[4:5], 0x350
	s_load_dword s26, s[4:5], 0x338
	s_add_u32 s12, s4, 0x1a0
	s_addc_u32 s13, s5, 0
	s_waitcnt lgkmcnt(0)
	s_mul_i32 s28, s6, s7
	v_cvt_f32_u32_e32 v3, s2
	s_ashr_i32 s27, s26, 31
	s_add_u32 s30, s4, 0x1a8
	s_addc_u32 s31, s5, 0
	s_lshl_b64 s[0:1], s[26:27], 3
	s_add_u32 s22, s0, -16
	s_addc_u32 s23, s1, -1
	s_add_u32 s0, s30, s22
	s_addc_u32 s1, s31, s23
	s_add_u32 s20, s12, s22
	s_addc_u32 s21, s13, s23
	v_cmp_gt_i64_e64 s[24:25], s[26:27], 2
	s_add_u32 s27, s4, 0xd0
	s_addc_u32 s34, s5, 0
	s_load_dwordx4 s[12:15], s[0:1], 0x0
	s_load_dwordx4 s[16:19], s[20:21], 0xd0
	s_add_u32 s0, s27, s22
	s_addc_u32 s1, s34, s23
	s_load_dwordx2 s[6:7], s[4:5], 0x1a0
	s_load_dwordx4 s[20:23], s[0:1], 0x0
	v_rcp_iflag_f32_e32 v3, v3
	s_load_dwordx2 s[4:5], s[4:5], 0x0
	s_add_i32 s0, s26, -3
	s_ashr_i32 s1, s0, 31
	s_lshl_b32 s33, s28, 1
	s_lshl_b64 s[28:29], s[0:1], 3
	s_add_u32 s26, s27, s28
	s_addc_u32 s27, s34, s29
	v_mul_f32_e32 v3, 0x4f7ffffe, v3
	s_add_u32 s28, s30, s28
	v_cvt_u32_f32_e32 v16, v3
	s_addc_u32 s29, s31, s29
	s_add_u32 s30, s0, 1
	s_mov_b32 s50, 0
	s_addc_u32 s31, s1, 0
	s_mov_b64 s[34:35], 0
	s_branch .LBB23_3
.LBB23_2:                               ;   in Loop: Header=BB23_3 Depth=1
	s_or_b64 exec, exec, s[0:1]
	v_mov_b32_e32 v3, s50
	v_add_co_u32_e32 v0, vcc, s33, v0
	v_addc_co_u32_e32 v1, vcc, v1, v3, vcc
	v_cmp_le_i64_e32 vcc, s[10:11], v[0:1]
	s_or_b64 s[34:35], vcc, s[34:35]
	s_andn2_b64 exec, exec, s[34:35]
	s_cbranch_execz .LBB23_26
.LBB23_3:                               ; =>This Loop Header: Depth=1
                                        ;     Child Loop BB23_22 Depth 2
	v_or_b32_e32 v3, s3, v1
	v_cmp_ne_u64_e32 vcc, 0, v[2:3]
                                        ; implicit-def: $vgpr6_vgpr7
	s_and_saveexec_b64 s[0:1], vcc
	s_xor_b64 s[36:37], exec, s[0:1]
	s_cbranch_execz .LBB23_5
; %bb.4:                                ;   in Loop: Header=BB23_3 Depth=1
	s_ashr_i32 s38, s3, 31
	s_add_u32 s0, s2, s38
	s_mov_b32 s39, s38
	s_addc_u32 s1, s3, s38
	s_xor_b64 s[40:41], s[0:1], s[38:39]
	v_cvt_f32_u32_e32 v3, s40
	v_cvt_f32_u32_e32 v4, s41
	s_sub_u32 s0, 0, s40
	s_subb_u32 s1, 0, s41
	v_mac_f32_e32 v3, 0x4f800000, v4
	v_rcp_f32_e32 v3, v3
	v_mul_f32_e32 v3, 0x5f7ffffc, v3
	v_mul_f32_e32 v4, 0x2f800000, v3
	v_trunc_f32_e32 v4, v4
	v_mac_f32_e32 v3, 0xcf800000, v4
	v_cvt_u32_f32_e32 v4, v4
	v_cvt_u32_f32_e32 v3, v3
	v_mul_lo_u32 v5, s0, v4
	v_mul_hi_u32 v7, s0, v3
	v_mul_lo_u32 v6, s1, v3
	v_add_u32_e32 v5, v7, v5
	v_mul_lo_u32 v8, s0, v3
	v_add_u32_e32 v5, v5, v6
	v_mul_lo_u32 v7, v3, v5
	v_mul_hi_u32 v9, v3, v8
	v_mul_hi_u32 v6, v3, v5
	v_add_co_u32_e32 v7, vcc, v9, v7
	v_addc_co_u32_e32 v6, vcc, 0, v6, vcc
	v_mul_hi_u32 v10, v4, v8
	v_mul_lo_u32 v8, v4, v8
	v_add_co_u32_e32 v7, vcc, v7, v8
	v_mul_hi_u32 v9, v4, v5
	v_addc_co_u32_e32 v6, vcc, v6, v10, vcc
	v_addc_co_u32_e32 v7, vcc, 0, v9, vcc
	v_mul_lo_u32 v5, v4, v5
	v_add_co_u32_e32 v5, vcc, v6, v5
	v_addc_co_u32_e32 v6, vcc, 0, v7, vcc
	v_add_co_u32_e32 v3, vcc, v3, v5
	v_addc_co_u32_e32 v4, vcc, v4, v6, vcc
	v_mul_lo_u32 v5, s0, v4
	v_mul_hi_u32 v6, s0, v3
	v_add_u32_e32 v5, v6, v5
	v_mul_lo_u32 v6, s1, v3
	v_add_u32_e32 v5, v5, v6
	v_mul_lo_u32 v7, s0, v3
	v_mul_hi_u32 v8, v4, v7
	v_mul_lo_u32 v9, v4, v7
	v_mul_lo_u32 v11, v3, v5
	v_mul_hi_u32 v7, v3, v7
	v_mul_hi_u32 v10, v3, v5
	v_add_co_u32_e32 v7, vcc, v7, v11
	v_addc_co_u32_e32 v10, vcc, 0, v10, vcc
	v_add_co_u32_e32 v7, vcc, v7, v9
	v_mul_hi_u32 v6, v4, v5
	v_addc_co_u32_e32 v7, vcc, v10, v8, vcc
	v_addc_co_u32_e32 v6, vcc, 0, v6, vcc
	v_mul_lo_u32 v5, v4, v5
	v_add_co_u32_e32 v5, vcc, v7, v5
	v_addc_co_u32_e32 v6, vcc, 0, v6, vcc
	v_add_co_u32_e32 v3, vcc, v3, v5
	v_addc_co_u32_e32 v6, vcc, v4, v6, vcc
	v_ashrrev_i32_e32 v8, 31, v1
	v_add_co_u32_e32 v4, vcc, v0, v8
	v_addc_co_u32_e32 v5, vcc, v1, v8, vcc
	v_xor_b32_e32 v10, v4, v8
	v_xor_b32_e32 v9, v5, v8
	v_mad_u64_u32 v[4:5], s[0:1], v10, v6, 0
	v_mul_hi_u32 v7, v10, v3
	v_add_co_u32_e32 v11, vcc, v7, v4
	v_addc_co_u32_e32 v12, vcc, 0, v5, vcc
	v_mad_u64_u32 v[4:5], s[0:1], v9, v6, 0
	v_mad_u64_u32 v[6:7], s[0:1], v9, v3, 0
	v_add_co_u32_e32 v3, vcc, v11, v6
	v_addc_co_u32_e32 v3, vcc, v12, v7, vcc
	v_addc_co_u32_e32 v5, vcc, 0, v5, vcc
	v_add_co_u32_e32 v3, vcc, v3, v4
	v_addc_co_u32_e32 v6, vcc, 0, v5, vcc
	v_mul_lo_u32 v7, s41, v3
	v_mul_lo_u32 v11, s40, v6
	v_mad_u64_u32 v[4:5], s[0:1], s40, v3, 0
	v_add3_u32 v5, v5, v11, v7
	v_sub_u32_e32 v7, v9, v5
	v_mov_b32_e32 v11, s41
	v_sub_co_u32_e32 v4, vcc, v10, v4
	v_subb_co_u32_e64 v7, s[0:1], v7, v11, vcc
	v_subrev_co_u32_e64 v10, s[0:1], s40, v4
	v_subbrev_co_u32_e64 v7, s[0:1], 0, v7, s[0:1]
	v_cmp_le_u32_e64 s[0:1], s41, v7
	v_cndmask_b32_e64 v11, 0, -1, s[0:1]
	v_cmp_le_u32_e64 s[0:1], s40, v10
	v_cndmask_b32_e64 v10, 0, -1, s[0:1]
	v_cmp_eq_u32_e64 s[0:1], s41, v7
	v_cndmask_b32_e64 v7, v11, v10, s[0:1]
	v_add_co_u32_e64 v10, s[0:1], 2, v3
	v_subb_co_u32_e32 v5, vcc, v9, v5, vcc
	v_addc_co_u32_e64 v11, s[0:1], 0, v6, s[0:1]
	v_cmp_le_u32_e32 vcc, s41, v5
	v_add_co_u32_e64 v12, s[0:1], 1, v3
	v_cndmask_b32_e64 v9, 0, -1, vcc
	v_cmp_le_u32_e32 vcc, s40, v4
	v_addc_co_u32_e64 v13, s[0:1], 0, v6, s[0:1]
	v_cndmask_b32_e64 v4, 0, -1, vcc
	v_cmp_eq_u32_e32 vcc, s41, v5
	v_cmp_ne_u32_e64 s[0:1], 0, v7
	v_cndmask_b32_e32 v4, v9, v4, vcc
	v_cmp_ne_u32_e32 vcc, 0, v4
	v_cndmask_b32_e64 v5, v12, v10, s[0:1]
	v_cndmask_b32_e64 v7, v13, v11, s[0:1]
	v_cndmask_b32_e32 v3, v3, v5, vcc
	v_xor_b32_e32 v5, s38, v8
	v_cndmask_b32_e32 v4, v6, v7, vcc
	v_xor_b32_e32 v3, v3, v5
	v_xor_b32_e32 v4, v4, v5
	v_sub_co_u32_e32 v6, vcc, v3, v5
	v_subb_co_u32_e32 v7, vcc, v4, v5, vcc
.LBB23_5:                               ;   in Loop: Header=BB23_3 Depth=1
	s_andn2_saveexec_b64 s[0:1], s[36:37]
	s_cbranch_execz .LBB23_7
; %bb.6:                                ;   in Loop: Header=BB23_3 Depth=1
	s_sub_i32 s36, 0, s2
	v_mul_lo_u32 v3, s36, v16
	v_mul_hi_u32 v3, v16, v3
	v_add_u32_e32 v3, v16, v3
	v_mul_hi_u32 v3, v0, v3
	v_mul_lo_u32 v4, v3, s2
	v_sub_u32_e32 v4, v0, v4
	v_subrev_u32_e32 v5, s2, v4
	v_cmp_le_u32_e32 vcc, s2, v4
	v_cndmask_b32_e32 v4, v4, v5, vcc
	v_add_u32_e32 v5, 1, v3
	v_cndmask_b32_e32 v3, v3, v5, vcc
	v_add_u32_e32 v5, 1, v3
	v_cmp_le_u32_e32 vcc, s2, v4
	v_cndmask_b32_e32 v6, v3, v5, vcc
	v_mov_b32_e32 v7, v2
.LBB23_7:                               ;   in Loop: Header=BB23_3 Depth=1
	s_or_b64 exec, exec, s[0:1]
	s_waitcnt lgkmcnt(0)
	v_or_b32_e32 v3, s13, v7
	v_cmp_ne_u64_e32 vcc, 0, v[2:3]
                                        ; implicit-def: $vgpr10_vgpr11
	s_and_saveexec_b64 s[0:1], vcc
	s_xor_b64 s[36:37], exec, s[0:1]
	s_cbranch_execz .LBB23_9
; %bb.8:                                ;   in Loop: Header=BB23_3 Depth=1
	s_ashr_i32 s38, s13, 31
	s_add_u32 s0, s12, s38
	s_mov_b32 s39, s38
	s_addc_u32 s1, s13, s38
	s_xor_b64 s[40:41], s[0:1], s[38:39]
	v_cvt_f32_u32_e32 v3, s40
	v_cvt_f32_u32_e32 v4, s41
	s_sub_u32 s0, 0, s40
	s_subb_u32 s1, 0, s41
	v_mac_f32_e32 v3, 0x4f800000, v4
	v_rcp_f32_e32 v3, v3
	v_mul_f32_e32 v3, 0x5f7ffffc, v3
	v_mul_f32_e32 v4, 0x2f800000, v3
	v_trunc_f32_e32 v4, v4
	v_mac_f32_e32 v3, 0xcf800000, v4
	v_cvt_u32_f32_e32 v4, v4
	v_cvt_u32_f32_e32 v3, v3
	v_mul_lo_u32 v5, s0, v4
	v_mul_hi_u32 v9, s0, v3
	v_mul_lo_u32 v8, s1, v3
	v_add_u32_e32 v5, v9, v5
	v_mul_lo_u32 v10, s0, v3
	v_add_u32_e32 v5, v5, v8
	v_mul_lo_u32 v9, v3, v5
	v_mul_hi_u32 v11, v3, v10
	v_mul_hi_u32 v8, v3, v5
	v_add_co_u32_e32 v9, vcc, v11, v9
	v_addc_co_u32_e32 v8, vcc, 0, v8, vcc
	v_mul_hi_u32 v12, v4, v10
	v_mul_lo_u32 v10, v4, v10
	v_add_co_u32_e32 v9, vcc, v9, v10
	v_mul_hi_u32 v11, v4, v5
	v_addc_co_u32_e32 v8, vcc, v8, v12, vcc
	v_addc_co_u32_e32 v9, vcc, 0, v11, vcc
	v_mul_lo_u32 v5, v4, v5
	v_add_co_u32_e32 v5, vcc, v8, v5
	v_addc_co_u32_e32 v8, vcc, 0, v9, vcc
	v_add_co_u32_e32 v3, vcc, v3, v5
	v_addc_co_u32_e32 v4, vcc, v4, v8, vcc
	v_mul_lo_u32 v5, s0, v4
	v_mul_hi_u32 v8, s0, v3
	v_add_u32_e32 v5, v8, v5
	v_mul_lo_u32 v8, s1, v3
	v_add_u32_e32 v5, v5, v8
	v_mul_lo_u32 v9, s0, v3
	v_mul_hi_u32 v10, v4, v9
	v_mul_lo_u32 v11, v4, v9
	v_mul_lo_u32 v13, v3, v5
	v_mul_hi_u32 v9, v3, v9
	v_mul_hi_u32 v12, v3, v5
	v_add_co_u32_e32 v9, vcc, v9, v13
	v_addc_co_u32_e32 v12, vcc, 0, v12, vcc
	v_add_co_u32_e32 v9, vcc, v9, v11
	v_mul_hi_u32 v8, v4, v5
	v_addc_co_u32_e32 v9, vcc, v12, v10, vcc
	v_addc_co_u32_e32 v8, vcc, 0, v8, vcc
	v_mul_lo_u32 v5, v4, v5
	v_add_co_u32_e32 v5, vcc, v9, v5
	v_addc_co_u32_e32 v8, vcc, 0, v8, vcc
	v_add_co_u32_e32 v3, vcc, v3, v5
	v_addc_co_u32_e32 v8, vcc, v4, v8, vcc
	v_ashrrev_i32_e32 v10, 31, v7
	v_add_co_u32_e32 v4, vcc, v6, v10
	v_addc_co_u32_e32 v5, vcc, v7, v10, vcc
	v_xor_b32_e32 v12, v4, v10
	v_xor_b32_e32 v11, v5, v10
	v_mad_u64_u32 v[4:5], s[0:1], v12, v8, 0
	v_mul_hi_u32 v9, v12, v3
	v_add_co_u32_e32 v13, vcc, v9, v4
	v_addc_co_u32_e32 v14, vcc, 0, v5, vcc
	v_mad_u64_u32 v[4:5], s[0:1], v11, v8, 0
	v_mad_u64_u32 v[8:9], s[0:1], v11, v3, 0
	v_add_co_u32_e32 v3, vcc, v13, v8
	v_addc_co_u32_e32 v3, vcc, v14, v9, vcc
	v_addc_co_u32_e32 v5, vcc, 0, v5, vcc
	v_add_co_u32_e32 v3, vcc, v3, v4
	v_addc_co_u32_e32 v8, vcc, 0, v5, vcc
	v_mul_lo_u32 v9, s41, v3
	v_mul_lo_u32 v13, s40, v8
	v_mad_u64_u32 v[4:5], s[0:1], s40, v3, 0
	v_add3_u32 v5, v5, v13, v9
	v_sub_u32_e32 v9, v11, v5
	v_mov_b32_e32 v13, s41
	v_sub_co_u32_e32 v4, vcc, v12, v4
	v_subb_co_u32_e64 v9, s[0:1], v9, v13, vcc
	v_subrev_co_u32_e64 v12, s[0:1], s40, v4
	v_subbrev_co_u32_e64 v9, s[0:1], 0, v9, s[0:1]
	v_cmp_le_u32_e64 s[0:1], s41, v9
	v_cndmask_b32_e64 v13, 0, -1, s[0:1]
	v_cmp_le_u32_e64 s[0:1], s40, v12
	v_cndmask_b32_e64 v12, 0, -1, s[0:1]
	v_cmp_eq_u32_e64 s[0:1], s41, v9
	v_cndmask_b32_e64 v9, v13, v12, s[0:1]
	v_add_co_u32_e64 v12, s[0:1], 2, v3
	v_subb_co_u32_e32 v5, vcc, v11, v5, vcc
	v_addc_co_u32_e64 v13, s[0:1], 0, v8, s[0:1]
	v_cmp_le_u32_e32 vcc, s41, v5
	v_add_co_u32_e64 v14, s[0:1], 1, v3
	v_cndmask_b32_e64 v11, 0, -1, vcc
	v_cmp_le_u32_e32 vcc, s40, v4
	v_addc_co_u32_e64 v15, s[0:1], 0, v8, s[0:1]
	v_cndmask_b32_e64 v4, 0, -1, vcc
	v_cmp_eq_u32_e32 vcc, s41, v5
	v_cmp_ne_u32_e64 s[0:1], 0, v9
	v_cndmask_b32_e32 v4, v11, v4, vcc
	v_cmp_ne_u32_e32 vcc, 0, v4
	v_cndmask_b32_e64 v5, v14, v12, s[0:1]
	v_cndmask_b32_e64 v9, v15, v13, s[0:1]
	v_cndmask_b32_e32 v3, v3, v5, vcc
	v_xor_b32_e32 v5, s38, v10
	v_cndmask_b32_e32 v4, v8, v9, vcc
	v_xor_b32_e32 v3, v3, v5
	v_xor_b32_e32 v4, v4, v5
	v_sub_co_u32_e32 v10, vcc, v3, v5
	v_subb_co_u32_e32 v11, vcc, v4, v5, vcc
.LBB23_9:                               ;   in Loop: Header=BB23_3 Depth=1
	s_andn2_saveexec_b64 s[0:1], s[36:37]
	s_cbranch_execz .LBB23_11
; %bb.10:                               ;   in Loop: Header=BB23_3 Depth=1
	v_cvt_f32_u32_e32 v3, s12
	s_sub_i32 s36, 0, s12
	v_mov_b32_e32 v11, v2
	v_rcp_iflag_f32_e32 v3, v3
	v_mul_f32_e32 v3, 0x4f7ffffe, v3
	v_cvt_u32_f32_e32 v3, v3
	v_mul_lo_u32 v4, s36, v3
	v_mul_hi_u32 v4, v3, v4
	v_add_u32_e32 v3, v3, v4
	v_mul_hi_u32 v3, v6, v3
	v_mul_lo_u32 v4, v3, s12
	v_sub_u32_e32 v4, v6, v4
	v_add_u32_e32 v5, 1, v3
	v_subrev_u32_e32 v8, s12, v4
	v_cmp_le_u32_e32 vcc, s12, v4
	v_cndmask_b32_e32 v4, v4, v8, vcc
	v_cndmask_b32_e32 v3, v3, v5, vcc
	v_add_u32_e32 v5, 1, v3
	v_cmp_le_u32_e32 vcc, s12, v4
	v_cndmask_b32_e32 v10, v3, v5, vcc
.LBB23_11:                              ;   in Loop: Header=BB23_3 Depth=1
	s_or_b64 exec, exec, s[0:1]
	v_mul_lo_u32 v3, v7, s2
	v_mul_lo_u32 v8, v6, s3
	v_mad_u64_u32 v[4:5], s[0:1], v6, s2, 0
	v_add3_u32 v3, v5, v8, v3
	v_sub_co_u32_e32 v4, vcc, v0, v4
	v_subb_co_u32_e32 v5, vcc, v1, v3, vcc
	v_mul_lo_u32 v3, v11, s12
	v_mul_lo_u32 v12, v10, s13
	v_mad_u64_u32 v[8:9], s[0:1], v10, s12, 0
	v_add3_u32 v3, v9, v12, v3
	v_sub_co_u32_e32 v14, vcc, v6, v8
	v_subb_co_u32_e32 v15, vcc, v7, v3, vcc
	v_mul_lo_u32 v3, s19, v4
	v_mul_lo_u32 v8, s18, v5
	v_mad_u64_u32 v[6:7], s[0:1], s18, v4, 0
	v_add3_u32 v7, v7, v8, v3
	v_mul_lo_u32 v3, s23, v4
	v_mul_lo_u32 v8, s22, v5
	v_mad_u64_u32 v[12:13], s[0:1], s22, v4, 0
	v_add3_u32 v13, v13, v8, v3
	v_mad_u64_u32 v[8:9], s[0:1], s16, v14, v[6:7]
	v_mul_lo_u32 v3, s16, v15
	v_mul_lo_u32 v6, s17, v14
	v_add3_u32 v9, v6, v9, v3
	v_mad_u64_u32 v[6:7], s[0:1], s20, v14, v[12:13]
	v_mul_lo_u32 v3, s20, v15
	v_mul_lo_u32 v12, s21, v14
	v_add3_u32 v7, v12, v7, v3
	s_and_b64 vcc, exec, s[24:25]
	s_mov_b64 s[36:37], s[30:31]
	s_mov_b64 s[38:39], s[28:29]
	;; [unrolled: 1-line block ×3, first 2 shown]
	s_cbranch_vccnz .LBB23_22
.LBB23_12:                              ;   in Loop: Header=BB23_3 Depth=1
	v_sub_co_u32_e32 v12, vcc, v4, v14
	v_subb_co_u32_e32 v13, vcc, v5, v15, vcc
	v_pk_mov_b32 v[14:15], 0, 0
	v_cmp_ge_i64_e32 vcc, s[8:9], v[12:13]
	v_pk_mov_b32 v[10:11], v[14:15], v[14:15] op_sel:[0,1]
	s_and_saveexec_b64 s[0:1], vcc
	s_cbranch_execz .LBB23_18
; %bb.13:                               ;   in Loop: Header=BB23_3 Depth=1
	v_pk_mov_b32 v[10:11], 0, 0
	v_cmp_gt_i64_e32 vcc, s[14:15], v[4:5]
	v_pk_mov_b32 v[14:15], v[10:11], v[10:11] op_sel:[0,1]
	s_and_saveexec_b64 s[36:37], vcc
	s_cbranch_execz .LBB23_17
; %bb.14:                               ;   in Loop: Header=BB23_3 Depth=1
	v_lshlrev_b64 v[8:9], 3, v[8:9]
	v_mov_b32_e32 v3, s7
	v_add_co_u32_e32 v8, vcc, s6, v8
	v_addc_co_u32_e32 v9, vcc, v3, v9, vcc
	global_load_dwordx2 v[10:11], v[8:9], off
	v_add_co_u32_e32 v14, vcc, 1, v4
	v_addc_co_u32_e32 v15, vcc, 0, v5, vcc
	v_cmp_gt_i64_e32 vcc, s[14:15], v[14:15]
	v_pk_mov_b32 v[14:15], 0, 0
	s_and_saveexec_b64 s[38:39], vcc
	s_xor_b64 s[38:39], exec, s[38:39]
	s_cbranch_execz .LBB23_16
; %bb.15:                               ;   in Loop: Header=BB23_3 Depth=1
	s_lshl_b64 s[40:41], s[18:19], 3
	v_mov_b32_e32 v3, s41
	v_add_co_u32_e32 v8, vcc, s40, v8
	v_addc_co_u32_e32 v9, vcc, v9, v3, vcc
	global_load_dwordx2 v[14:15], v[8:9], off
.LBB23_16:                              ;   in Loop: Header=BB23_3 Depth=1
	s_or_b64 exec, exec, s[38:39]
.LBB23_17:                              ;   in Loop: Header=BB23_3 Depth=1
	s_or_b64 exec, exec, s[36:37]
	v_add_co_u32_e32 v8, vcc, 1, v12
	v_addc_co_u32_e32 v9, vcc, 0, v13, vcc
	v_cmp_ge_i64_e32 vcc, s[8:9], v[8:9]
	s_waitcnt vmcnt(0)
	v_cndmask_b32_e32 v15, 0, v15, vcc
	v_cndmask_b32_e32 v14, 0, v14, vcc
.LBB23_18:                              ;   in Loop: Header=BB23_3 Depth=1
	s_or_b64 exec, exec, s[0:1]
	v_cmp_gt_i64_e32 vcc, s[14:15], v[4:5]
	s_and_saveexec_b64 s[0:1], vcc
	s_cbranch_execz .LBB23_2
; %bb.19:                               ;   in Loop: Header=BB23_3 Depth=1
	v_lshlrev_b64 v[6:7], 3, v[6:7]
	v_mov_b32_e32 v3, s5
	v_add_co_u32_e32 v6, vcc, s4, v6
	v_addc_co_u32_e32 v7, vcc, v3, v7, vcc
	v_add_co_u32_e32 v4, vcc, 1, v4
	v_addc_co_u32_e32 v5, vcc, 0, v5, vcc
	v_cmp_gt_i64_e32 vcc, s[14:15], v[4:5]
	global_store_dwordx2 v[6:7], v[10:11], off
	s_and_saveexec_b64 s[36:37], vcc
	s_xor_b64 s[36:37], exec, s[36:37]
	s_cbranch_execz .LBB23_2
; %bb.20:                               ;   in Loop: Header=BB23_3 Depth=1
	s_lshl_b64 s[36:37], s[22:23], 3
	v_mov_b32_e32 v3, s37
	v_add_co_u32_e32 v4, vcc, s36, v6
	v_addc_co_u32_e32 v5, vcc, v7, v3, vcc
	global_store_dwordx2 v[4:5], v[14:15], off
	s_branch .LBB23_2
.LBB23_21:                              ;   in Loop: Header=BB23_22 Depth=2
	s_or_b64 exec, exec, s[0:1]
	v_mad_u64_u32 v[18:19], s[0:1], v12, s42, 0
	v_mul_lo_u32 v3, v13, s42
	v_mul_lo_u32 v17, v12, s43
	s_load_dwordx2 s[0:1], s[38:39], 0xc8
	s_load_dwordx2 s[42:43], s[40:41], 0x0
	s_add_u32 s40, s40, -8
	s_addc_u32 s41, s41, -1
	s_add_u32 s38, s38, -8
	v_add3_u32 v3, v19, v17, v3
	v_sub_co_u32_e32 v10, vcc, v10, v18
	s_addc_u32 s39, s39, -1
	v_subb_co_u32_e32 v3, vcc, v11, v3, vcc
	s_add_u32 s36, s36, -1
	s_waitcnt lgkmcnt(0)
	v_mul_lo_u32 v11, s0, v3
	v_mul_lo_u32 v17, s1, v10
	v_mad_u64_u32 v[8:9], s[0:1], s0, v10, v[8:9]
	v_mad_u64_u32 v[6:7], s[0:1], s42, v10, v[6:7]
	s_addc_u32 s37, s37, -1
	v_add3_u32 v9, v17, v9, v11
	v_mul_lo_u32 v3, s42, v3
	v_mul_lo_u32 v11, s43, v10
	v_cmp_lt_i64_e64 s[0:1], s[36:37], 1
	v_add3_u32 v7, v11, v7, v3
	s_and_b64 vcc, exec, s[0:1]
	v_pk_mov_b32 v[10:11], v[12:13], v[12:13] op_sel:[0,1]
	s_cbranch_vccnz .LBB23_12
.LBB23_22:                              ;   Parent Loop BB23_3 Depth=1
                                        ; =>  This Inner Loop Header: Depth=2
	s_load_dwordx2 s[42:43], s[38:39], 0x0
                                        ; implicit-def: $vgpr12_vgpr13
	s_waitcnt lgkmcnt(0)
	v_or_b32_e32 v3, s43, v11
	v_cmp_ne_u64_e32 vcc, 0, v[2:3]
	s_and_saveexec_b64 s[0:1], vcc
	s_xor_b64 s[44:45], exec, s[0:1]
	s_cbranch_execz .LBB23_24
; %bb.23:                               ;   in Loop: Header=BB23_22 Depth=2
	s_ashr_i32 s46, s43, 31
	s_add_u32 s0, s42, s46
	s_mov_b32 s47, s46
	s_addc_u32 s1, s43, s46
	s_xor_b64 s[48:49], s[0:1], s[46:47]
	v_cvt_f32_u32_e32 v3, s48
	v_cvt_f32_u32_e32 v12, s49
	s_sub_u32 s0, 0, s48
	s_subb_u32 s1, 0, s49
	v_mac_f32_e32 v3, 0x4f800000, v12
	v_rcp_f32_e32 v3, v3
	v_mul_f32_e32 v3, 0x5f7ffffc, v3
	v_mul_f32_e32 v12, 0x2f800000, v3
	v_trunc_f32_e32 v12, v12
	v_mac_f32_e32 v3, 0xcf800000, v12
	v_cvt_u32_f32_e32 v12, v12
	v_cvt_u32_f32_e32 v3, v3
	v_mul_lo_u32 v13, s0, v12
	v_mul_hi_u32 v18, s0, v3
	v_mul_lo_u32 v17, s1, v3
	v_add_u32_e32 v13, v18, v13
	v_mul_lo_u32 v19, s0, v3
	v_add_u32_e32 v13, v13, v17
	v_mul_lo_u32 v18, v3, v13
	v_mul_hi_u32 v20, v3, v19
	v_mul_hi_u32 v17, v3, v13
	v_add_co_u32_e32 v18, vcc, v20, v18
	v_addc_co_u32_e32 v17, vcc, 0, v17, vcc
	v_mul_hi_u32 v21, v12, v19
	v_mul_lo_u32 v19, v12, v19
	v_add_co_u32_e32 v18, vcc, v18, v19
	v_mul_hi_u32 v20, v12, v13
	v_addc_co_u32_e32 v17, vcc, v17, v21, vcc
	v_addc_co_u32_e32 v18, vcc, 0, v20, vcc
	v_mul_lo_u32 v13, v12, v13
	v_add_co_u32_e32 v13, vcc, v17, v13
	v_addc_co_u32_e32 v17, vcc, 0, v18, vcc
	v_add_co_u32_e32 v3, vcc, v3, v13
	v_addc_co_u32_e32 v12, vcc, v12, v17, vcc
	v_mul_lo_u32 v13, s0, v12
	v_mul_hi_u32 v17, s0, v3
	v_add_u32_e32 v13, v17, v13
	v_mul_lo_u32 v17, s1, v3
	v_add_u32_e32 v13, v13, v17
	v_mul_lo_u32 v18, s0, v3
	v_mul_hi_u32 v19, v12, v18
	v_mul_lo_u32 v20, v12, v18
	v_mul_lo_u32 v22, v3, v13
	v_mul_hi_u32 v18, v3, v18
	v_mul_hi_u32 v21, v3, v13
	v_add_co_u32_e32 v18, vcc, v18, v22
	v_addc_co_u32_e32 v21, vcc, 0, v21, vcc
	v_add_co_u32_e32 v18, vcc, v18, v20
	v_mul_hi_u32 v17, v12, v13
	v_addc_co_u32_e32 v18, vcc, v21, v19, vcc
	v_addc_co_u32_e32 v17, vcc, 0, v17, vcc
	v_mul_lo_u32 v13, v12, v13
	v_add_co_u32_e32 v13, vcc, v18, v13
	v_addc_co_u32_e32 v17, vcc, 0, v17, vcc
	v_add_co_u32_e32 v3, vcc, v3, v13
	v_addc_co_u32_e32 v17, vcc, v12, v17, vcc
	v_ashrrev_i32_e32 v20, 31, v11
	v_add_co_u32_e32 v12, vcc, v10, v20
	v_addc_co_u32_e32 v13, vcc, v11, v20, vcc
	v_xor_b32_e32 v22, v12, v20
	v_xor_b32_e32 v21, v13, v20
	v_mad_u64_u32 v[12:13], s[0:1], v22, v17, 0
	v_mul_hi_u32 v18, v22, v3
	v_add_co_u32_e32 v23, vcc, v18, v12
	v_addc_co_u32_e32 v24, vcc, 0, v13, vcc
	v_mad_u64_u32 v[18:19], s[0:1], v21, v3, 0
	v_add_co_u32_e32 v3, vcc, v23, v18
	v_mad_u64_u32 v[12:13], s[0:1], v21, v17, 0
	v_addc_co_u32_e32 v3, vcc, v24, v19, vcc
	v_addc_co_u32_e32 v13, vcc, 0, v13, vcc
	v_add_co_u32_e32 v3, vcc, v3, v12
	v_addc_co_u32_e32 v17, vcc, 0, v13, vcc
	v_mul_lo_u32 v18, s49, v3
	v_mul_lo_u32 v19, s48, v17
	v_mad_u64_u32 v[12:13], s[0:1], s48, v3, 0
	v_add3_u32 v13, v13, v19, v18
	v_sub_u32_e32 v18, v21, v13
	v_mov_b32_e32 v19, s49
	v_sub_co_u32_e32 v12, vcc, v22, v12
	v_subb_co_u32_e64 v18, s[0:1], v18, v19, vcc
	v_subrev_co_u32_e64 v19, s[0:1], s48, v12
	v_subbrev_co_u32_e64 v18, s[0:1], 0, v18, s[0:1]
	v_cmp_le_u32_e64 s[0:1], s49, v18
	v_cndmask_b32_e64 v22, 0, -1, s[0:1]
	v_cmp_le_u32_e64 s[0:1], s48, v19
	v_cndmask_b32_e64 v19, 0, -1, s[0:1]
	v_cmp_eq_u32_e64 s[0:1], s49, v18
	v_cndmask_b32_e64 v18, v22, v19, s[0:1]
	v_add_co_u32_e64 v19, s[0:1], 2, v3
	v_subb_co_u32_e32 v13, vcc, v21, v13, vcc
	v_addc_co_u32_e64 v22, s[0:1], 0, v17, s[0:1]
	v_cmp_le_u32_e32 vcc, s49, v13
	v_add_co_u32_e64 v23, s[0:1], 1, v3
	v_cndmask_b32_e64 v21, 0, -1, vcc
	v_cmp_le_u32_e32 vcc, s48, v12
	v_addc_co_u32_e64 v24, s[0:1], 0, v17, s[0:1]
	v_cndmask_b32_e64 v12, 0, -1, vcc
	v_cmp_eq_u32_e32 vcc, s49, v13
	v_cmp_ne_u32_e64 s[0:1], 0, v18
	v_cndmask_b32_e32 v12, v21, v12, vcc
	v_cmp_ne_u32_e32 vcc, 0, v12
	v_cndmask_b32_e64 v13, v23, v19, s[0:1]
	v_cndmask_b32_e64 v18, v24, v22, s[0:1]
	v_cndmask_b32_e32 v3, v3, v13, vcc
	v_xor_b32_e32 v13, s46, v20
	v_cndmask_b32_e32 v12, v17, v18, vcc
	v_xor_b32_e32 v3, v3, v13
	v_xor_b32_e32 v17, v12, v13
	v_sub_co_u32_e32 v12, vcc, v3, v13
	v_subb_co_u32_e32 v13, vcc, v17, v13, vcc
.LBB23_24:                              ;   in Loop: Header=BB23_22 Depth=2
	s_andn2_saveexec_b64 s[0:1], s[44:45]
	s_cbranch_execz .LBB23_21
; %bb.25:                               ;   in Loop: Header=BB23_22 Depth=2
	v_cvt_f32_u32_e32 v3, s42
	s_sub_i32 s44, 0, s42
	v_rcp_iflag_f32_e32 v3, v3
	v_mul_f32_e32 v3, 0x4f7ffffe, v3
	v_cvt_u32_f32_e32 v3, v3
	v_mul_lo_u32 v12, s44, v3
	v_mul_hi_u32 v12, v3, v12
	v_add_u32_e32 v3, v3, v12
	v_mul_hi_u32 v3, v10, v3
	v_mul_lo_u32 v12, v3, s42
	v_sub_u32_e32 v12, v10, v12
	v_add_u32_e32 v13, 1, v3
	v_subrev_u32_e32 v17, s42, v12
	v_cmp_le_u32_e32 vcc, s42, v12
	v_cndmask_b32_e32 v12, v12, v17, vcc
	v_cndmask_b32_e32 v3, v3, v13, vcc
	v_add_u32_e32 v13, 1, v3
	v_cmp_le_u32_e32 vcc, s42, v12
	v_cndmask_b32_e32 v12, v3, v13, vcc
	v_mov_b32_e32 v13, v2
	s_branch .LBB23_21
.LBB23_26:
	s_endpgm
	.section	.rodata,"a",@progbits
	.p2align	6, 0x0
	.amdhsa_kernel _ZN2at6native16triu_tril_kernelIdlLb0ELi2ELb0EEEvNS_4cuda6detail10TensorInfoIT_T0_EENS4_IKS5_S6_EEllS6_
		.amdhsa_group_segment_fixed_size 0
		.amdhsa_private_segment_fixed_size 0
		.amdhsa_kernarg_size 1112
		.amdhsa_user_sgpr_count 6
		.amdhsa_user_sgpr_private_segment_buffer 1
		.amdhsa_user_sgpr_dispatch_ptr 0
		.amdhsa_user_sgpr_queue_ptr 0
		.amdhsa_user_sgpr_kernarg_segment_ptr 1
		.amdhsa_user_sgpr_dispatch_id 0
		.amdhsa_user_sgpr_flat_scratch_init 0
		.amdhsa_user_sgpr_kernarg_preload_length 0
		.amdhsa_user_sgpr_kernarg_preload_offset 0
		.amdhsa_user_sgpr_private_segment_size 0
		.amdhsa_uses_dynamic_stack 0
		.amdhsa_system_sgpr_private_segment_wavefront_offset 0
		.amdhsa_system_sgpr_workgroup_id_x 1
		.amdhsa_system_sgpr_workgroup_id_y 0
		.amdhsa_system_sgpr_workgroup_id_z 0
		.amdhsa_system_sgpr_workgroup_info 0
		.amdhsa_system_vgpr_workitem_id 0
		.amdhsa_next_free_vgpr 25
		.amdhsa_next_free_sgpr 51
		.amdhsa_accum_offset 28
		.amdhsa_reserve_vcc 1
		.amdhsa_reserve_flat_scratch 0
		.amdhsa_float_round_mode_32 0
		.amdhsa_float_round_mode_16_64 0
		.amdhsa_float_denorm_mode_32 3
		.amdhsa_float_denorm_mode_16_64 3
		.amdhsa_dx10_clamp 1
		.amdhsa_ieee_mode 1
		.amdhsa_fp16_overflow 0
		.amdhsa_tg_split 0
		.amdhsa_exception_fp_ieee_invalid_op 0
		.amdhsa_exception_fp_denorm_src 0
		.amdhsa_exception_fp_ieee_div_zero 0
		.amdhsa_exception_fp_ieee_overflow 0
		.amdhsa_exception_fp_ieee_underflow 0
		.amdhsa_exception_fp_ieee_inexact 0
		.amdhsa_exception_int_div_zero 0
	.end_amdhsa_kernel
	.section	.text._ZN2at6native16triu_tril_kernelIdlLb0ELi2ELb0EEEvNS_4cuda6detail10TensorInfoIT_T0_EENS4_IKS5_S6_EEllS6_,"axG",@progbits,_ZN2at6native16triu_tril_kernelIdlLb0ELi2ELb0EEEvNS_4cuda6detail10TensorInfoIT_T0_EENS4_IKS5_S6_EEllS6_,comdat
.Lfunc_end23:
	.size	_ZN2at6native16triu_tril_kernelIdlLb0ELi2ELb0EEEvNS_4cuda6detail10TensorInfoIT_T0_EENS4_IKS5_S6_EEllS6_, .Lfunc_end23-_ZN2at6native16triu_tril_kernelIdlLb0ELi2ELb0EEEvNS_4cuda6detail10TensorInfoIT_T0_EENS4_IKS5_S6_EEllS6_
                                        ; -- End function
	.section	.AMDGPU.csdata,"",@progbits
; Kernel info:
; codeLenInByte = 3420
; NumSgprs: 55
; NumVgprs: 25
; NumAgprs: 0
; TotalNumVgprs: 25
; ScratchSize: 0
; MemoryBound: 0
; FloatMode: 240
; IeeeMode: 1
; LDSByteSize: 0 bytes/workgroup (compile time only)
; SGPRBlocks: 6
; VGPRBlocks: 3
; NumSGPRsForWavesPerEU: 55
; NumVGPRsForWavesPerEU: 25
; AccumOffset: 28
; Occupancy: 8
; WaveLimiterHint : 0
; COMPUTE_PGM_RSRC2:SCRATCH_EN: 0
; COMPUTE_PGM_RSRC2:USER_SGPR: 6
; COMPUTE_PGM_RSRC2:TRAP_HANDLER: 0
; COMPUTE_PGM_RSRC2:TGID_X_EN: 1
; COMPUTE_PGM_RSRC2:TGID_Y_EN: 0
; COMPUTE_PGM_RSRC2:TGID_Z_EN: 0
; COMPUTE_PGM_RSRC2:TIDIG_COMP_CNT: 0
; COMPUTE_PGM_RSRC3_GFX90A:ACCUM_OFFSET: 6
; COMPUTE_PGM_RSRC3_GFX90A:TG_SPLIT: 0
	.section	.text._ZN2at6native16triu_tril_kernelIfiLb0ELi2ELb1EEEvNS_4cuda6detail10TensorInfoIT_T0_EENS4_IKS5_S6_EEllS6_,"axG",@progbits,_ZN2at6native16triu_tril_kernelIfiLb0ELi2ELb1EEEvNS_4cuda6detail10TensorInfoIT_T0_EENS4_IKS5_S6_EEllS6_,comdat
	.protected	_ZN2at6native16triu_tril_kernelIfiLb0ELi2ELb1EEEvNS_4cuda6detail10TensorInfoIT_T0_EENS4_IKS5_S6_EEllS6_ ; -- Begin function _ZN2at6native16triu_tril_kernelIfiLb0ELi2ELb1EEEvNS_4cuda6detail10TensorInfoIT_T0_EENS4_IKS5_S6_EEllS6_
	.globl	_ZN2at6native16triu_tril_kernelIfiLb0ELi2ELb1EEEvNS_4cuda6detail10TensorInfoIT_T0_EENS4_IKS5_S6_EEllS6_
	.p2align	8
	.type	_ZN2at6native16triu_tril_kernelIfiLb0ELi2ELb1EEEvNS_4cuda6detail10TensorInfoIT_T0_EENS4_IKS5_S6_EEllS6_,@function
_ZN2at6native16triu_tril_kernelIfiLb0ELi2ELb1EEEvNS_4cuda6detail10TensorInfoIT_T0_EENS4_IKS5_S6_EEllS6_: ; @_ZN2at6native16triu_tril_kernelIfiLb0ELi2ELb1EEEvNS_4cuda6detail10TensorInfoIT_T0_EENS4_IKS5_S6_EEllS6_
; %bb.0:
	s_load_dword s2, s[4:5], 0x1d4
	s_load_dwordx4 s[8:11], s[4:5], 0x1b0
	s_add_u32 s0, s4, 0x1c8
	v_mov_b32_e32 v2, 0
	s_addc_u32 s1, s5, 0
	s_waitcnt lgkmcnt(0)
	s_and_b32 s7, s2, 0xffff
	v_mov_b32_e32 v1, v2
	v_mov_b32_e32 v3, s6
	v_mad_u64_u32 v[0:1], s[2:3], s7, v3, v[0:1]
	v_lshlrev_b64 v[0:1], 1, v[0:1]
	v_cmp_gt_i64_e32 vcc, s[10:11], v[0:1]
	s_and_saveexec_b64 s[2:3], vcc
	s_cbranch_execz .LBB24_63
; %bb.1:
	s_load_dword s33, s[4:5], 0x1c0
	s_load_dword s14, s[4:5], 0x1a8
	;; [unrolled: 1-line block ×3, first 2 shown]
	s_load_dwordx2 s[2:3], s[4:5], 0x0
	s_mov_b64 s[22:23], 0
	s_waitcnt lgkmcnt(0)
	s_ashr_i32 s38, s33, 31
	s_ashr_i32 s15, s14, 31
	s_add_u32 s39, s4, 0xe0
	s_addc_u32 s40, s5, 0
	s_add_i32 s0, s14, -2
	s_ashr_i32 s1, s0, 31
	s_lshl_b64 s[12:13], s[0:1], 2
	s_add_u32 s16, s39, s12
	s_addc_u32 s17, s40, s13
	s_load_dword s41, s[16:17], 0x0
	s_lshl_b64 s[16:17], s[14:15], 2
	s_mul_i32 s1, s6, s7
	v_cmp_gt_i64_e64 s[6:7], s[14:15], 2
	v_cvt_f32_u32_e32 v3, s33
	s_waitcnt lgkmcnt(0)
	s_ashr_i32 s42, s41, 31
	s_add_u32 s15, s16, -4
	s_addc_u32 s16, s17, -1
	s_add_u32 s43, s4, 0x6c
	s_addc_u32 s44, s5, 0
	s_add_u32 s4, s43, s15
	v_rcp_iflag_f32_e32 v3, v3
	s_addc_u32 s5, s44, s16
	s_add_u32 s12, s43, s12
	s_addc_u32 s13, s44, s13
	s_add_i32 s45, s14, -3
	s_add_u32 s14, s39, s15
	v_mul_f32_e32 v3, 0x4f7ffffe, v3
	s_addc_u32 s15, s40, s16
	s_lshl_b32 s46, s1, 1
	s_and_b32 s48, s0, 7
	v_cvt_u32_f32_e32 v26, v3
	s_cmp_lg_u32 s48, 0
	s_mov_b32 s17, 0
	s_cselect_b64 s[18:19], -1, 0
	s_cmp_gt_u32 s45, 6
	s_mov_b32 s47, s17
	s_cselect_b64 s[20:21], -1, 0
	s_branch .LBB24_3
.LBB24_2:                               ;   in Loop: Header=BB24_3 Depth=1
	s_or_b64 exec, exec, s[24:25]
	v_mov_b32_e32 v3, s47
	v_add_co_u32_e32 v0, vcc, s46, v0
	v_addc_co_u32_e32 v1, vcc, v1, v3, vcc
	v_cmp_le_i64_e32 vcc, s[10:11], v[0:1]
	s_or_b64 s[22:23], vcc, s[22:23]
	s_andn2_b64 exec, exec, s[22:23]
	s_cbranch_execz .LBB24_63
.LBB24_3:                               ; =>This Loop Header: Depth=1
                                        ;     Child Loop BB24_16 Depth 2
                                        ;     Child Loop BB24_23 Depth 2
	v_or_b32_e32 v3, s38, v1
	v_cmp_ne_u64_e32 vcc, 0, v[2:3]
                                        ; implicit-def: $vgpr4_vgpr5
	s_and_saveexec_b64 s[0:1], vcc
	s_xor_b64 s[24:25], exec, s[0:1]
	s_cbranch_execz .LBB24_5
; %bb.4:                                ;   in Loop: Header=BB24_3 Depth=1
	s_add_u32 s0, s33, s38
	s_mov_b32 s26, s38
	s_mov_b32 s27, s38
	s_addc_u32 s1, s38, s38
	s_xor_b64 s[28:29], s[0:1], s[26:27]
	v_cvt_f32_u32_e32 v3, s28
	v_cvt_f32_u32_e32 v4, s29
	s_sub_u32 s0, 0, s28
	s_subb_u32 s1, 0, s29
	v_mac_f32_e32 v3, 0x4f800000, v4
	v_rcp_f32_e32 v3, v3
	v_mul_f32_e32 v3, 0x5f7ffffc, v3
	v_mul_f32_e32 v4, 0x2f800000, v3
	v_trunc_f32_e32 v4, v4
	v_mac_f32_e32 v3, 0xcf800000, v4
	v_cvt_u32_f32_e32 v4, v4
	v_cvt_u32_f32_e32 v3, v3
	v_mul_lo_u32 v5, s0, v4
	v_mul_hi_u32 v7, s0, v3
	v_mul_lo_u32 v6, s1, v3
	v_add_u32_e32 v5, v7, v5
	v_mul_lo_u32 v8, s0, v3
	v_add_u32_e32 v5, v5, v6
	v_mul_lo_u32 v7, v3, v5
	v_mul_hi_u32 v9, v3, v8
	v_mul_hi_u32 v6, v3, v5
	v_add_co_u32_e32 v7, vcc, v9, v7
	v_addc_co_u32_e32 v6, vcc, 0, v6, vcc
	v_mul_hi_u32 v10, v4, v8
	v_mul_lo_u32 v8, v4, v8
	v_add_co_u32_e32 v7, vcc, v7, v8
	v_mul_hi_u32 v9, v4, v5
	v_addc_co_u32_e32 v6, vcc, v6, v10, vcc
	v_addc_co_u32_e32 v7, vcc, 0, v9, vcc
	v_mul_lo_u32 v5, v4, v5
	v_add_co_u32_e32 v5, vcc, v6, v5
	v_addc_co_u32_e32 v6, vcc, 0, v7, vcc
	v_add_co_u32_e32 v3, vcc, v3, v5
	v_addc_co_u32_e32 v4, vcc, v4, v6, vcc
	v_mul_lo_u32 v5, s0, v4
	v_mul_hi_u32 v6, s0, v3
	v_add_u32_e32 v5, v6, v5
	v_mul_lo_u32 v6, s1, v3
	v_add_u32_e32 v5, v5, v6
	v_mul_lo_u32 v7, s0, v3
	v_mul_hi_u32 v8, v4, v7
	v_mul_lo_u32 v9, v4, v7
	v_mul_lo_u32 v11, v3, v5
	v_mul_hi_u32 v7, v3, v7
	v_mul_hi_u32 v10, v3, v5
	v_add_co_u32_e32 v7, vcc, v7, v11
	v_addc_co_u32_e32 v10, vcc, 0, v10, vcc
	v_add_co_u32_e32 v7, vcc, v7, v9
	v_mul_hi_u32 v6, v4, v5
	v_addc_co_u32_e32 v7, vcc, v10, v8, vcc
	v_addc_co_u32_e32 v6, vcc, 0, v6, vcc
	v_mul_lo_u32 v5, v4, v5
	v_add_co_u32_e32 v5, vcc, v7, v5
	v_addc_co_u32_e32 v6, vcc, 0, v6, vcc
	v_add_co_u32_e32 v3, vcc, v3, v5
	v_addc_co_u32_e32 v6, vcc, v4, v6, vcc
	v_ashrrev_i32_e32 v8, 31, v1
	v_add_co_u32_e32 v4, vcc, v0, v8
	v_addc_co_u32_e32 v5, vcc, v1, v8, vcc
	v_xor_b32_e32 v10, v4, v8
	v_xor_b32_e32 v9, v5, v8
	v_mad_u64_u32 v[4:5], s[0:1], v10, v6, 0
	v_mul_hi_u32 v7, v10, v3
	v_add_co_u32_e32 v11, vcc, v7, v4
	v_addc_co_u32_e32 v12, vcc, 0, v5, vcc
	v_mad_u64_u32 v[4:5], s[0:1], v9, v6, 0
	v_mad_u64_u32 v[6:7], s[0:1], v9, v3, 0
	v_add_co_u32_e32 v3, vcc, v11, v6
	v_addc_co_u32_e32 v3, vcc, v12, v7, vcc
	v_addc_co_u32_e32 v5, vcc, 0, v5, vcc
	v_add_co_u32_e32 v3, vcc, v3, v4
	v_addc_co_u32_e32 v6, vcc, 0, v5, vcc
	v_mul_lo_u32 v7, s29, v3
	v_mul_lo_u32 v11, s28, v6
	v_mad_u64_u32 v[4:5], s[0:1], s28, v3, 0
	v_add3_u32 v5, v5, v11, v7
	v_sub_u32_e32 v7, v9, v5
	v_mov_b32_e32 v11, s29
	v_sub_co_u32_e32 v4, vcc, v10, v4
	v_subb_co_u32_e64 v7, s[0:1], v7, v11, vcc
	v_subrev_co_u32_e64 v10, s[0:1], s28, v4
	v_subbrev_co_u32_e64 v7, s[0:1], 0, v7, s[0:1]
	v_cmp_le_u32_e64 s[0:1], s29, v7
	v_cndmask_b32_e64 v11, 0, -1, s[0:1]
	v_cmp_le_u32_e64 s[0:1], s28, v10
	v_cndmask_b32_e64 v10, 0, -1, s[0:1]
	v_cmp_eq_u32_e64 s[0:1], s29, v7
	v_cndmask_b32_e64 v7, v11, v10, s[0:1]
	v_add_co_u32_e64 v10, s[0:1], 2, v3
	v_subb_co_u32_e32 v5, vcc, v9, v5, vcc
	v_addc_co_u32_e64 v11, s[0:1], 0, v6, s[0:1]
	v_cmp_le_u32_e32 vcc, s29, v5
	v_add_co_u32_e64 v12, s[0:1], 1, v3
	v_cndmask_b32_e64 v9, 0, -1, vcc
	v_cmp_le_u32_e32 vcc, s28, v4
	v_addc_co_u32_e64 v13, s[0:1], 0, v6, s[0:1]
	v_cndmask_b32_e64 v4, 0, -1, vcc
	v_cmp_eq_u32_e32 vcc, s29, v5
	v_cmp_ne_u32_e64 s[0:1], 0, v7
	v_cndmask_b32_e32 v4, v9, v4, vcc
	v_cndmask_b32_e64 v7, v13, v11, s[0:1]
	v_cmp_ne_u32_e32 vcc, 0, v4
	v_cndmask_b32_e64 v5, v12, v10, s[0:1]
	v_cndmask_b32_e32 v4, v6, v7, vcc
	v_cndmask_b32_e32 v3, v3, v5, vcc
	v_xor_b32_e32 v6, s26, v8
	v_xor_b32_e32 v5, s27, v8
	;; [unrolled: 1-line block ×4, first 2 shown]
	v_sub_co_u32_e32 v4, vcc, v3, v6
	v_subb_co_u32_e32 v5, vcc, v7, v5, vcc
.LBB24_5:                               ;   in Loop: Header=BB24_3 Depth=1
	s_andn2_saveexec_b64 s[0:1], s[24:25]
	s_cbranch_execz .LBB24_7
; %bb.6:                                ;   in Loop: Header=BB24_3 Depth=1
	s_sub_i32 s16, 0, s33
	v_mul_lo_u32 v3, s16, v26
	v_mul_hi_u32 v3, v26, v3
	v_add_u32_e32 v3, v26, v3
	v_mul_hi_u32 v3, v0, v3
	v_mul_lo_u32 v4, v3, s33
	v_sub_u32_e32 v4, v0, v4
	v_subrev_u32_e32 v5, s33, v4
	v_cmp_le_u32_e32 vcc, s33, v4
	v_cndmask_b32_e32 v4, v4, v5, vcc
	v_add_u32_e32 v5, 1, v3
	v_cndmask_b32_e32 v3, v3, v5, vcc
	v_add_u32_e32 v5, 1, v3
	v_cmp_le_u32_e32 vcc, s33, v4
	v_cndmask_b32_e32 v4, v3, v5, vcc
	v_mov_b32_e32 v5, v2
.LBB24_7:                               ;   in Loop: Header=BB24_3 Depth=1
	s_or_b64 exec, exec, s[0:1]
	v_or_b32_e32 v3, s42, v5
	v_cmp_ne_u64_e32 vcc, 0, v[2:3]
                                        ; implicit-def: $vgpr8_vgpr9
	s_and_saveexec_b64 s[0:1], vcc
	s_xor_b64 s[24:25], exec, s[0:1]
	s_cbranch_execz .LBB24_9
; %bb.8:                                ;   in Loop: Header=BB24_3 Depth=1
	s_add_u32 s0, s41, s42
	s_mov_b32 s26, s42
	s_mov_b32 s27, s42
	s_addc_u32 s1, s42, s42
	s_xor_b64 s[28:29], s[0:1], s[26:27]
	v_cvt_f32_u32_e32 v3, s28
	v_cvt_f32_u32_e32 v6, s29
	s_sub_u32 s0, 0, s28
	s_subb_u32 s1, 0, s29
	v_mac_f32_e32 v3, 0x4f800000, v6
	v_rcp_f32_e32 v3, v3
	v_mul_f32_e32 v3, 0x5f7ffffc, v3
	v_mul_f32_e32 v6, 0x2f800000, v3
	v_trunc_f32_e32 v6, v6
	v_mac_f32_e32 v3, 0xcf800000, v6
	v_cvt_u32_f32_e32 v6, v6
	v_cvt_u32_f32_e32 v3, v3
	v_mul_lo_u32 v7, s0, v6
	v_mul_hi_u32 v9, s0, v3
	v_mul_lo_u32 v8, s1, v3
	v_add_u32_e32 v7, v9, v7
	v_mul_lo_u32 v10, s0, v3
	v_add_u32_e32 v7, v7, v8
	v_mul_lo_u32 v9, v3, v7
	v_mul_hi_u32 v11, v3, v10
	v_mul_hi_u32 v8, v3, v7
	v_add_co_u32_e32 v9, vcc, v11, v9
	v_addc_co_u32_e32 v8, vcc, 0, v8, vcc
	v_mul_hi_u32 v12, v6, v10
	v_mul_lo_u32 v10, v6, v10
	v_add_co_u32_e32 v9, vcc, v9, v10
	v_mul_hi_u32 v11, v6, v7
	v_addc_co_u32_e32 v8, vcc, v8, v12, vcc
	v_addc_co_u32_e32 v9, vcc, 0, v11, vcc
	v_mul_lo_u32 v7, v6, v7
	v_add_co_u32_e32 v7, vcc, v8, v7
	v_addc_co_u32_e32 v8, vcc, 0, v9, vcc
	v_add_co_u32_e32 v3, vcc, v3, v7
	v_addc_co_u32_e32 v6, vcc, v6, v8, vcc
	v_mul_lo_u32 v7, s0, v6
	v_mul_hi_u32 v8, s0, v3
	v_add_u32_e32 v7, v8, v7
	v_mul_lo_u32 v8, s1, v3
	v_add_u32_e32 v7, v7, v8
	v_mul_lo_u32 v9, s0, v3
	v_mul_hi_u32 v10, v6, v9
	v_mul_lo_u32 v11, v6, v9
	v_mul_lo_u32 v13, v3, v7
	v_mul_hi_u32 v9, v3, v9
	v_mul_hi_u32 v12, v3, v7
	v_add_co_u32_e32 v9, vcc, v9, v13
	v_addc_co_u32_e32 v12, vcc, 0, v12, vcc
	v_add_co_u32_e32 v9, vcc, v9, v11
	v_mul_hi_u32 v8, v6, v7
	v_addc_co_u32_e32 v9, vcc, v12, v10, vcc
	v_addc_co_u32_e32 v8, vcc, 0, v8, vcc
	v_mul_lo_u32 v7, v6, v7
	v_add_co_u32_e32 v7, vcc, v9, v7
	v_addc_co_u32_e32 v8, vcc, 0, v8, vcc
	v_add_co_u32_e32 v3, vcc, v3, v7
	v_addc_co_u32_e32 v8, vcc, v6, v8, vcc
	v_ashrrev_i32_e32 v10, 31, v5
	v_add_co_u32_e32 v6, vcc, v4, v10
	v_xor_b32_e32 v11, v6, v10
	v_addc_co_u32_e32 v5, vcc, v5, v10, vcc
	v_mad_u64_u32 v[6:7], s[0:1], v11, v8, 0
	v_mul_hi_u32 v9, v11, v3
	v_xor_b32_e32 v5, v5, v10
	v_add_co_u32_e32 v12, vcc, v9, v6
	v_addc_co_u32_e32 v13, vcc, 0, v7, vcc
	v_mad_u64_u32 v[6:7], s[0:1], v5, v8, 0
	v_mad_u64_u32 v[8:9], s[0:1], v5, v3, 0
	v_add_co_u32_e32 v3, vcc, v12, v8
	v_addc_co_u32_e32 v3, vcc, v13, v9, vcc
	v_addc_co_u32_e32 v7, vcc, 0, v7, vcc
	v_add_co_u32_e32 v3, vcc, v3, v6
	v_addc_co_u32_e32 v8, vcc, 0, v7, vcc
	v_mul_lo_u32 v9, s29, v3
	v_mul_lo_u32 v12, s28, v8
	v_mad_u64_u32 v[6:7], s[0:1], s28, v3, 0
	v_add3_u32 v7, v7, v12, v9
	v_sub_u32_e32 v9, v5, v7
	v_mov_b32_e32 v12, s29
	v_sub_co_u32_e32 v6, vcc, v11, v6
	v_subb_co_u32_e64 v9, s[0:1], v9, v12, vcc
	v_subrev_co_u32_e64 v11, s[0:1], s28, v6
	v_subbrev_co_u32_e64 v9, s[0:1], 0, v9, s[0:1]
	v_cmp_le_u32_e64 s[0:1], s29, v9
	v_cndmask_b32_e64 v12, 0, -1, s[0:1]
	v_cmp_le_u32_e64 s[0:1], s28, v11
	v_cndmask_b32_e64 v11, 0, -1, s[0:1]
	v_cmp_eq_u32_e64 s[0:1], s29, v9
	v_cndmask_b32_e64 v9, v12, v11, s[0:1]
	v_add_co_u32_e64 v11, s[0:1], 2, v3
	v_subb_co_u32_e32 v5, vcc, v5, v7, vcc
	v_addc_co_u32_e64 v12, s[0:1], 0, v8, s[0:1]
	v_cmp_le_u32_e32 vcc, s29, v5
	v_add_co_u32_e64 v13, s[0:1], 1, v3
	v_cndmask_b32_e64 v7, 0, -1, vcc
	v_cmp_le_u32_e32 vcc, s28, v6
	v_addc_co_u32_e64 v14, s[0:1], 0, v8, s[0:1]
	v_cndmask_b32_e64 v6, 0, -1, vcc
	v_cmp_eq_u32_e32 vcc, s29, v5
	v_cmp_ne_u32_e64 s[0:1], 0, v9
	v_cndmask_b32_e32 v5, v7, v6, vcc
	v_cmp_ne_u32_e32 vcc, 0, v5
	v_cndmask_b32_e64 v6, v13, v11, s[0:1]
	v_cndmask_b32_e64 v9, v14, v12, s[0:1]
	v_cndmask_b32_e32 v3, v3, v6, vcc
	v_xor_b32_e32 v7, s26, v10
	v_cndmask_b32_e32 v5, v8, v9, vcc
	v_xor_b32_e32 v6, s27, v10
	v_xor_b32_e32 v3, v3, v7
	;; [unrolled: 1-line block ×3, first 2 shown]
	v_sub_co_u32_e32 v8, vcc, v3, v7
	v_subb_co_u32_e32 v9, vcc, v5, v6, vcc
.LBB24_9:                               ;   in Loop: Header=BB24_3 Depth=1
	s_andn2_saveexec_b64 s[0:1], s[24:25]
	s_cbranch_execz .LBB24_11
; %bb.10:                               ;   in Loop: Header=BB24_3 Depth=1
	v_cvt_f32_u32_e32 v3, s41
	s_sub_i32 s16, 0, s41
	v_mov_b32_e32 v9, v2
	v_rcp_iflag_f32_e32 v3, v3
	v_mul_f32_e32 v3, 0x4f7ffffe, v3
	v_cvt_u32_f32_e32 v3, v3
	v_mul_lo_u32 v5, s16, v3
	v_mul_hi_u32 v5, v3, v5
	v_add_u32_e32 v3, v3, v5
	v_mul_hi_u32 v3, v4, v3
	v_mul_lo_u32 v5, v3, s41
	v_sub_u32_e32 v5, v4, v5
	v_add_u32_e32 v6, 1, v3
	v_subrev_u32_e32 v7, s41, v5
	v_cmp_le_u32_e32 vcc, s41, v5
	v_cndmask_b32_e32 v5, v5, v7, vcc
	v_cndmask_b32_e32 v3, v3, v6, vcc
	v_add_u32_e32 v6, 1, v3
	v_cmp_le_u32_e32 vcc, s41, v5
	v_cndmask_b32_e32 v8, v3, v6, vcc
.LBB24_11:                              ;   in Loop: Header=BB24_3 Depth=1
	s_or_b64 exec, exec, s[0:1]
	v_mad_u64_u32 v[6:7], s[0:1], v4, s33, 0
	v_sub_co_u32_e32 v28, vcc, v0, v6
	v_mad_u64_u32 v[6:7], s[0:1], v8, s41, 0
	v_sub_co_u32_e32 v27, vcc, v4, v6
	v_sub_u32_e32 v4, v28, v27
	v_add_u32_e32 v6, 2, v4
	v_ashrrev_i32_e32 v7, 31, v6
	v_cmp_lt_i64_e32 vcc, s[8:9], v[6:7]
	s_and_saveexec_b64 s[24:25], vcc
	s_cbranch_execz .LBB24_2
; %bb.12:                               ;   in Loop: Header=BB24_3 Depth=1
	s_load_dword s49, s[4:5], 0x0
	s_load_dword s0, s[12:13], 0x0
	s_andn2_b64 vcc, exec, s[6:7]
	s_waitcnt lgkmcnt(0)
	v_mul_lo_u32 v6, s49, v28
	v_mad_u64_u32 v[6:7], s[0:1], s0, v27, v[6:7]
	s_cbranch_vccnz .LBB24_57
; %bb.13:                               ;   in Loop: Header=BB24_3 Depth=1
	s_andn2_b64 vcc, exec, s[18:19]
	s_cbranch_vccnz .LBB24_20
; %bb.14:                               ;   in Loop: Header=BB24_3 Depth=1
	s_mov_b32 s36, s48
	s_mov_b32 s16, s45
	s_branch .LBB24_16
.LBB24_15:                              ;   in Loop: Header=BB24_16 Depth=2
	s_or_b64 exec, exec, s[0:1]
	s_add_u32 s0, s43, s26
	s_addc_u32 s1, s44, s27
	s_load_dword s0, s[0:1], 0x0
	v_mul_lo_u32 v3, v8, s37
	v_sub_u32_e32 v3, v10, v3
	s_add_i32 s16, s16, -1
	s_add_i32 s36, s36, -1
	s_cmp_lg_u32 s36, 0
	s_waitcnt lgkmcnt(0)
	v_mad_u64_u32 v[6:7], s[0:1], s0, v3, v[6:7]
	s_cbranch_scc0 .LBB24_21
.LBB24_16:                              ;   Parent Loop BB24_3 Depth=1
                                        ; =>  This Inner Loop Header: Depth=2
	s_lshl_b64 s[26:27], s[16:17], 2
	s_add_u32 s0, s39, s26
	s_addc_u32 s1, s40, s27
	s_load_dword s37, s[0:1], 0x0
	v_pk_mov_b32 v[10:11], v[8:9], v[8:9] op_sel:[0,1]
                                        ; implicit-def: $vgpr8_vgpr9
	s_waitcnt lgkmcnt(0)
	s_ashr_i32 s0, s37, 31
	v_or_b32_e32 v3, s0, v11
	v_cmp_ne_u64_e32 vcc, 0, v[2:3]
	s_and_saveexec_b64 s[28:29], vcc
	s_xor_b64 s[28:29], exec, s[28:29]
	s_cbranch_execz .LBB24_18
; %bb.17:                               ;   in Loop: Header=BB24_16 Depth=2
	s_add_u32 s34, s37, s0
	s_mov_b32 s30, s0
	s_mov_b32 s31, s0
	s_addc_u32 s35, s0, s0
	s_xor_b64 s[34:35], s[34:35], s[30:31]
	v_cvt_f32_u32_e32 v3, s34
	v_cvt_f32_u32_e32 v5, s35
	s_sub_u32 s0, 0, s34
	s_subb_u32 s1, 0, s35
	v_mac_f32_e32 v3, 0x4f800000, v5
	v_rcp_f32_e32 v3, v3
	v_mul_f32_e32 v3, 0x5f7ffffc, v3
	v_mul_f32_e32 v5, 0x2f800000, v3
	v_trunc_f32_e32 v5, v5
	v_mac_f32_e32 v3, 0xcf800000, v5
	v_cvt_u32_f32_e32 v5, v5
	v_cvt_u32_f32_e32 v3, v3
	v_mul_lo_u32 v7, s0, v5
	v_mul_hi_u32 v9, s0, v3
	v_mul_lo_u32 v8, s1, v3
	v_add_u32_e32 v7, v9, v7
	v_mul_lo_u32 v12, s0, v3
	v_add_u32_e32 v7, v7, v8
	v_mul_lo_u32 v9, v3, v7
	v_mul_hi_u32 v13, v3, v12
	v_mul_hi_u32 v8, v3, v7
	v_add_co_u32_e32 v9, vcc, v13, v9
	v_addc_co_u32_e32 v8, vcc, 0, v8, vcc
	v_mul_hi_u32 v14, v5, v12
	v_mul_lo_u32 v12, v5, v12
	v_add_co_u32_e32 v9, vcc, v9, v12
	v_mul_hi_u32 v13, v5, v7
	v_addc_co_u32_e32 v8, vcc, v8, v14, vcc
	v_addc_co_u32_e32 v9, vcc, 0, v13, vcc
	v_mul_lo_u32 v7, v5, v7
	v_add_co_u32_e32 v7, vcc, v8, v7
	v_addc_co_u32_e32 v8, vcc, 0, v9, vcc
	v_add_co_u32_e32 v3, vcc, v3, v7
	v_addc_co_u32_e32 v5, vcc, v5, v8, vcc
	v_mul_lo_u32 v7, s0, v5
	v_mul_hi_u32 v8, s0, v3
	v_add_u32_e32 v7, v8, v7
	v_mul_lo_u32 v8, s1, v3
	v_add_u32_e32 v7, v7, v8
	v_mul_lo_u32 v9, s0, v3
	v_mul_hi_u32 v12, v5, v9
	v_mul_lo_u32 v13, v5, v9
	v_mul_lo_u32 v15, v3, v7
	v_mul_hi_u32 v9, v3, v9
	v_mul_hi_u32 v14, v3, v7
	v_add_co_u32_e32 v9, vcc, v9, v15
	v_addc_co_u32_e32 v14, vcc, 0, v14, vcc
	v_add_co_u32_e32 v9, vcc, v9, v13
	v_mul_hi_u32 v8, v5, v7
	v_addc_co_u32_e32 v9, vcc, v14, v12, vcc
	v_addc_co_u32_e32 v8, vcc, 0, v8, vcc
	v_mul_lo_u32 v7, v5, v7
	v_add_co_u32_e32 v7, vcc, v9, v7
	v_addc_co_u32_e32 v8, vcc, 0, v8, vcc
	v_add_co_u32_e32 v3, vcc, v3, v7
	v_addc_co_u32_e32 v5, vcc, v5, v8, vcc
	v_ashrrev_i32_e32 v7, 31, v11
	v_add_co_u32_e32 v8, vcc, v10, v7
	v_addc_co_u32_e32 v9, vcc, v11, v7, vcc
	v_xor_b32_e32 v14, v8, v7
	v_xor_b32_e32 v11, v9, v7
	v_mad_u64_u32 v[8:9], s[0:1], v14, v5, 0
	v_mul_hi_u32 v12, v14, v3
	v_add_co_u32_e32 v15, vcc, v12, v8
	v_addc_co_u32_e32 v16, vcc, 0, v9, vcc
	v_mad_u64_u32 v[12:13], s[0:1], v11, v3, 0
	v_add_co_u32_e32 v3, vcc, v15, v12
	v_mad_u64_u32 v[8:9], s[0:1], v11, v5, 0
	v_addc_co_u32_e32 v3, vcc, v16, v13, vcc
	v_addc_co_u32_e32 v5, vcc, 0, v9, vcc
	v_add_co_u32_e32 v3, vcc, v3, v8
	v_addc_co_u32_e32 v5, vcc, 0, v5, vcc
	v_mul_lo_u32 v12, s35, v3
	v_mul_lo_u32 v13, s34, v5
	v_mad_u64_u32 v[8:9], s[0:1], s34, v3, 0
	v_add3_u32 v9, v9, v13, v12
	v_sub_u32_e32 v12, v11, v9
	v_mov_b32_e32 v13, s35
	v_sub_co_u32_e32 v8, vcc, v14, v8
	v_subb_co_u32_e64 v12, s[0:1], v12, v13, vcc
	v_subrev_co_u32_e64 v13, s[0:1], s34, v8
	v_subbrev_co_u32_e64 v12, s[0:1], 0, v12, s[0:1]
	v_cmp_le_u32_e64 s[0:1], s35, v12
	v_cndmask_b32_e64 v14, 0, -1, s[0:1]
	v_cmp_le_u32_e64 s[0:1], s34, v13
	v_cndmask_b32_e64 v13, 0, -1, s[0:1]
	v_cmp_eq_u32_e64 s[0:1], s35, v12
	v_cndmask_b32_e64 v12, v14, v13, s[0:1]
	v_add_co_u32_e64 v13, s[0:1], 2, v3
	v_subb_co_u32_e32 v9, vcc, v11, v9, vcc
	v_addc_co_u32_e64 v14, s[0:1], 0, v5, s[0:1]
	v_cmp_le_u32_e32 vcc, s35, v9
	v_add_co_u32_e64 v15, s[0:1], 1, v3
	v_cndmask_b32_e64 v11, 0, -1, vcc
	v_cmp_le_u32_e32 vcc, s34, v8
	v_addc_co_u32_e64 v16, s[0:1], 0, v5, s[0:1]
	v_cndmask_b32_e64 v8, 0, -1, vcc
	v_cmp_eq_u32_e32 vcc, s35, v9
	v_cmp_ne_u32_e64 s[0:1], 0, v12
	v_cndmask_b32_e32 v8, v11, v8, vcc
	v_cmp_ne_u32_e32 vcc, 0, v8
	v_cndmask_b32_e64 v8, v15, v13, s[0:1]
	v_cndmask_b32_e64 v12, v16, v14, s[0:1]
	v_cndmask_b32_e32 v3, v3, v8, vcc
	v_xor_b32_e32 v9, s31, v7
	v_xor_b32_e32 v7, s30, v7
	v_cndmask_b32_e32 v5, v5, v12, vcc
	v_xor_b32_e32 v3, v3, v7
	v_xor_b32_e32 v5, v5, v9
	v_sub_co_u32_e32 v8, vcc, v3, v7
	v_subb_co_u32_e32 v9, vcc, v5, v9, vcc
.LBB24_18:                              ;   in Loop: Header=BB24_16 Depth=2
	s_andn2_saveexec_b64 s[0:1], s[28:29]
	s_cbranch_execz .LBB24_15
; %bb.19:                               ;   in Loop: Header=BB24_16 Depth=2
	v_cvt_f32_u32_e32 v3, s37
	s_sub_i32 s28, 0, s37
	v_mov_b32_e32 v9, v2
	v_rcp_iflag_f32_e32 v3, v3
	v_mul_f32_e32 v3, 0x4f7ffffe, v3
	v_cvt_u32_f32_e32 v3, v3
	v_mul_lo_u32 v5, s28, v3
	v_mul_hi_u32 v5, v3, v5
	v_add_u32_e32 v3, v3, v5
	v_mul_hi_u32 v3, v10, v3
	v_mul_lo_u32 v5, v3, s37
	v_sub_u32_e32 v5, v10, v5
	v_add_u32_e32 v7, 1, v3
	v_subrev_u32_e32 v8, s37, v5
	v_cmp_le_u32_e32 vcc, s37, v5
	v_cndmask_b32_e32 v5, v5, v8, vcc
	v_cndmask_b32_e32 v3, v3, v7, vcc
	v_add_u32_e32 v7, 1, v3
	v_cmp_le_u32_e32 vcc, s37, v5
	v_cndmask_b32_e32 v8, v3, v7, vcc
	s_branch .LBB24_15
.LBB24_20:                              ;   in Loop: Header=BB24_3 Depth=1
	s_mov_b32 s16, s45
.LBB24_21:                              ;   in Loop: Header=BB24_3 Depth=1
	s_andn2_b64 vcc, exec, s[20:21]
	s_cbranch_vccnz .LBB24_57
; %bb.22:                               ;   in Loop: Header=BB24_3 Depth=1
	s_add_i32 s26, s16, -7
.LBB24_23:                              ;   Parent Loop BB24_3 Depth=1
                                        ; =>  This Inner Loop Header: Depth=2
	s_add_i32 s16, s26, 7
	s_lshl_b64 s[28:29], s[16:17], 2
	s_add_u32 s0, s39, s28
	s_addc_u32 s1, s40, s29
	s_load_dword s50, s[0:1], 0x0
                                        ; implicit-def: $vgpr10_vgpr11
	s_waitcnt lgkmcnt(0)
	s_ashr_i32 s0, s50, 31
	v_or_b32_e32 v3, s0, v9
	v_cmp_ne_u64_e32 vcc, 0, v[2:3]
	s_and_saveexec_b64 s[30:31], vcc
	s_xor_b64 s[30:31], exec, s[30:31]
	s_cbranch_execz .LBB24_25
; %bb.24:                               ;   in Loop: Header=BB24_23 Depth=2
	s_add_u32 s36, s50, s0
	s_mov_b32 s34, s0
	s_mov_b32 s35, s0
	s_addc_u32 s37, s0, s0
	s_xor_b64 s[36:37], s[36:37], s[34:35]
	v_cvt_f32_u32_e32 v3, s36
	v_cvt_f32_u32_e32 v5, s37
	s_sub_u32 s0, 0, s36
	s_subb_u32 s1, 0, s37
	v_mac_f32_e32 v3, 0x4f800000, v5
	v_rcp_f32_e32 v3, v3
	v_mul_f32_e32 v3, 0x5f7ffffc, v3
	v_mul_f32_e32 v5, 0x2f800000, v3
	v_trunc_f32_e32 v5, v5
	v_mac_f32_e32 v3, 0xcf800000, v5
	v_cvt_u32_f32_e32 v5, v5
	v_cvt_u32_f32_e32 v3, v3
	v_mul_lo_u32 v7, s0, v5
	v_mul_hi_u32 v11, s0, v3
	v_mul_lo_u32 v10, s1, v3
	v_add_u32_e32 v7, v11, v7
	v_mul_lo_u32 v12, s0, v3
	v_add_u32_e32 v7, v7, v10
	v_mul_lo_u32 v11, v3, v7
	v_mul_hi_u32 v13, v3, v12
	v_mul_hi_u32 v10, v3, v7
	v_add_co_u32_e32 v11, vcc, v13, v11
	v_addc_co_u32_e32 v10, vcc, 0, v10, vcc
	v_mul_hi_u32 v14, v5, v12
	v_mul_lo_u32 v12, v5, v12
	v_add_co_u32_e32 v11, vcc, v11, v12
	v_mul_hi_u32 v13, v5, v7
	v_addc_co_u32_e32 v10, vcc, v10, v14, vcc
	v_addc_co_u32_e32 v11, vcc, 0, v13, vcc
	v_mul_lo_u32 v7, v5, v7
	v_add_co_u32_e32 v7, vcc, v10, v7
	v_addc_co_u32_e32 v10, vcc, 0, v11, vcc
	v_add_co_u32_e32 v3, vcc, v3, v7
	v_addc_co_u32_e32 v5, vcc, v5, v10, vcc
	v_mul_lo_u32 v7, s0, v5
	v_mul_hi_u32 v10, s0, v3
	v_add_u32_e32 v7, v10, v7
	v_mul_lo_u32 v10, s1, v3
	v_add_u32_e32 v7, v7, v10
	v_mul_lo_u32 v11, s0, v3
	v_mul_hi_u32 v12, v5, v11
	v_mul_lo_u32 v13, v5, v11
	v_mul_lo_u32 v15, v3, v7
	v_mul_hi_u32 v11, v3, v11
	v_mul_hi_u32 v14, v3, v7
	v_add_co_u32_e32 v11, vcc, v11, v15
	v_addc_co_u32_e32 v14, vcc, 0, v14, vcc
	v_add_co_u32_e32 v11, vcc, v11, v13
	v_mul_hi_u32 v10, v5, v7
	v_addc_co_u32_e32 v11, vcc, v14, v12, vcc
	v_addc_co_u32_e32 v10, vcc, 0, v10, vcc
	v_mul_lo_u32 v7, v5, v7
	v_add_co_u32_e32 v7, vcc, v11, v7
	v_addc_co_u32_e32 v10, vcc, 0, v10, vcc
	v_add_co_u32_e32 v3, vcc, v3, v7
	v_addc_co_u32_e32 v5, vcc, v5, v10, vcc
	v_ashrrev_i32_e32 v7, 31, v9
	v_add_co_u32_e32 v10, vcc, v8, v7
	v_xor_b32_e32 v14, v10, v7
	v_addc_co_u32_e32 v9, vcc, v9, v7, vcc
	v_mad_u64_u32 v[10:11], s[0:1], v14, v5, 0
	v_mul_hi_u32 v12, v14, v3
	v_xor_b32_e32 v9, v9, v7
	v_add_co_u32_e32 v15, vcc, v12, v10
	v_addc_co_u32_e32 v16, vcc, 0, v11, vcc
	v_mad_u64_u32 v[12:13], s[0:1], v9, v3, 0
	v_add_co_u32_e32 v3, vcc, v15, v12
	v_mad_u64_u32 v[10:11], s[0:1], v9, v5, 0
	v_addc_co_u32_e32 v3, vcc, v16, v13, vcc
	v_addc_co_u32_e32 v5, vcc, 0, v11, vcc
	v_add_co_u32_e32 v3, vcc, v3, v10
	v_addc_co_u32_e32 v5, vcc, 0, v5, vcc
	v_mul_lo_u32 v12, s37, v3
	v_mul_lo_u32 v13, s36, v5
	v_mad_u64_u32 v[10:11], s[0:1], s36, v3, 0
	v_add3_u32 v11, v11, v13, v12
	v_sub_u32_e32 v12, v9, v11
	v_mov_b32_e32 v13, s37
	v_sub_co_u32_e32 v10, vcc, v14, v10
	v_subb_co_u32_e64 v12, s[0:1], v12, v13, vcc
	v_subrev_co_u32_e64 v13, s[0:1], s36, v10
	v_subbrev_co_u32_e64 v12, s[0:1], 0, v12, s[0:1]
	v_cmp_le_u32_e64 s[0:1], s37, v12
	v_cndmask_b32_e64 v14, 0, -1, s[0:1]
	v_cmp_le_u32_e64 s[0:1], s36, v13
	v_cndmask_b32_e64 v13, 0, -1, s[0:1]
	v_cmp_eq_u32_e64 s[0:1], s37, v12
	v_cndmask_b32_e64 v12, v14, v13, s[0:1]
	v_add_co_u32_e64 v13, s[0:1], 2, v3
	v_subb_co_u32_e32 v9, vcc, v9, v11, vcc
	v_addc_co_u32_e64 v14, s[0:1], 0, v5, s[0:1]
	v_cmp_le_u32_e32 vcc, s37, v9
	v_add_co_u32_e64 v15, s[0:1], 1, v3
	v_cndmask_b32_e64 v11, 0, -1, vcc
	v_cmp_le_u32_e32 vcc, s36, v10
	v_addc_co_u32_e64 v16, s[0:1], 0, v5, s[0:1]
	v_cndmask_b32_e64 v10, 0, -1, vcc
	v_cmp_eq_u32_e32 vcc, s37, v9
	v_cmp_ne_u32_e64 s[0:1], 0, v12
	v_cndmask_b32_e32 v9, v11, v10, vcc
	v_cmp_ne_u32_e32 vcc, 0, v9
	v_cndmask_b32_e64 v9, v15, v13, s[0:1]
	v_cndmask_b32_e64 v12, v16, v14, s[0:1]
	v_cndmask_b32_e32 v3, v3, v9, vcc
	v_xor_b32_e32 v9, s35, v7
	v_xor_b32_e32 v7, s34, v7
	v_cndmask_b32_e32 v5, v5, v12, vcc
	v_xor_b32_e32 v3, v3, v7
	v_xor_b32_e32 v5, v5, v9
	v_sub_co_u32_e32 v10, vcc, v3, v7
	v_subb_co_u32_e32 v11, vcc, v5, v9, vcc
.LBB24_25:                              ;   in Loop: Header=BB24_23 Depth=2
	s_andn2_saveexec_b64 s[0:1], s[30:31]
	s_cbranch_execz .LBB24_27
; %bb.26:                               ;   in Loop: Header=BB24_23 Depth=2
	v_cvt_f32_u32_e32 v3, s50
	s_sub_i32 s16, 0, s50
	v_mov_b32_e32 v11, v2
	v_rcp_iflag_f32_e32 v3, v3
	v_mul_f32_e32 v3, 0x4f7ffffe, v3
	v_cvt_u32_f32_e32 v3, v3
	v_mul_lo_u32 v5, s16, v3
	v_mul_hi_u32 v5, v3, v5
	v_add_u32_e32 v3, v3, v5
	v_mul_hi_u32 v3, v8, v3
	v_mul_lo_u32 v5, v3, s50
	v_sub_u32_e32 v5, v8, v5
	v_add_u32_e32 v7, 1, v3
	v_subrev_u32_e32 v9, s50, v5
	v_cmp_le_u32_e32 vcc, s50, v5
	v_cndmask_b32_e32 v5, v5, v9, vcc
	v_cndmask_b32_e32 v3, v3, v7, vcc
	v_add_u32_e32 v7, 1, v3
	v_cmp_le_u32_e32 vcc, s50, v5
	v_cndmask_b32_e32 v10, v3, v7, vcc
.LBB24_27:                              ;   in Loop: Header=BB24_23 Depth=2
	s_or_b64 exec, exec, s[0:1]
	s_add_u32 s0, s43, s28
	s_addc_u32 s1, s44, s29
	s_add_i32 s16, s26, 6
	s_lshl_b64 s[28:29], s[16:17], 2
	s_add_u32 s30, s39, s28
	s_addc_u32 s31, s40, s29
	s_load_dword s51, s[30:31], 0x0
	s_load_dword s52, s[0:1], 0x0
                                        ; implicit-def: $vgpr12_vgpr13
	s_waitcnt lgkmcnt(0)
	s_ashr_i32 s0, s51, 31
	v_or_b32_e32 v3, s0, v11
	v_cmp_ne_u64_e32 vcc, 0, v[2:3]
	s_and_saveexec_b64 s[30:31], vcc
	s_xor_b64 s[30:31], exec, s[30:31]
	s_cbranch_execz .LBB24_29
; %bb.28:                               ;   in Loop: Header=BB24_23 Depth=2
	s_add_u32 s36, s51, s0
	s_mov_b32 s34, s0
	s_mov_b32 s35, s0
	s_addc_u32 s37, s0, s0
	s_xor_b64 s[36:37], s[36:37], s[34:35]
	v_cvt_f32_u32_e32 v3, s36
	v_cvt_f32_u32_e32 v5, s37
	s_sub_u32 s0, 0, s36
	s_subb_u32 s1, 0, s37
	v_mac_f32_e32 v3, 0x4f800000, v5
	v_rcp_f32_e32 v3, v3
	v_mul_f32_e32 v3, 0x5f7ffffc, v3
	v_mul_f32_e32 v5, 0x2f800000, v3
	v_trunc_f32_e32 v5, v5
	v_mac_f32_e32 v3, 0xcf800000, v5
	v_cvt_u32_f32_e32 v5, v5
	v_cvt_u32_f32_e32 v3, v3
	v_mul_lo_u32 v7, s0, v5
	v_mul_hi_u32 v12, s0, v3
	v_mul_lo_u32 v9, s1, v3
	v_add_u32_e32 v7, v12, v7
	v_mul_lo_u32 v13, s0, v3
	v_add_u32_e32 v7, v7, v9
	v_mul_lo_u32 v12, v3, v7
	v_mul_hi_u32 v14, v3, v13
	v_mul_hi_u32 v9, v3, v7
	v_add_co_u32_e32 v12, vcc, v14, v12
	v_addc_co_u32_e32 v9, vcc, 0, v9, vcc
	v_mul_hi_u32 v15, v5, v13
	v_mul_lo_u32 v13, v5, v13
	v_add_co_u32_e32 v12, vcc, v12, v13
	v_mul_hi_u32 v14, v5, v7
	v_addc_co_u32_e32 v9, vcc, v9, v15, vcc
	v_addc_co_u32_e32 v12, vcc, 0, v14, vcc
	v_mul_lo_u32 v7, v5, v7
	v_add_co_u32_e32 v7, vcc, v9, v7
	v_addc_co_u32_e32 v9, vcc, 0, v12, vcc
	v_add_co_u32_e32 v3, vcc, v3, v7
	v_addc_co_u32_e32 v5, vcc, v5, v9, vcc
	v_mul_lo_u32 v7, s0, v5
	v_mul_hi_u32 v9, s0, v3
	v_add_u32_e32 v7, v9, v7
	v_mul_lo_u32 v9, s1, v3
	v_add_u32_e32 v7, v7, v9
	v_mul_lo_u32 v12, s0, v3
	v_mul_hi_u32 v13, v5, v12
	v_mul_lo_u32 v14, v5, v12
	v_mul_lo_u32 v16, v3, v7
	v_mul_hi_u32 v12, v3, v12
	v_mul_hi_u32 v15, v3, v7
	v_add_co_u32_e32 v12, vcc, v12, v16
	v_addc_co_u32_e32 v15, vcc, 0, v15, vcc
	v_add_co_u32_e32 v12, vcc, v12, v14
	v_mul_hi_u32 v9, v5, v7
	v_addc_co_u32_e32 v12, vcc, v15, v13, vcc
	v_addc_co_u32_e32 v9, vcc, 0, v9, vcc
	v_mul_lo_u32 v7, v5, v7
	v_add_co_u32_e32 v7, vcc, v12, v7
	v_addc_co_u32_e32 v9, vcc, 0, v9, vcc
	v_add_co_u32_e32 v3, vcc, v3, v7
	v_addc_co_u32_e32 v5, vcc, v5, v9, vcc
	v_ashrrev_i32_e32 v7, 31, v11
	v_add_co_u32_e32 v9, vcc, v10, v7
	v_xor_b32_e32 v9, v9, v7
	v_addc_co_u32_e32 v11, vcc, v11, v7, vcc
	v_mad_u64_u32 v[12:13], s[0:1], v9, v5, 0
	v_mul_hi_u32 v14, v9, v3
	v_xor_b32_e32 v11, v11, v7
	v_add_co_u32_e32 v16, vcc, v14, v12
	v_addc_co_u32_e32 v17, vcc, 0, v13, vcc
	v_mad_u64_u32 v[14:15], s[0:1], v11, v3, 0
	v_add_co_u32_e32 v3, vcc, v16, v14
	v_mad_u64_u32 v[12:13], s[0:1], v11, v5, 0
	v_addc_co_u32_e32 v3, vcc, v17, v15, vcc
	v_addc_co_u32_e32 v5, vcc, 0, v13, vcc
	v_add_co_u32_e32 v3, vcc, v3, v12
	v_addc_co_u32_e32 v5, vcc, 0, v5, vcc
	v_mul_lo_u32 v14, s37, v3
	v_mul_lo_u32 v15, s36, v5
	v_mad_u64_u32 v[12:13], s[0:1], s36, v3, 0
	v_add3_u32 v13, v13, v15, v14
	v_sub_u32_e32 v14, v11, v13
	v_mov_b32_e32 v15, s37
	v_sub_co_u32_e32 v9, vcc, v9, v12
	v_subb_co_u32_e64 v12, s[0:1], v14, v15, vcc
	v_subrev_co_u32_e64 v14, s[0:1], s36, v9
	v_subbrev_co_u32_e64 v12, s[0:1], 0, v12, s[0:1]
	v_cmp_le_u32_e64 s[0:1], s37, v12
	v_cndmask_b32_e64 v15, 0, -1, s[0:1]
	v_cmp_le_u32_e64 s[0:1], s36, v14
	v_cndmask_b32_e64 v14, 0, -1, s[0:1]
	v_cmp_eq_u32_e64 s[0:1], s37, v12
	v_cndmask_b32_e64 v12, v15, v14, s[0:1]
	v_add_co_u32_e64 v14, s[0:1], 2, v3
	v_subb_co_u32_e32 v11, vcc, v11, v13, vcc
	v_addc_co_u32_e64 v15, s[0:1], 0, v5, s[0:1]
	v_cmp_le_u32_e32 vcc, s37, v11
	v_add_co_u32_e64 v16, s[0:1], 1, v3
	v_cndmask_b32_e64 v13, 0, -1, vcc
	v_cmp_le_u32_e32 vcc, s36, v9
	v_addc_co_u32_e64 v17, s[0:1], 0, v5, s[0:1]
	v_cndmask_b32_e64 v9, 0, -1, vcc
	v_cmp_eq_u32_e32 vcc, s37, v11
	v_cmp_ne_u32_e64 s[0:1], 0, v12
	v_cndmask_b32_e32 v9, v13, v9, vcc
	v_cmp_ne_u32_e32 vcc, 0, v9
	v_cndmask_b32_e64 v9, v16, v14, s[0:1]
	v_cndmask_b32_e64 v12, v17, v15, s[0:1]
	v_cndmask_b32_e32 v3, v3, v9, vcc
	v_xor_b32_e32 v9, s35, v7
	v_xor_b32_e32 v7, s34, v7
	v_cndmask_b32_e32 v5, v5, v12, vcc
	v_xor_b32_e32 v3, v3, v7
	v_xor_b32_e32 v5, v5, v9
	v_sub_co_u32_e32 v12, vcc, v3, v7
	v_subb_co_u32_e32 v13, vcc, v5, v9, vcc
.LBB24_29:                              ;   in Loop: Header=BB24_23 Depth=2
	s_andn2_saveexec_b64 s[0:1], s[30:31]
	s_cbranch_execz .LBB24_31
; %bb.30:                               ;   in Loop: Header=BB24_23 Depth=2
	v_cvt_f32_u32_e32 v3, s51
	s_sub_i32 s16, 0, s51
	v_mov_b32_e32 v13, v2
	v_rcp_iflag_f32_e32 v3, v3
	v_mul_f32_e32 v3, 0x4f7ffffe, v3
	v_cvt_u32_f32_e32 v3, v3
	v_mul_lo_u32 v5, s16, v3
	v_mul_hi_u32 v5, v3, v5
	v_add_u32_e32 v3, v3, v5
	v_mul_hi_u32 v3, v10, v3
	v_mul_lo_u32 v5, v3, s51
	v_sub_u32_e32 v5, v10, v5
	v_add_u32_e32 v7, 1, v3
	v_subrev_u32_e32 v9, s51, v5
	v_cmp_le_u32_e32 vcc, s51, v5
	v_cndmask_b32_e32 v5, v5, v9, vcc
	v_cndmask_b32_e32 v3, v3, v7, vcc
	v_add_u32_e32 v7, 1, v3
	v_cmp_le_u32_e32 vcc, s51, v5
	v_cndmask_b32_e32 v12, v3, v7, vcc
.LBB24_31:                              ;   in Loop: Header=BB24_23 Depth=2
	s_or_b64 exec, exec, s[0:1]
	s_add_u32 s0, s43, s28
	s_addc_u32 s1, s44, s29
	s_add_i32 s16, s26, 5
	s_lshl_b64 s[28:29], s[16:17], 2
	s_add_u32 s30, s39, s28
	s_addc_u32 s31, s40, s29
	s_load_dword s53, s[30:31], 0x0
	s_load_dword s54, s[0:1], 0x0
                                        ; implicit-def: $vgpr14_vgpr15
	s_waitcnt lgkmcnt(0)
	s_ashr_i32 s0, s53, 31
	v_or_b32_e32 v3, s0, v13
	v_cmp_ne_u64_e32 vcc, 0, v[2:3]
	s_and_saveexec_b64 s[30:31], vcc
	s_xor_b64 s[30:31], exec, s[30:31]
	s_cbranch_execz .LBB24_33
; %bb.32:                               ;   in Loop: Header=BB24_23 Depth=2
	s_add_u32 s36, s53, s0
	s_mov_b32 s34, s0
	s_mov_b32 s35, s0
	s_addc_u32 s37, s0, s0
	s_xor_b64 s[36:37], s[36:37], s[34:35]
	v_cvt_f32_u32_e32 v3, s36
	v_cvt_f32_u32_e32 v5, s37
	s_sub_u32 s0, 0, s36
	s_subb_u32 s1, 0, s37
	v_mac_f32_e32 v3, 0x4f800000, v5
	v_rcp_f32_e32 v3, v3
	v_mul_f32_e32 v3, 0x5f7ffffc, v3
	v_mul_f32_e32 v5, 0x2f800000, v3
	v_trunc_f32_e32 v5, v5
	v_mac_f32_e32 v3, 0xcf800000, v5
	v_cvt_u32_f32_e32 v5, v5
	v_cvt_u32_f32_e32 v3, v3
	v_mul_lo_u32 v7, s0, v5
	v_mul_hi_u32 v11, s0, v3
	v_mul_lo_u32 v9, s1, v3
	v_add_u32_e32 v7, v11, v7
	v_mul_lo_u32 v14, s0, v3
	v_add_u32_e32 v7, v7, v9
	v_mul_lo_u32 v11, v3, v7
	v_mul_hi_u32 v15, v3, v14
	v_mul_hi_u32 v9, v3, v7
	v_add_co_u32_e32 v11, vcc, v15, v11
	v_addc_co_u32_e32 v9, vcc, 0, v9, vcc
	v_mul_hi_u32 v16, v5, v14
	v_mul_lo_u32 v14, v5, v14
	v_add_co_u32_e32 v11, vcc, v11, v14
	v_mul_hi_u32 v15, v5, v7
	v_addc_co_u32_e32 v9, vcc, v9, v16, vcc
	v_addc_co_u32_e32 v11, vcc, 0, v15, vcc
	v_mul_lo_u32 v7, v5, v7
	v_add_co_u32_e32 v7, vcc, v9, v7
	v_addc_co_u32_e32 v9, vcc, 0, v11, vcc
	v_add_co_u32_e32 v3, vcc, v3, v7
	v_addc_co_u32_e32 v5, vcc, v5, v9, vcc
	v_mul_lo_u32 v7, s0, v5
	v_mul_hi_u32 v9, s0, v3
	v_add_u32_e32 v7, v9, v7
	v_mul_lo_u32 v9, s1, v3
	v_add_u32_e32 v7, v7, v9
	v_mul_lo_u32 v11, s0, v3
	v_mul_hi_u32 v14, v5, v11
	v_mul_lo_u32 v15, v5, v11
	v_mul_lo_u32 v17, v3, v7
	v_mul_hi_u32 v11, v3, v11
	v_mul_hi_u32 v16, v3, v7
	v_add_co_u32_e32 v11, vcc, v11, v17
	v_addc_co_u32_e32 v16, vcc, 0, v16, vcc
	v_add_co_u32_e32 v11, vcc, v11, v15
	v_mul_hi_u32 v9, v5, v7
	v_addc_co_u32_e32 v11, vcc, v16, v14, vcc
	v_addc_co_u32_e32 v9, vcc, 0, v9, vcc
	v_mul_lo_u32 v7, v5, v7
	v_add_co_u32_e32 v7, vcc, v11, v7
	v_addc_co_u32_e32 v9, vcc, 0, v9, vcc
	v_add_co_u32_e32 v3, vcc, v3, v7
	v_addc_co_u32_e32 v5, vcc, v5, v9, vcc
	v_ashrrev_i32_e32 v7, 31, v13
	v_add_co_u32_e32 v9, vcc, v12, v7
	v_xor_b32_e32 v9, v9, v7
	v_addc_co_u32_e32 v11, vcc, v13, v7, vcc
	v_mad_u64_u32 v[14:15], s[0:1], v9, v5, 0
	v_mul_hi_u32 v13, v9, v3
	v_xor_b32_e32 v11, v11, v7
	v_add_co_u32_e32 v13, vcc, v13, v14
	v_addc_co_u32_e32 v18, vcc, 0, v15, vcc
	v_mad_u64_u32 v[16:17], s[0:1], v11, v3, 0
	v_add_co_u32_e32 v3, vcc, v13, v16
	v_mad_u64_u32 v[14:15], s[0:1], v11, v5, 0
	v_addc_co_u32_e32 v3, vcc, v18, v17, vcc
	v_addc_co_u32_e32 v5, vcc, 0, v15, vcc
	v_add_co_u32_e32 v3, vcc, v3, v14
	v_addc_co_u32_e32 v5, vcc, 0, v5, vcc
	v_mul_lo_u32 v13, s37, v3
	v_mul_lo_u32 v16, s36, v5
	v_mad_u64_u32 v[14:15], s[0:1], s36, v3, 0
	v_add3_u32 v13, v15, v16, v13
	v_sub_u32_e32 v15, v11, v13
	v_mov_b32_e32 v16, s37
	v_sub_co_u32_e32 v9, vcc, v9, v14
	v_subb_co_u32_e64 v14, s[0:1], v15, v16, vcc
	v_subrev_co_u32_e64 v15, s[0:1], s36, v9
	v_subbrev_co_u32_e64 v14, s[0:1], 0, v14, s[0:1]
	v_cmp_le_u32_e64 s[0:1], s37, v14
	v_cndmask_b32_e64 v16, 0, -1, s[0:1]
	v_cmp_le_u32_e64 s[0:1], s36, v15
	v_cndmask_b32_e64 v15, 0, -1, s[0:1]
	v_cmp_eq_u32_e64 s[0:1], s37, v14
	v_cndmask_b32_e64 v14, v16, v15, s[0:1]
	v_add_co_u32_e64 v15, s[0:1], 2, v3
	v_subb_co_u32_e32 v11, vcc, v11, v13, vcc
	v_addc_co_u32_e64 v16, s[0:1], 0, v5, s[0:1]
	v_cmp_le_u32_e32 vcc, s37, v11
	v_add_co_u32_e64 v17, s[0:1], 1, v3
	v_cndmask_b32_e64 v13, 0, -1, vcc
	v_cmp_le_u32_e32 vcc, s36, v9
	v_addc_co_u32_e64 v18, s[0:1], 0, v5, s[0:1]
	v_cndmask_b32_e64 v9, 0, -1, vcc
	v_cmp_eq_u32_e32 vcc, s37, v11
	v_cmp_ne_u32_e64 s[0:1], 0, v14
	v_cndmask_b32_e32 v9, v13, v9, vcc
	v_cmp_ne_u32_e32 vcc, 0, v9
	v_cndmask_b32_e64 v9, v17, v15, s[0:1]
	v_cndmask_b32_e64 v14, v18, v16, s[0:1]
	v_cndmask_b32_e32 v3, v3, v9, vcc
	v_xor_b32_e32 v9, s35, v7
	v_xor_b32_e32 v7, s34, v7
	v_cndmask_b32_e32 v5, v5, v14, vcc
	v_xor_b32_e32 v3, v3, v7
	v_xor_b32_e32 v5, v5, v9
	v_sub_co_u32_e32 v14, vcc, v3, v7
	v_subb_co_u32_e32 v15, vcc, v5, v9, vcc
.LBB24_33:                              ;   in Loop: Header=BB24_23 Depth=2
	s_andn2_saveexec_b64 s[0:1], s[30:31]
	s_cbranch_execz .LBB24_35
; %bb.34:                               ;   in Loop: Header=BB24_23 Depth=2
	v_cvt_f32_u32_e32 v3, s53
	s_sub_i32 s16, 0, s53
	v_mov_b32_e32 v15, v2
	v_rcp_iflag_f32_e32 v3, v3
	v_mul_f32_e32 v3, 0x4f7ffffe, v3
	v_cvt_u32_f32_e32 v3, v3
	v_mul_lo_u32 v5, s16, v3
	v_mul_hi_u32 v5, v3, v5
	v_add_u32_e32 v3, v3, v5
	v_mul_hi_u32 v3, v12, v3
	v_mul_lo_u32 v5, v3, s53
	v_sub_u32_e32 v5, v12, v5
	v_add_u32_e32 v7, 1, v3
	v_subrev_u32_e32 v9, s53, v5
	v_cmp_le_u32_e32 vcc, s53, v5
	v_cndmask_b32_e32 v5, v5, v9, vcc
	v_cndmask_b32_e32 v3, v3, v7, vcc
	v_add_u32_e32 v7, 1, v3
	v_cmp_le_u32_e32 vcc, s53, v5
	v_cndmask_b32_e32 v14, v3, v7, vcc
.LBB24_35:                              ;   in Loop: Header=BB24_23 Depth=2
	s_or_b64 exec, exec, s[0:1]
	s_add_u32 s0, s43, s28
	s_addc_u32 s1, s44, s29
	s_add_i32 s16, s26, 4
	s_lshl_b64 s[28:29], s[16:17], 2
	s_add_u32 s30, s39, s28
	s_addc_u32 s31, s40, s29
	s_load_dword s55, s[30:31], 0x0
	s_load_dword s56, s[0:1], 0x0
                                        ; implicit-def: $vgpr16_vgpr17
	s_waitcnt lgkmcnt(0)
	s_ashr_i32 s0, s55, 31
	v_or_b32_e32 v3, s0, v15
	v_cmp_ne_u64_e32 vcc, 0, v[2:3]
	s_and_saveexec_b64 s[30:31], vcc
	s_xor_b64 s[30:31], exec, s[30:31]
	s_cbranch_execz .LBB24_37
; %bb.36:                               ;   in Loop: Header=BB24_23 Depth=2
	s_add_u32 s36, s55, s0
	s_mov_b32 s34, s0
	s_mov_b32 s35, s0
	s_addc_u32 s37, s0, s0
	s_xor_b64 s[36:37], s[36:37], s[34:35]
	v_cvt_f32_u32_e32 v3, s36
	v_cvt_f32_u32_e32 v5, s37
	s_sub_u32 s0, 0, s36
	s_subb_u32 s1, 0, s37
	v_mac_f32_e32 v3, 0x4f800000, v5
	v_rcp_f32_e32 v3, v3
	v_mul_f32_e32 v3, 0x5f7ffffc, v3
	v_mul_f32_e32 v5, 0x2f800000, v3
	v_trunc_f32_e32 v5, v5
	v_mac_f32_e32 v3, 0xcf800000, v5
	v_cvt_u32_f32_e32 v5, v5
	v_cvt_u32_f32_e32 v3, v3
	v_mul_lo_u32 v7, s0, v5
	v_mul_hi_u32 v11, s0, v3
	v_mul_lo_u32 v9, s1, v3
	v_add_u32_e32 v7, v11, v7
	v_mul_lo_u32 v13, s0, v3
	v_add_u32_e32 v7, v7, v9
	v_mul_lo_u32 v11, v3, v7
	v_mul_hi_u32 v16, v3, v13
	v_mul_hi_u32 v9, v3, v7
	v_add_co_u32_e32 v11, vcc, v16, v11
	v_addc_co_u32_e32 v9, vcc, 0, v9, vcc
	v_mul_hi_u32 v17, v5, v13
	v_mul_lo_u32 v13, v5, v13
	v_add_co_u32_e32 v11, vcc, v11, v13
	v_mul_hi_u32 v16, v5, v7
	v_addc_co_u32_e32 v9, vcc, v9, v17, vcc
	v_addc_co_u32_e32 v11, vcc, 0, v16, vcc
	v_mul_lo_u32 v7, v5, v7
	v_add_co_u32_e32 v7, vcc, v9, v7
	v_addc_co_u32_e32 v9, vcc, 0, v11, vcc
	v_add_co_u32_e32 v3, vcc, v3, v7
	v_addc_co_u32_e32 v5, vcc, v5, v9, vcc
	v_mul_lo_u32 v7, s0, v5
	v_mul_hi_u32 v9, s0, v3
	v_add_u32_e32 v7, v9, v7
	v_mul_lo_u32 v9, s1, v3
	v_add_u32_e32 v7, v7, v9
	v_mul_lo_u32 v11, s0, v3
	v_mul_hi_u32 v13, v5, v11
	v_mul_lo_u32 v16, v5, v11
	v_mul_lo_u32 v18, v3, v7
	v_mul_hi_u32 v11, v3, v11
	v_mul_hi_u32 v17, v3, v7
	v_add_co_u32_e32 v11, vcc, v11, v18
	v_addc_co_u32_e32 v17, vcc, 0, v17, vcc
	v_add_co_u32_e32 v11, vcc, v11, v16
	v_mul_hi_u32 v9, v5, v7
	v_addc_co_u32_e32 v11, vcc, v17, v13, vcc
	v_addc_co_u32_e32 v9, vcc, 0, v9, vcc
	v_mul_lo_u32 v7, v5, v7
	v_add_co_u32_e32 v7, vcc, v11, v7
	v_addc_co_u32_e32 v9, vcc, 0, v9, vcc
	v_add_co_u32_e32 v3, vcc, v3, v7
	v_addc_co_u32_e32 v5, vcc, v5, v9, vcc
	v_ashrrev_i32_e32 v7, 31, v15
	v_add_co_u32_e32 v9, vcc, v14, v7
	v_xor_b32_e32 v9, v9, v7
	v_addc_co_u32_e32 v11, vcc, v15, v7, vcc
	v_mad_u64_u32 v[16:17], s[0:1], v9, v5, 0
	v_mul_hi_u32 v13, v9, v3
	v_xor_b32_e32 v11, v11, v7
	v_add_co_u32_e32 v13, vcc, v13, v16
	v_addc_co_u32_e32 v15, vcc, 0, v17, vcc
	v_mad_u64_u32 v[18:19], s[0:1], v11, v3, 0
	v_add_co_u32_e32 v3, vcc, v13, v18
	v_mad_u64_u32 v[16:17], s[0:1], v11, v5, 0
	v_addc_co_u32_e32 v3, vcc, v15, v19, vcc
	v_addc_co_u32_e32 v5, vcc, 0, v17, vcc
	v_add_co_u32_e32 v3, vcc, v3, v16
	v_addc_co_u32_e32 v5, vcc, 0, v5, vcc
	v_mul_lo_u32 v13, s37, v3
	v_mul_lo_u32 v15, s36, v5
	v_mad_u64_u32 v[16:17], s[0:1], s36, v3, 0
	v_add3_u32 v13, v17, v15, v13
	v_sub_u32_e32 v15, v11, v13
	v_mov_b32_e32 v17, s37
	v_sub_co_u32_e32 v9, vcc, v9, v16
	v_subb_co_u32_e64 v15, s[0:1], v15, v17, vcc
	v_subrev_co_u32_e64 v16, s[0:1], s36, v9
	v_subbrev_co_u32_e64 v15, s[0:1], 0, v15, s[0:1]
	v_cmp_le_u32_e64 s[0:1], s37, v15
	v_cndmask_b32_e64 v17, 0, -1, s[0:1]
	v_cmp_le_u32_e64 s[0:1], s36, v16
	v_cndmask_b32_e64 v16, 0, -1, s[0:1]
	v_cmp_eq_u32_e64 s[0:1], s37, v15
	v_cndmask_b32_e64 v15, v17, v16, s[0:1]
	v_add_co_u32_e64 v16, s[0:1], 2, v3
	v_subb_co_u32_e32 v11, vcc, v11, v13, vcc
	v_addc_co_u32_e64 v17, s[0:1], 0, v5, s[0:1]
	v_cmp_le_u32_e32 vcc, s37, v11
	v_add_co_u32_e64 v18, s[0:1], 1, v3
	v_cndmask_b32_e64 v13, 0, -1, vcc
	v_cmp_le_u32_e32 vcc, s36, v9
	v_addc_co_u32_e64 v19, s[0:1], 0, v5, s[0:1]
	v_cndmask_b32_e64 v9, 0, -1, vcc
	v_cmp_eq_u32_e32 vcc, s37, v11
	v_cmp_ne_u32_e64 s[0:1], 0, v15
	v_cndmask_b32_e32 v9, v13, v9, vcc
	v_cmp_ne_u32_e32 vcc, 0, v9
	v_cndmask_b32_e64 v9, v18, v16, s[0:1]
	v_cndmask_b32_e64 v15, v19, v17, s[0:1]
	v_cndmask_b32_e32 v3, v3, v9, vcc
	v_xor_b32_e32 v9, s35, v7
	v_xor_b32_e32 v7, s34, v7
	v_cndmask_b32_e32 v5, v5, v15, vcc
	v_xor_b32_e32 v3, v3, v7
	v_xor_b32_e32 v5, v5, v9
	v_sub_co_u32_e32 v16, vcc, v3, v7
	v_subb_co_u32_e32 v17, vcc, v5, v9, vcc
.LBB24_37:                              ;   in Loop: Header=BB24_23 Depth=2
	s_andn2_saveexec_b64 s[0:1], s[30:31]
	s_cbranch_execz .LBB24_39
; %bb.38:                               ;   in Loop: Header=BB24_23 Depth=2
	v_cvt_f32_u32_e32 v3, s55
	s_sub_i32 s16, 0, s55
	v_mov_b32_e32 v17, v2
	v_rcp_iflag_f32_e32 v3, v3
	v_mul_f32_e32 v3, 0x4f7ffffe, v3
	v_cvt_u32_f32_e32 v3, v3
	v_mul_lo_u32 v5, s16, v3
	v_mul_hi_u32 v5, v3, v5
	v_add_u32_e32 v3, v3, v5
	v_mul_hi_u32 v3, v14, v3
	v_mul_lo_u32 v5, v3, s55
	v_sub_u32_e32 v5, v14, v5
	v_add_u32_e32 v7, 1, v3
	v_subrev_u32_e32 v9, s55, v5
	v_cmp_le_u32_e32 vcc, s55, v5
	v_cndmask_b32_e32 v5, v5, v9, vcc
	v_cndmask_b32_e32 v3, v3, v7, vcc
	v_add_u32_e32 v7, 1, v3
	v_cmp_le_u32_e32 vcc, s55, v5
	v_cndmask_b32_e32 v16, v3, v7, vcc
.LBB24_39:                              ;   in Loop: Header=BB24_23 Depth=2
	s_or_b64 exec, exec, s[0:1]
	s_add_u32 s0, s43, s28
	s_addc_u32 s1, s44, s29
	s_add_i32 s16, s26, 3
	s_lshl_b64 s[28:29], s[16:17], 2
	s_add_u32 s30, s39, s28
	s_addc_u32 s31, s40, s29
	s_load_dword s57, s[30:31], 0x0
	s_load_dword s58, s[0:1], 0x0
                                        ; implicit-def: $vgpr18_vgpr19
	s_waitcnt lgkmcnt(0)
	s_ashr_i32 s0, s57, 31
	v_or_b32_e32 v3, s0, v17
	v_cmp_ne_u64_e32 vcc, 0, v[2:3]
	s_and_saveexec_b64 s[30:31], vcc
	s_xor_b64 s[30:31], exec, s[30:31]
	s_cbranch_execz .LBB24_41
; %bb.40:                               ;   in Loop: Header=BB24_23 Depth=2
	s_add_u32 s36, s57, s0
	s_mov_b32 s34, s0
	s_mov_b32 s35, s0
	s_addc_u32 s37, s0, s0
	s_xor_b64 s[36:37], s[36:37], s[34:35]
	v_cvt_f32_u32_e32 v3, s36
	v_cvt_f32_u32_e32 v5, s37
	s_sub_u32 s0, 0, s36
	s_subb_u32 s1, 0, s37
	v_mac_f32_e32 v3, 0x4f800000, v5
	v_rcp_f32_e32 v3, v3
	v_mul_f32_e32 v3, 0x5f7ffffc, v3
	v_mul_f32_e32 v5, 0x2f800000, v3
	v_trunc_f32_e32 v5, v5
	v_mac_f32_e32 v3, 0xcf800000, v5
	v_cvt_u32_f32_e32 v5, v5
	v_cvt_u32_f32_e32 v3, v3
	v_mul_lo_u32 v7, s0, v5
	v_mul_hi_u32 v11, s0, v3
	v_mul_lo_u32 v9, s1, v3
	v_add_u32_e32 v7, v11, v7
	v_mul_lo_u32 v13, s0, v3
	v_add_u32_e32 v7, v7, v9
	v_mul_lo_u32 v11, v3, v7
	v_mul_hi_u32 v15, v3, v13
	v_mul_hi_u32 v9, v3, v7
	v_add_co_u32_e32 v11, vcc, v15, v11
	v_addc_co_u32_e32 v9, vcc, 0, v9, vcc
	v_mul_hi_u32 v18, v5, v13
	v_mul_lo_u32 v13, v5, v13
	v_add_co_u32_e32 v11, vcc, v11, v13
	v_mul_hi_u32 v15, v5, v7
	v_addc_co_u32_e32 v9, vcc, v9, v18, vcc
	v_addc_co_u32_e32 v11, vcc, 0, v15, vcc
	v_mul_lo_u32 v7, v5, v7
	v_add_co_u32_e32 v7, vcc, v9, v7
	v_addc_co_u32_e32 v9, vcc, 0, v11, vcc
	v_add_co_u32_e32 v3, vcc, v3, v7
	v_addc_co_u32_e32 v5, vcc, v5, v9, vcc
	v_mul_lo_u32 v7, s0, v5
	v_mul_hi_u32 v9, s0, v3
	v_add_u32_e32 v7, v9, v7
	v_mul_lo_u32 v9, s1, v3
	v_add_u32_e32 v7, v7, v9
	v_mul_lo_u32 v11, s0, v3
	v_mul_hi_u32 v13, v5, v11
	v_mul_lo_u32 v15, v5, v11
	v_mul_lo_u32 v19, v3, v7
	v_mul_hi_u32 v11, v3, v11
	v_mul_hi_u32 v18, v3, v7
	v_add_co_u32_e32 v11, vcc, v11, v19
	v_addc_co_u32_e32 v18, vcc, 0, v18, vcc
	v_add_co_u32_e32 v11, vcc, v11, v15
	v_mul_hi_u32 v9, v5, v7
	v_addc_co_u32_e32 v11, vcc, v18, v13, vcc
	v_addc_co_u32_e32 v9, vcc, 0, v9, vcc
	v_mul_lo_u32 v7, v5, v7
	v_add_co_u32_e32 v7, vcc, v11, v7
	v_addc_co_u32_e32 v9, vcc, 0, v9, vcc
	v_add_co_u32_e32 v3, vcc, v3, v7
	v_addc_co_u32_e32 v5, vcc, v5, v9, vcc
	v_ashrrev_i32_e32 v7, 31, v17
	v_add_co_u32_e32 v9, vcc, v16, v7
	v_xor_b32_e32 v9, v9, v7
	v_addc_co_u32_e32 v11, vcc, v17, v7, vcc
	v_mad_u64_u32 v[18:19], s[0:1], v9, v5, 0
	v_mul_hi_u32 v13, v9, v3
	v_xor_b32_e32 v11, v11, v7
	v_add_co_u32_e32 v13, vcc, v13, v18
	v_addc_co_u32_e32 v15, vcc, 0, v19, vcc
	v_mad_u64_u32 v[20:21], s[0:1], v11, v3, 0
	v_add_co_u32_e32 v3, vcc, v13, v20
	v_mad_u64_u32 v[18:19], s[0:1], v11, v5, 0
	v_addc_co_u32_e32 v3, vcc, v15, v21, vcc
	v_addc_co_u32_e32 v5, vcc, 0, v19, vcc
	v_add_co_u32_e32 v3, vcc, v3, v18
	v_addc_co_u32_e32 v5, vcc, 0, v5, vcc
	v_mul_lo_u32 v13, s37, v3
	v_mul_lo_u32 v15, s36, v5
	v_mad_u64_u32 v[18:19], s[0:1], s36, v3, 0
	v_add3_u32 v13, v19, v15, v13
	v_sub_u32_e32 v15, v11, v13
	v_mov_b32_e32 v17, s37
	v_sub_co_u32_e32 v9, vcc, v9, v18
	v_subb_co_u32_e64 v15, s[0:1], v15, v17, vcc
	v_subrev_co_u32_e64 v17, s[0:1], s36, v9
	v_subbrev_co_u32_e64 v15, s[0:1], 0, v15, s[0:1]
	v_cmp_le_u32_e64 s[0:1], s37, v15
	v_cndmask_b32_e64 v18, 0, -1, s[0:1]
	v_cmp_le_u32_e64 s[0:1], s36, v17
	v_cndmask_b32_e64 v17, 0, -1, s[0:1]
	v_cmp_eq_u32_e64 s[0:1], s37, v15
	v_cndmask_b32_e64 v15, v18, v17, s[0:1]
	v_add_co_u32_e64 v17, s[0:1], 2, v3
	v_subb_co_u32_e32 v11, vcc, v11, v13, vcc
	v_addc_co_u32_e64 v18, s[0:1], 0, v5, s[0:1]
	v_cmp_le_u32_e32 vcc, s37, v11
	v_add_co_u32_e64 v19, s[0:1], 1, v3
	v_cndmask_b32_e64 v13, 0, -1, vcc
	v_cmp_le_u32_e32 vcc, s36, v9
	v_addc_co_u32_e64 v20, s[0:1], 0, v5, s[0:1]
	v_cndmask_b32_e64 v9, 0, -1, vcc
	v_cmp_eq_u32_e32 vcc, s37, v11
	v_cmp_ne_u32_e64 s[0:1], 0, v15
	v_cndmask_b32_e32 v9, v13, v9, vcc
	v_cmp_ne_u32_e32 vcc, 0, v9
	v_cndmask_b32_e64 v9, v19, v17, s[0:1]
	v_cndmask_b32_e64 v15, v20, v18, s[0:1]
	v_cndmask_b32_e32 v3, v3, v9, vcc
	v_xor_b32_e32 v9, s35, v7
	v_xor_b32_e32 v7, s34, v7
	v_cndmask_b32_e32 v5, v5, v15, vcc
	v_xor_b32_e32 v3, v3, v7
	v_xor_b32_e32 v5, v5, v9
	v_sub_co_u32_e32 v18, vcc, v3, v7
	v_subb_co_u32_e32 v19, vcc, v5, v9, vcc
.LBB24_41:                              ;   in Loop: Header=BB24_23 Depth=2
	s_andn2_saveexec_b64 s[0:1], s[30:31]
	s_cbranch_execz .LBB24_43
; %bb.42:                               ;   in Loop: Header=BB24_23 Depth=2
	v_cvt_f32_u32_e32 v3, s57
	s_sub_i32 s16, 0, s57
	v_mov_b32_e32 v19, v2
	v_rcp_iflag_f32_e32 v3, v3
	v_mul_f32_e32 v3, 0x4f7ffffe, v3
	v_cvt_u32_f32_e32 v3, v3
	v_mul_lo_u32 v5, s16, v3
	v_mul_hi_u32 v5, v3, v5
	v_add_u32_e32 v3, v3, v5
	v_mul_hi_u32 v3, v16, v3
	v_mul_lo_u32 v5, v3, s57
	v_sub_u32_e32 v5, v16, v5
	v_add_u32_e32 v7, 1, v3
	v_subrev_u32_e32 v9, s57, v5
	v_cmp_le_u32_e32 vcc, s57, v5
	v_cndmask_b32_e32 v5, v5, v9, vcc
	v_cndmask_b32_e32 v3, v3, v7, vcc
	v_add_u32_e32 v7, 1, v3
	v_cmp_le_u32_e32 vcc, s57, v5
	v_cndmask_b32_e32 v18, v3, v7, vcc
.LBB24_43:                              ;   in Loop: Header=BB24_23 Depth=2
	s_or_b64 exec, exec, s[0:1]
	s_add_u32 s0, s43, s28
	s_addc_u32 s1, s44, s29
	s_add_i32 s16, s26, 2
	s_lshl_b64 s[28:29], s[16:17], 2
	s_add_u32 s30, s39, s28
	s_addc_u32 s31, s40, s29
	s_load_dword s59, s[30:31], 0x0
	s_load_dword s60, s[0:1], 0x0
                                        ; implicit-def: $vgpr20_vgpr21
	s_waitcnt lgkmcnt(0)
	s_ashr_i32 s0, s59, 31
	v_or_b32_e32 v3, s0, v19
	v_cmp_ne_u64_e32 vcc, 0, v[2:3]
	s_and_saveexec_b64 s[30:31], vcc
	s_xor_b64 s[30:31], exec, s[30:31]
	s_cbranch_execz .LBB24_45
; %bb.44:                               ;   in Loop: Header=BB24_23 Depth=2
	s_add_u32 s36, s59, s0
	s_mov_b32 s34, s0
	s_mov_b32 s35, s0
	s_addc_u32 s37, s0, s0
	s_xor_b64 s[36:37], s[36:37], s[34:35]
	v_cvt_f32_u32_e32 v3, s36
	v_cvt_f32_u32_e32 v5, s37
	s_sub_u32 s0, 0, s36
	s_subb_u32 s1, 0, s37
	v_mac_f32_e32 v3, 0x4f800000, v5
	v_rcp_f32_e32 v3, v3
	v_mul_f32_e32 v3, 0x5f7ffffc, v3
	v_mul_f32_e32 v5, 0x2f800000, v3
	v_trunc_f32_e32 v5, v5
	v_mac_f32_e32 v3, 0xcf800000, v5
	v_cvt_u32_f32_e32 v5, v5
	v_cvt_u32_f32_e32 v3, v3
	v_mul_lo_u32 v7, s0, v5
	v_mul_hi_u32 v11, s0, v3
	v_mul_lo_u32 v9, s1, v3
	v_add_u32_e32 v7, v11, v7
	v_mul_lo_u32 v13, s0, v3
	v_add_u32_e32 v7, v7, v9
	v_mul_lo_u32 v11, v3, v7
	v_mul_hi_u32 v15, v3, v13
	v_mul_hi_u32 v9, v3, v7
	v_add_co_u32_e32 v11, vcc, v15, v11
	v_addc_co_u32_e32 v9, vcc, 0, v9, vcc
	v_mul_hi_u32 v17, v5, v13
	v_mul_lo_u32 v13, v5, v13
	v_add_co_u32_e32 v11, vcc, v11, v13
	v_mul_hi_u32 v15, v5, v7
	v_addc_co_u32_e32 v9, vcc, v9, v17, vcc
	v_addc_co_u32_e32 v11, vcc, 0, v15, vcc
	v_mul_lo_u32 v7, v5, v7
	v_add_co_u32_e32 v7, vcc, v9, v7
	v_addc_co_u32_e32 v9, vcc, 0, v11, vcc
	v_add_co_u32_e32 v3, vcc, v3, v7
	v_addc_co_u32_e32 v5, vcc, v5, v9, vcc
	v_mul_lo_u32 v7, s0, v5
	v_mul_hi_u32 v9, s0, v3
	v_add_u32_e32 v7, v9, v7
	v_mul_lo_u32 v9, s1, v3
	v_add_u32_e32 v7, v7, v9
	v_mul_lo_u32 v11, s0, v3
	v_mul_hi_u32 v13, v5, v11
	v_mul_lo_u32 v15, v5, v11
	v_mul_lo_u32 v20, v3, v7
	v_mul_hi_u32 v11, v3, v11
	v_mul_hi_u32 v17, v3, v7
	v_add_co_u32_e32 v11, vcc, v11, v20
	v_addc_co_u32_e32 v17, vcc, 0, v17, vcc
	v_add_co_u32_e32 v11, vcc, v11, v15
	v_mul_hi_u32 v9, v5, v7
	v_addc_co_u32_e32 v11, vcc, v17, v13, vcc
	v_addc_co_u32_e32 v9, vcc, 0, v9, vcc
	v_mul_lo_u32 v7, v5, v7
	v_add_co_u32_e32 v7, vcc, v11, v7
	v_addc_co_u32_e32 v9, vcc, 0, v9, vcc
	v_add_co_u32_e32 v3, vcc, v3, v7
	v_addc_co_u32_e32 v5, vcc, v5, v9, vcc
	v_ashrrev_i32_e32 v7, 31, v19
	v_add_co_u32_e32 v9, vcc, v18, v7
	v_xor_b32_e32 v9, v9, v7
	v_addc_co_u32_e32 v11, vcc, v19, v7, vcc
	v_mad_u64_u32 v[20:21], s[0:1], v9, v5, 0
	v_mul_hi_u32 v13, v9, v3
	v_xor_b32_e32 v11, v11, v7
	v_add_co_u32_e32 v13, vcc, v13, v20
	v_addc_co_u32_e32 v15, vcc, 0, v21, vcc
	v_mad_u64_u32 v[22:23], s[0:1], v11, v3, 0
	v_add_co_u32_e32 v3, vcc, v13, v22
	v_mad_u64_u32 v[20:21], s[0:1], v11, v5, 0
	v_addc_co_u32_e32 v3, vcc, v15, v23, vcc
	v_addc_co_u32_e32 v5, vcc, 0, v21, vcc
	v_add_co_u32_e32 v3, vcc, v3, v20
	v_addc_co_u32_e32 v5, vcc, 0, v5, vcc
	v_mul_lo_u32 v13, s37, v3
	v_mul_lo_u32 v15, s36, v5
	v_mad_u64_u32 v[20:21], s[0:1], s36, v3, 0
	v_add3_u32 v13, v21, v15, v13
	v_sub_u32_e32 v15, v11, v13
	v_mov_b32_e32 v17, s37
	v_sub_co_u32_e32 v9, vcc, v9, v20
	v_subb_co_u32_e64 v15, s[0:1], v15, v17, vcc
	v_subrev_co_u32_e64 v17, s[0:1], s36, v9
	v_subbrev_co_u32_e64 v15, s[0:1], 0, v15, s[0:1]
	v_cmp_le_u32_e64 s[0:1], s37, v15
	v_cndmask_b32_e64 v19, 0, -1, s[0:1]
	v_cmp_le_u32_e64 s[0:1], s36, v17
	v_cndmask_b32_e64 v17, 0, -1, s[0:1]
	v_cmp_eq_u32_e64 s[0:1], s37, v15
	v_cndmask_b32_e64 v15, v19, v17, s[0:1]
	v_add_co_u32_e64 v17, s[0:1], 2, v3
	v_subb_co_u32_e32 v11, vcc, v11, v13, vcc
	v_addc_co_u32_e64 v19, s[0:1], 0, v5, s[0:1]
	v_cmp_le_u32_e32 vcc, s37, v11
	v_add_co_u32_e64 v20, s[0:1], 1, v3
	v_cndmask_b32_e64 v13, 0, -1, vcc
	v_cmp_le_u32_e32 vcc, s36, v9
	v_addc_co_u32_e64 v21, s[0:1], 0, v5, s[0:1]
	v_cndmask_b32_e64 v9, 0, -1, vcc
	v_cmp_eq_u32_e32 vcc, s37, v11
	v_cmp_ne_u32_e64 s[0:1], 0, v15
	v_cndmask_b32_e32 v9, v13, v9, vcc
	v_cmp_ne_u32_e32 vcc, 0, v9
	v_cndmask_b32_e64 v9, v20, v17, s[0:1]
	v_cndmask_b32_e64 v15, v21, v19, s[0:1]
	v_cndmask_b32_e32 v3, v3, v9, vcc
	v_xor_b32_e32 v9, s35, v7
	v_xor_b32_e32 v7, s34, v7
	v_cndmask_b32_e32 v5, v5, v15, vcc
	v_xor_b32_e32 v3, v3, v7
	v_xor_b32_e32 v5, v5, v9
	v_sub_co_u32_e32 v20, vcc, v3, v7
	v_subb_co_u32_e32 v21, vcc, v5, v9, vcc
.LBB24_45:                              ;   in Loop: Header=BB24_23 Depth=2
	s_andn2_saveexec_b64 s[0:1], s[30:31]
	s_cbranch_execz .LBB24_47
; %bb.46:                               ;   in Loop: Header=BB24_23 Depth=2
	v_cvt_f32_u32_e32 v3, s59
	s_sub_i32 s16, 0, s59
	v_mov_b32_e32 v21, v2
	v_rcp_iflag_f32_e32 v3, v3
	v_mul_f32_e32 v3, 0x4f7ffffe, v3
	v_cvt_u32_f32_e32 v3, v3
	v_mul_lo_u32 v5, s16, v3
	v_mul_hi_u32 v5, v3, v5
	v_add_u32_e32 v3, v3, v5
	v_mul_hi_u32 v3, v18, v3
	v_mul_lo_u32 v5, v3, s59
	v_sub_u32_e32 v5, v18, v5
	v_add_u32_e32 v7, 1, v3
	v_subrev_u32_e32 v9, s59, v5
	v_cmp_le_u32_e32 vcc, s59, v5
	v_cndmask_b32_e32 v5, v5, v9, vcc
	v_cndmask_b32_e32 v3, v3, v7, vcc
	v_add_u32_e32 v7, 1, v3
	v_cmp_le_u32_e32 vcc, s59, v5
	v_cndmask_b32_e32 v20, v3, v7, vcc
.LBB24_47:                              ;   in Loop: Header=BB24_23 Depth=2
	s_or_b64 exec, exec, s[0:1]
	s_add_u32 s0, s43, s28
	s_addc_u32 s1, s44, s29
	s_add_i32 s16, s26, 1
	s_lshl_b64 s[28:29], s[16:17], 2
	s_add_u32 s30, s39, s28
	s_addc_u32 s31, s40, s29
	s_load_dword s16, s[30:31], 0x0
	s_load_dword s61, s[0:1], 0x0
                                        ; implicit-def: $vgpr22_vgpr23
	s_waitcnt lgkmcnt(0)
	s_ashr_i32 s0, s16, 31
	v_or_b32_e32 v3, s0, v21
	v_cmp_ne_u64_e32 vcc, 0, v[2:3]
	s_and_saveexec_b64 s[30:31], vcc
	s_xor_b64 s[30:31], exec, s[30:31]
	s_cbranch_execz .LBB24_49
; %bb.48:                               ;   in Loop: Header=BB24_23 Depth=2
	s_add_u32 s36, s16, s0
	s_mov_b32 s34, s0
	s_mov_b32 s35, s0
	s_addc_u32 s37, s0, s0
	s_xor_b64 s[36:37], s[36:37], s[34:35]
	v_cvt_f32_u32_e32 v3, s36
	v_cvt_f32_u32_e32 v5, s37
	s_sub_u32 s0, 0, s36
	s_subb_u32 s1, 0, s37
	v_mac_f32_e32 v3, 0x4f800000, v5
	v_rcp_f32_e32 v3, v3
	v_mul_f32_e32 v3, 0x5f7ffffc, v3
	v_mul_f32_e32 v5, 0x2f800000, v3
	v_trunc_f32_e32 v5, v5
	v_mac_f32_e32 v3, 0xcf800000, v5
	v_cvt_u32_f32_e32 v5, v5
	v_cvt_u32_f32_e32 v3, v3
	v_mul_lo_u32 v7, s0, v5
	v_mul_hi_u32 v11, s0, v3
	v_mul_lo_u32 v9, s1, v3
	v_add_u32_e32 v7, v11, v7
	v_mul_lo_u32 v13, s0, v3
	v_add_u32_e32 v7, v7, v9
	v_mul_lo_u32 v11, v3, v7
	v_mul_hi_u32 v15, v3, v13
	v_mul_hi_u32 v9, v3, v7
	v_add_co_u32_e32 v11, vcc, v15, v11
	v_addc_co_u32_e32 v9, vcc, 0, v9, vcc
	v_mul_hi_u32 v17, v5, v13
	v_mul_lo_u32 v13, v5, v13
	v_add_co_u32_e32 v11, vcc, v11, v13
	v_mul_hi_u32 v15, v5, v7
	v_addc_co_u32_e32 v9, vcc, v9, v17, vcc
	v_addc_co_u32_e32 v11, vcc, 0, v15, vcc
	v_mul_lo_u32 v7, v5, v7
	v_add_co_u32_e32 v7, vcc, v9, v7
	v_addc_co_u32_e32 v9, vcc, 0, v11, vcc
	v_add_co_u32_e32 v3, vcc, v3, v7
	v_addc_co_u32_e32 v5, vcc, v5, v9, vcc
	v_mul_lo_u32 v7, s0, v5
	v_mul_hi_u32 v9, s0, v3
	v_add_u32_e32 v7, v9, v7
	v_mul_lo_u32 v9, s1, v3
	v_add_u32_e32 v7, v7, v9
	v_mul_lo_u32 v11, s0, v3
	v_mul_hi_u32 v13, v5, v11
	v_mul_lo_u32 v15, v5, v11
	v_mul_lo_u32 v19, v3, v7
	v_mul_hi_u32 v11, v3, v11
	v_mul_hi_u32 v17, v3, v7
	v_add_co_u32_e32 v11, vcc, v11, v19
	v_addc_co_u32_e32 v17, vcc, 0, v17, vcc
	v_add_co_u32_e32 v11, vcc, v11, v15
	v_mul_hi_u32 v9, v5, v7
	v_addc_co_u32_e32 v11, vcc, v17, v13, vcc
	v_addc_co_u32_e32 v9, vcc, 0, v9, vcc
	v_mul_lo_u32 v7, v5, v7
	v_add_co_u32_e32 v7, vcc, v11, v7
	v_addc_co_u32_e32 v9, vcc, 0, v9, vcc
	v_add_co_u32_e32 v3, vcc, v3, v7
	v_addc_co_u32_e32 v5, vcc, v5, v9, vcc
	v_ashrrev_i32_e32 v7, 31, v21
	v_add_co_u32_e32 v9, vcc, v20, v7
	v_xor_b32_e32 v9, v9, v7
	v_addc_co_u32_e32 v11, vcc, v21, v7, vcc
	v_mad_u64_u32 v[22:23], s[0:1], v9, v5, 0
	v_mul_hi_u32 v13, v9, v3
	v_xor_b32_e32 v11, v11, v7
	v_add_co_u32_e32 v13, vcc, v13, v22
	v_addc_co_u32_e32 v15, vcc, 0, v23, vcc
	v_mad_u64_u32 v[24:25], s[0:1], v11, v3, 0
	v_add_co_u32_e32 v3, vcc, v13, v24
	v_mad_u64_u32 v[22:23], s[0:1], v11, v5, 0
	v_addc_co_u32_e32 v3, vcc, v15, v25, vcc
	v_addc_co_u32_e32 v5, vcc, 0, v23, vcc
	v_add_co_u32_e32 v3, vcc, v3, v22
	v_addc_co_u32_e32 v5, vcc, 0, v5, vcc
	v_mul_lo_u32 v13, s37, v3
	v_mul_lo_u32 v15, s36, v5
	v_mad_u64_u32 v[22:23], s[0:1], s36, v3, 0
	v_add3_u32 v13, v23, v15, v13
	v_sub_u32_e32 v15, v11, v13
	v_mov_b32_e32 v17, s37
	v_sub_co_u32_e32 v9, vcc, v9, v22
	v_subb_co_u32_e64 v15, s[0:1], v15, v17, vcc
	v_subrev_co_u32_e64 v17, s[0:1], s36, v9
	v_subbrev_co_u32_e64 v15, s[0:1], 0, v15, s[0:1]
	v_cmp_le_u32_e64 s[0:1], s37, v15
	v_cndmask_b32_e64 v19, 0, -1, s[0:1]
	v_cmp_le_u32_e64 s[0:1], s36, v17
	v_cndmask_b32_e64 v17, 0, -1, s[0:1]
	v_cmp_eq_u32_e64 s[0:1], s37, v15
	v_cndmask_b32_e64 v15, v19, v17, s[0:1]
	v_add_co_u32_e64 v17, s[0:1], 2, v3
	v_subb_co_u32_e32 v11, vcc, v11, v13, vcc
	v_addc_co_u32_e64 v19, s[0:1], 0, v5, s[0:1]
	v_cmp_le_u32_e32 vcc, s37, v11
	v_add_co_u32_e64 v21, s[0:1], 1, v3
	v_cndmask_b32_e64 v13, 0, -1, vcc
	v_cmp_le_u32_e32 vcc, s36, v9
	v_addc_co_u32_e64 v22, s[0:1], 0, v5, s[0:1]
	v_cndmask_b32_e64 v9, 0, -1, vcc
	v_cmp_eq_u32_e32 vcc, s37, v11
	v_cmp_ne_u32_e64 s[0:1], 0, v15
	v_cndmask_b32_e32 v9, v13, v9, vcc
	v_cmp_ne_u32_e32 vcc, 0, v9
	v_cndmask_b32_e64 v9, v21, v17, s[0:1]
	v_cndmask_b32_e64 v15, v22, v19, s[0:1]
	v_cndmask_b32_e32 v3, v3, v9, vcc
	v_xor_b32_e32 v9, s35, v7
	v_xor_b32_e32 v7, s34, v7
	v_cndmask_b32_e32 v5, v5, v15, vcc
	v_xor_b32_e32 v3, v3, v7
	v_xor_b32_e32 v5, v5, v9
	v_sub_co_u32_e32 v22, vcc, v3, v7
	v_subb_co_u32_e32 v23, vcc, v5, v9, vcc
.LBB24_49:                              ;   in Loop: Header=BB24_23 Depth=2
	s_andn2_saveexec_b64 s[0:1], s[30:31]
	s_cbranch_execz .LBB24_51
; %bb.50:                               ;   in Loop: Header=BB24_23 Depth=2
	v_cvt_f32_u32_e32 v3, s16
	s_sub_i32 s27, 0, s16
	v_mov_b32_e32 v23, v2
	v_rcp_iflag_f32_e32 v3, v3
	v_mul_f32_e32 v3, 0x4f7ffffe, v3
	v_cvt_u32_f32_e32 v3, v3
	v_mul_lo_u32 v5, s27, v3
	v_mul_hi_u32 v5, v3, v5
	v_add_u32_e32 v3, v3, v5
	v_mul_hi_u32 v3, v20, v3
	v_mul_lo_u32 v5, v3, s16
	v_sub_u32_e32 v5, v20, v5
	v_add_u32_e32 v7, 1, v3
	v_subrev_u32_e32 v9, s16, v5
	v_cmp_le_u32_e32 vcc, s16, v5
	v_cndmask_b32_e32 v5, v5, v9, vcc
	v_cndmask_b32_e32 v3, v3, v7, vcc
	v_add_u32_e32 v7, 1, v3
	v_cmp_le_u32_e32 vcc, s16, v5
	v_cndmask_b32_e32 v22, v3, v7, vcc
.LBB24_51:                              ;   in Loop: Header=BB24_23 Depth=2
	s_or_b64 exec, exec, s[0:1]
	s_add_u32 s0, s43, s28
	s_mov_b32 s27, s17
	s_addc_u32 s1, s44, s29
	s_lshl_b64 s[28:29], s[26:27], 2
	s_add_u32 s30, s39, s28
	s_addc_u32 s31, s40, s29
	s_load_dword s27, s[30:31], 0x0
	s_load_dword s62, s[0:1], 0x0
                                        ; implicit-def: $vgpr24_vgpr25
	s_waitcnt lgkmcnt(0)
	s_ashr_i32 s0, s27, 31
	v_or_b32_e32 v3, s0, v23
	v_cmp_ne_u64_e32 vcc, 0, v[2:3]
	s_and_saveexec_b64 s[30:31], vcc
	s_xor_b64 s[30:31], exec, s[30:31]
	s_cbranch_execz .LBB24_53
; %bb.52:                               ;   in Loop: Header=BB24_23 Depth=2
	s_add_u32 s36, s27, s0
	s_mov_b32 s34, s0
	s_mov_b32 s35, s0
	s_addc_u32 s37, s0, s0
	s_xor_b64 s[36:37], s[36:37], s[34:35]
	v_cvt_f32_u32_e32 v3, s36
	v_cvt_f32_u32_e32 v5, s37
	s_sub_u32 s0, 0, s36
	s_subb_u32 s1, 0, s37
	v_mac_f32_e32 v3, 0x4f800000, v5
	v_rcp_f32_e32 v3, v3
	v_mul_f32_e32 v3, 0x5f7ffffc, v3
	v_mul_f32_e32 v5, 0x2f800000, v3
	v_trunc_f32_e32 v5, v5
	v_mac_f32_e32 v3, 0xcf800000, v5
	v_cvt_u32_f32_e32 v5, v5
	v_cvt_u32_f32_e32 v3, v3
	v_mul_lo_u32 v7, s0, v5
	v_mul_hi_u32 v11, s0, v3
	v_mul_lo_u32 v9, s1, v3
	v_add_u32_e32 v7, v11, v7
	v_mul_lo_u32 v13, s0, v3
	v_add_u32_e32 v7, v7, v9
	v_mul_lo_u32 v11, v3, v7
	v_mul_hi_u32 v15, v3, v13
	v_mul_hi_u32 v9, v3, v7
	v_add_co_u32_e32 v11, vcc, v15, v11
	v_addc_co_u32_e32 v9, vcc, 0, v9, vcc
	v_mul_hi_u32 v17, v5, v13
	v_mul_lo_u32 v13, v5, v13
	v_add_co_u32_e32 v11, vcc, v11, v13
	v_mul_hi_u32 v15, v5, v7
	v_addc_co_u32_e32 v9, vcc, v9, v17, vcc
	v_addc_co_u32_e32 v11, vcc, 0, v15, vcc
	v_mul_lo_u32 v7, v5, v7
	v_add_co_u32_e32 v7, vcc, v9, v7
	v_addc_co_u32_e32 v9, vcc, 0, v11, vcc
	v_add_co_u32_e32 v3, vcc, v3, v7
	v_addc_co_u32_e32 v5, vcc, v5, v9, vcc
	v_mul_lo_u32 v7, s0, v5
	v_mul_hi_u32 v9, s0, v3
	v_add_u32_e32 v7, v9, v7
	v_mul_lo_u32 v9, s1, v3
	v_add_u32_e32 v7, v7, v9
	v_mul_lo_u32 v11, s0, v3
	v_mul_hi_u32 v13, v5, v11
	v_mul_lo_u32 v15, v5, v11
	v_mul_lo_u32 v19, v3, v7
	v_mul_hi_u32 v11, v3, v11
	v_mul_hi_u32 v17, v3, v7
	v_add_co_u32_e32 v11, vcc, v11, v19
	v_addc_co_u32_e32 v17, vcc, 0, v17, vcc
	v_add_co_u32_e32 v11, vcc, v11, v15
	v_mul_hi_u32 v9, v5, v7
	v_addc_co_u32_e32 v11, vcc, v17, v13, vcc
	v_addc_co_u32_e32 v9, vcc, 0, v9, vcc
	v_mul_lo_u32 v7, v5, v7
	v_add_co_u32_e32 v7, vcc, v11, v7
	v_addc_co_u32_e32 v9, vcc, 0, v9, vcc
	v_add_co_u32_e32 v3, vcc, v3, v7
	v_addc_co_u32_e32 v5, vcc, v5, v9, vcc
	v_ashrrev_i32_e32 v7, 31, v23
	v_add_co_u32_e32 v9, vcc, v22, v7
	v_xor_b32_e32 v9, v9, v7
	v_addc_co_u32_e32 v11, vcc, v23, v7, vcc
	v_mad_u64_u32 v[24:25], s[0:1], v9, v5, 0
	v_mul_hi_u32 v13, v9, v3
	v_xor_b32_e32 v11, v11, v7
	v_add_co_u32_e32 v13, vcc, v13, v24
	v_addc_co_u32_e32 v15, vcc, 0, v25, vcc
	v_mad_u64_u32 v[30:31], s[0:1], v11, v3, 0
	v_add_co_u32_e32 v3, vcc, v13, v30
	v_mad_u64_u32 v[24:25], s[0:1], v11, v5, 0
	v_addc_co_u32_e32 v3, vcc, v15, v31, vcc
	v_addc_co_u32_e32 v5, vcc, 0, v25, vcc
	v_add_co_u32_e32 v3, vcc, v3, v24
	v_addc_co_u32_e32 v5, vcc, 0, v5, vcc
	v_mul_lo_u32 v13, s37, v3
	v_mul_lo_u32 v15, s36, v5
	v_mad_u64_u32 v[24:25], s[0:1], s36, v3, 0
	v_add3_u32 v13, v25, v15, v13
	v_sub_u32_e32 v15, v11, v13
	v_mov_b32_e32 v17, s37
	v_sub_co_u32_e32 v9, vcc, v9, v24
	v_subb_co_u32_e64 v15, s[0:1], v15, v17, vcc
	v_subrev_co_u32_e64 v17, s[0:1], s36, v9
	v_subbrev_co_u32_e64 v15, s[0:1], 0, v15, s[0:1]
	v_cmp_le_u32_e64 s[0:1], s37, v15
	v_cndmask_b32_e64 v19, 0, -1, s[0:1]
	v_cmp_le_u32_e64 s[0:1], s36, v17
	v_cndmask_b32_e64 v17, 0, -1, s[0:1]
	v_cmp_eq_u32_e64 s[0:1], s37, v15
	v_cndmask_b32_e64 v15, v19, v17, s[0:1]
	v_add_co_u32_e64 v17, s[0:1], 2, v3
	v_subb_co_u32_e32 v11, vcc, v11, v13, vcc
	v_addc_co_u32_e64 v19, s[0:1], 0, v5, s[0:1]
	v_cmp_le_u32_e32 vcc, s37, v11
	v_add_co_u32_e64 v21, s[0:1], 1, v3
	v_cndmask_b32_e64 v13, 0, -1, vcc
	v_cmp_le_u32_e32 vcc, s36, v9
	v_addc_co_u32_e64 v23, s[0:1], 0, v5, s[0:1]
	v_cndmask_b32_e64 v9, 0, -1, vcc
	v_cmp_eq_u32_e32 vcc, s37, v11
	v_cmp_ne_u32_e64 s[0:1], 0, v15
	v_cndmask_b32_e32 v9, v13, v9, vcc
	v_cmp_ne_u32_e32 vcc, 0, v9
	v_cndmask_b32_e64 v9, v21, v17, s[0:1]
	v_cndmask_b32_e64 v15, v23, v19, s[0:1]
	v_cndmask_b32_e32 v3, v3, v9, vcc
	v_xor_b32_e32 v9, s35, v7
	v_xor_b32_e32 v7, s34, v7
	v_cndmask_b32_e32 v5, v5, v15, vcc
	v_xor_b32_e32 v3, v3, v7
	v_xor_b32_e32 v5, v5, v9
	v_sub_co_u32_e32 v24, vcc, v3, v7
	v_subb_co_u32_e32 v25, vcc, v5, v9, vcc
.LBB24_53:                              ;   in Loop: Header=BB24_23 Depth=2
	s_andn2_saveexec_b64 s[0:1], s[30:31]
	s_cbranch_execz .LBB24_55
; %bb.54:                               ;   in Loop: Header=BB24_23 Depth=2
	v_cvt_f32_u32_e32 v3, s27
	s_sub_i32 s30, 0, s27
	v_mov_b32_e32 v25, v2
	v_rcp_iflag_f32_e32 v3, v3
	v_mul_f32_e32 v3, 0x4f7ffffe, v3
	v_cvt_u32_f32_e32 v3, v3
	v_mul_lo_u32 v5, s30, v3
	v_mul_hi_u32 v5, v3, v5
	v_add_u32_e32 v3, v3, v5
	v_mul_hi_u32 v3, v22, v3
	v_mul_lo_u32 v5, v3, s27
	v_sub_u32_e32 v5, v22, v5
	v_add_u32_e32 v7, 1, v3
	v_subrev_u32_e32 v9, s27, v5
	v_cmp_le_u32_e32 vcc, s27, v5
	v_cndmask_b32_e32 v5, v5, v9, vcc
	v_cndmask_b32_e32 v3, v3, v7, vcc
	v_add_u32_e32 v7, 1, v3
	v_cmp_le_u32_e32 vcc, s27, v5
	v_cndmask_b32_e32 v24, v3, v7, vcc
.LBB24_55:                              ;   in Loop: Header=BB24_23 Depth=2
	s_or_b64 exec, exec, s[0:1]
	v_mul_lo_u32 v3, v10, s50
	v_mul_lo_u32 v5, v12, s51
	v_sub_u32_e32 v3, v8, v3
	v_sub_u32_e32 v5, v10, v5
	v_mul_lo_u32 v3, s52, v3
	v_mul_lo_u32 v5, s54, v5
	v_add3_u32 v3, v3, v6, v5
	v_mul_lo_u32 v5, v14, s53
	v_mul_lo_u32 v6, v16, s55
	v_sub_u32_e32 v5, v12, v5
	v_sub_u32_e32 v6, v14, v6
	s_add_u32 s0, s43, s28
	v_mul_lo_u32 v5, s56, v5
	v_mul_lo_u32 v6, s58, v6
	s_addc_u32 s1, s44, s29
	v_add3_u32 v3, v5, v3, v6
	v_mul_lo_u32 v5, v18, s57
	v_mul_lo_u32 v6, v20, s59
	s_load_dword s0, s[0:1], 0x0
	v_sub_u32_e32 v5, v16, v5
	v_sub_u32_e32 v6, v18, v6
	v_mul_lo_u32 v5, s60, v5
	v_mul_lo_u32 v6, s61, v6
	v_add3_u32 v3, v5, v3, v6
	v_mul_lo_u32 v5, v22, s16
	v_mul_lo_u32 v6, v24, s27
	v_sub_u32_e32 v5, v20, v5
	v_sub_u32_e32 v6, v22, v6
	v_mul_lo_u32 v5, s62, v5
	s_waitcnt lgkmcnt(0)
	v_mul_lo_u32 v6, s0, v6
	s_add_i32 s26, s26, -8
	s_cmp_eq_u32 s26, -8
	v_add3_u32 v6, v5, v3, v6
	s_cbranch_scc1 .LBB24_57
; %bb.56:                               ;   in Loop: Header=BB24_23 Depth=2
	v_pk_mov_b32 v[8:9], v[24:25], v[24:25] op_sel:[0,1]
	s_branch .LBB24_23
.LBB24_57:                              ;   in Loop: Header=BB24_3 Depth=1
	s_load_dword s16, s[14:15], 0x0
	s_waitcnt lgkmcnt(0)
	v_cmp_gt_i32_e32 vcc, s16, v28
	s_and_b64 exec, exec, vcc
	s_cbranch_execz .LBB24_2
; %bb.58:                               ;   in Loop: Header=BB24_3 Depth=1
	v_ashrrev_i32_e32 v5, 31, v4
	v_cmp_lt_i64_e32 vcc, s[8:9], v[4:5]
	s_and_saveexec_b64 s[0:1], vcc
	s_cbranch_execz .LBB24_60
; %bb.59:                               ;   in Loop: Header=BB24_3 Depth=1
	v_ashrrev_i32_e32 v7, 31, v6
	v_lshlrev_b64 v[4:5], 2, v[6:7]
	v_mov_b32_e32 v3, s3
	v_add_co_u32_e32 v4, vcc, s2, v4
	v_addc_co_u32_e32 v5, vcc, v3, v5, vcc
	global_store_dword v[4:5], v2, off
.LBB24_60:                              ;   in Loop: Header=BB24_3 Depth=1
	s_or_b64 exec, exec, s[0:1]
	v_add_u32_e32 v3, 1, v28
	v_cmp_gt_i32_e32 vcc, s16, v3
	s_and_b64 exec, exec, vcc
	s_cbranch_execz .LBB24_2
; %bb.61:                               ;   in Loop: Header=BB24_3 Depth=1
	v_sub_u32_e32 v4, v3, v27
	v_ashrrev_i32_e32 v5, 31, v4
	v_cmp_lt_i64_e32 vcc, s[8:9], v[4:5]
	s_and_b64 exec, exec, vcc
	s_cbranch_execz .LBB24_2
; %bb.62:                               ;   in Loop: Header=BB24_3 Depth=1
	v_add_u32_e32 v4, s49, v6
	v_ashrrev_i32_e32 v5, 31, v4
	v_lshlrev_b64 v[4:5], 2, v[4:5]
	v_mov_b32_e32 v3, s3
	v_add_co_u32_e32 v4, vcc, s2, v4
	v_addc_co_u32_e32 v5, vcc, v3, v5, vcc
	global_store_dword v[4:5], v2, off
	s_branch .LBB24_2
.LBB24_63:
	s_endpgm
	.section	.rodata,"a",@progbits
	.p2align	6, 0x0
	.amdhsa_kernel _ZN2at6native16triu_tril_kernelIfiLb0ELi2ELb1EEEvNS_4cuda6detail10TensorInfoIT_T0_EENS4_IKS5_S6_EEllS6_
		.amdhsa_group_segment_fixed_size 0
		.amdhsa_private_segment_fixed_size 0
		.amdhsa_kernarg_size 712
		.amdhsa_user_sgpr_count 6
		.amdhsa_user_sgpr_private_segment_buffer 1
		.amdhsa_user_sgpr_dispatch_ptr 0
		.amdhsa_user_sgpr_queue_ptr 0
		.amdhsa_user_sgpr_kernarg_segment_ptr 1
		.amdhsa_user_sgpr_dispatch_id 0
		.amdhsa_user_sgpr_flat_scratch_init 0
		.amdhsa_user_sgpr_kernarg_preload_length 0
		.amdhsa_user_sgpr_kernarg_preload_offset 0
		.amdhsa_user_sgpr_private_segment_size 0
		.amdhsa_uses_dynamic_stack 0
		.amdhsa_system_sgpr_private_segment_wavefront_offset 0
		.amdhsa_system_sgpr_workgroup_id_x 1
		.amdhsa_system_sgpr_workgroup_id_y 0
		.amdhsa_system_sgpr_workgroup_id_z 0
		.amdhsa_system_sgpr_workgroup_info 0
		.amdhsa_system_vgpr_workitem_id 0
		.amdhsa_next_free_vgpr 32
		.amdhsa_next_free_sgpr 63
		.amdhsa_accum_offset 32
		.amdhsa_reserve_vcc 1
		.amdhsa_reserve_flat_scratch 0
		.amdhsa_float_round_mode_32 0
		.amdhsa_float_round_mode_16_64 0
		.amdhsa_float_denorm_mode_32 3
		.amdhsa_float_denorm_mode_16_64 3
		.amdhsa_dx10_clamp 1
		.amdhsa_ieee_mode 1
		.amdhsa_fp16_overflow 0
		.amdhsa_tg_split 0
		.amdhsa_exception_fp_ieee_invalid_op 0
		.amdhsa_exception_fp_denorm_src 0
		.amdhsa_exception_fp_ieee_div_zero 0
		.amdhsa_exception_fp_ieee_overflow 0
		.amdhsa_exception_fp_ieee_underflow 0
		.amdhsa_exception_fp_ieee_inexact 0
		.amdhsa_exception_int_div_zero 0
	.end_amdhsa_kernel
	.section	.text._ZN2at6native16triu_tril_kernelIfiLb0ELi2ELb1EEEvNS_4cuda6detail10TensorInfoIT_T0_EENS4_IKS5_S6_EEllS6_,"axG",@progbits,_ZN2at6native16triu_tril_kernelIfiLb0ELi2ELb1EEEvNS_4cuda6detail10TensorInfoIT_T0_EENS4_IKS5_S6_EEllS6_,comdat
.Lfunc_end24:
	.size	_ZN2at6native16triu_tril_kernelIfiLb0ELi2ELb1EEEvNS_4cuda6detail10TensorInfoIT_T0_EENS4_IKS5_S6_EEllS6_, .Lfunc_end24-_ZN2at6native16triu_tril_kernelIfiLb0ELi2ELb1EEEvNS_4cuda6detail10TensorInfoIT_T0_EENS4_IKS5_S6_EEllS6_
                                        ; -- End function
	.section	.AMDGPU.csdata,"",@progbits
; Kernel info:
; codeLenInByte = 10136
; NumSgprs: 67
; NumVgprs: 32
; NumAgprs: 0
; TotalNumVgprs: 32
; ScratchSize: 0
; MemoryBound: 0
; FloatMode: 240
; IeeeMode: 1
; LDSByteSize: 0 bytes/workgroup (compile time only)
; SGPRBlocks: 8
; VGPRBlocks: 3
; NumSGPRsForWavesPerEU: 67
; NumVGPRsForWavesPerEU: 32
; AccumOffset: 32
; Occupancy: 8
; WaveLimiterHint : 0
; COMPUTE_PGM_RSRC2:SCRATCH_EN: 0
; COMPUTE_PGM_RSRC2:USER_SGPR: 6
; COMPUTE_PGM_RSRC2:TRAP_HANDLER: 0
; COMPUTE_PGM_RSRC2:TGID_X_EN: 1
; COMPUTE_PGM_RSRC2:TGID_Y_EN: 0
; COMPUTE_PGM_RSRC2:TGID_Z_EN: 0
; COMPUTE_PGM_RSRC2:TIDIG_COMP_CNT: 0
; COMPUTE_PGM_RSRC3_GFX90A:ACCUM_OFFSET: 7
; COMPUTE_PGM_RSRC3_GFX90A:TG_SPLIT: 0
	.section	.text._ZN2at6native16triu_tril_kernelIfiLb0ELi2ELb0EEEvNS_4cuda6detail10TensorInfoIT_T0_EENS4_IKS5_S6_EEllS6_,"axG",@progbits,_ZN2at6native16triu_tril_kernelIfiLb0ELi2ELb0EEEvNS_4cuda6detail10TensorInfoIT_T0_EENS4_IKS5_S6_EEllS6_,comdat
	.protected	_ZN2at6native16triu_tril_kernelIfiLb0ELi2ELb0EEEvNS_4cuda6detail10TensorInfoIT_T0_EENS4_IKS5_S6_EEllS6_ ; -- Begin function _ZN2at6native16triu_tril_kernelIfiLb0ELi2ELb0EEEvNS_4cuda6detail10TensorInfoIT_T0_EENS4_IKS5_S6_EEllS6_
	.globl	_ZN2at6native16triu_tril_kernelIfiLb0ELi2ELb0EEEvNS_4cuda6detail10TensorInfoIT_T0_EENS4_IKS5_S6_EEllS6_
	.p2align	8
	.type	_ZN2at6native16triu_tril_kernelIfiLb0ELi2ELb0EEEvNS_4cuda6detail10TensorInfoIT_T0_EENS4_IKS5_S6_EEllS6_,@function
_ZN2at6native16triu_tril_kernelIfiLb0ELi2ELb0EEEvNS_4cuda6detail10TensorInfoIT_T0_EENS4_IKS5_S6_EEllS6_: ; @_ZN2at6native16triu_tril_kernelIfiLb0ELi2ELb0EEEvNS_4cuda6detail10TensorInfoIT_T0_EENS4_IKS5_S6_EEllS6_
; %bb.0:
	s_load_dword s2, s[4:5], 0x1d4
	s_load_dwordx4 s[8:11], s[4:5], 0x1b0
	s_add_u32 s0, s4, 0x1c8
	v_mov_b32_e32 v2, 0
	s_addc_u32 s1, s5, 0
	s_waitcnt lgkmcnt(0)
	s_and_b32 s2, s2, 0xffff
	v_mov_b32_e32 v1, v2
	v_mov_b32_e32 v3, s6
	v_mad_u64_u32 v[0:1], s[6:7], s2, v3, v[0:1]
	v_lshlrev_b64 v[0:1], 1, v[0:1]
	v_cmp_gt_i64_e32 vcc, s[10:11], v[0:1]
	s_and_saveexec_b64 s[6:7], vcc
	s_cbranch_execz .LBB25_52
; %bb.1:
	s_load_dword s20, s[4:5], 0x1a8
	s_add_u32 s33, s4, 0xd8
	s_addc_u32 s46, s5, 0
	s_load_dword s3, s[0:1], 0x0
	s_load_dwordx2 s[6:7], s[4:5], 0xd8
	s_mov_b32 s22, s8
	s_waitcnt lgkmcnt(0)
	s_ashr_i32 s21, s20, 31
	s_lshl_b64 s[0:1], s[20:21], 2
	s_add_u32 s18, s0, -8
	s_addc_u32 s19, s1, -1
	s_add_u32 s0, s33, s18
	s_addc_u32 s1, s46, s19
	s_load_dwordx2 s[12:13], s[0:1], 0x8
	s_load_dword s47, s[4:5], 0x1c0
	s_load_dwordx2 s[16:17], s[0:1], 0x6c
	s_mul_i32 s3, s3, s2
	v_cmp_gt_i64_e64 s[14:15], s[20:21], 2
	s_waitcnt lgkmcnt(0)
	s_ashr_i32 s48, s12, 31
	v_cvt_f32_u32_e32 v3, s47
	s_ashr_i32 s49, s47, 31
	s_add_u32 s50, s4, 0x6c
	s_addc_u32 s51, s5, 0
	s_add_u32 s0, s50, s18
	v_rcp_iflag_f32_e32 v3, v3
	s_addc_u32 s1, s51, s19
	s_load_dwordx2 s[18:19], s[0:1], 0x0
	s_add_i32 s52, s20, -3
	s_load_dwordx2 s[4:5], s[4:5], 0x0
	s_lshl_b32 s53, s3, 1
	s_and_b32 s55, s20, 3
	v_mul_f32_e32 v3, 0x4f7ffffe, v3
	s_cmp_lg_u32 s55, 2
	v_cvt_u32_f32_e32 v22, v3
	s_cselect_b64 s[26:27], -1, 0
	s_cmp_gt_u32 s52, 2
	s_mov_b32 s21, 0
	s_cselect_b64 s[28:29], -1, 0
	s_ashr_i32 s1, s17, 31
	s_mov_b32 s0, s17
	s_waitcnt lgkmcnt(0)
	s_ashr_i32 s3, s19, 31
	s_mov_b32 s2, s19
	s_mov_b32 s54, s21
	;; [unrolled: 1-line block ×5, first 2 shown]
	s_mov_b64 s[30:31], 0
	s_lshl_b64 s[34:35], s[0:1], 2
	s_lshl_b64 s[36:37], s[2:3], 2
	s_branch .LBB25_3
.LBB25_2:                               ;   in Loop: Header=BB25_3 Depth=1
	s_or_b64 exec, exec, s[0:1]
	v_mov_b32_e32 v3, s54
	v_add_co_u32_e32 v0, vcc, s53, v0
	v_addc_co_u32_e32 v1, vcc, v1, v3, vcc
	v_cmp_le_i64_e32 vcc, s[10:11], v[0:1]
	s_or_b64 s[30:31], vcc, s[30:31]
	s_andn2_b64 exec, exec, s[30:31]
	s_cbranch_execz .LBB25_52
.LBB25_3:                               ; =>This Loop Header: Depth=1
                                        ;     Child Loop BB25_37 Depth 2
                                        ;     Child Loop BB25_18 Depth 2
	v_or_b32_e32 v3, s49, v1
	v_cmp_ne_u64_e32 vcc, 0, v[2:3]
                                        ; implicit-def: $vgpr4_vgpr5
                                        ; implicit-def: $vgpr14_vgpr15
	s_and_saveexec_b64 s[0:1], vcc
	s_xor_b64 s[38:39], exec, s[0:1]
	s_cbranch_execz .LBB25_5
; %bb.4:                                ;   in Loop: Header=BB25_3 Depth=1
	s_add_u32 s0, s47, s49
	s_mov_b32 s2, s49
	s_mov_b32 s3, s49
	s_addc_u32 s1, s49, s49
	s_xor_b64 s[40:41], s[0:1], s[2:3]
	v_cvt_f32_u32_e32 v3, s40
	v_cvt_f32_u32_e32 v4, s41
	s_sub_u32 s0, 0, s40
	s_subb_u32 s1, 0, s41
	v_mac_f32_e32 v3, 0x4f800000, v4
	v_rcp_f32_e32 v3, v3
	v_mul_f32_e32 v3, 0x5f7ffffc, v3
	v_mul_f32_e32 v4, 0x2f800000, v3
	v_trunc_f32_e32 v4, v4
	v_mac_f32_e32 v3, 0xcf800000, v4
	v_cvt_u32_f32_e32 v4, v4
	v_cvt_u32_f32_e32 v3, v3
	v_mul_lo_u32 v5, s0, v4
	v_mul_hi_u32 v7, s0, v3
	v_mul_lo_u32 v6, s1, v3
	v_add_u32_e32 v5, v7, v5
	v_mul_lo_u32 v8, s0, v3
	v_add_u32_e32 v5, v5, v6
	v_mul_lo_u32 v7, v3, v5
	v_mul_hi_u32 v9, v3, v8
	v_mul_hi_u32 v6, v3, v5
	v_add_co_u32_e32 v7, vcc, v9, v7
	v_addc_co_u32_e32 v6, vcc, 0, v6, vcc
	v_mul_hi_u32 v10, v4, v8
	v_mul_lo_u32 v8, v4, v8
	v_add_co_u32_e32 v7, vcc, v7, v8
	v_mul_hi_u32 v9, v4, v5
	v_addc_co_u32_e32 v6, vcc, v6, v10, vcc
	v_addc_co_u32_e32 v7, vcc, 0, v9, vcc
	v_mul_lo_u32 v5, v4, v5
	v_add_co_u32_e32 v5, vcc, v6, v5
	v_addc_co_u32_e32 v6, vcc, 0, v7, vcc
	v_add_co_u32_e32 v3, vcc, v3, v5
	v_addc_co_u32_e32 v4, vcc, v4, v6, vcc
	v_mul_lo_u32 v5, s0, v4
	v_mul_hi_u32 v6, s0, v3
	v_add_u32_e32 v5, v6, v5
	v_mul_lo_u32 v6, s1, v3
	v_add_u32_e32 v5, v5, v6
	v_mul_lo_u32 v7, s0, v3
	v_mul_hi_u32 v8, v4, v7
	v_mul_lo_u32 v9, v4, v7
	v_mul_lo_u32 v11, v3, v5
	v_mul_hi_u32 v7, v3, v7
	v_mul_hi_u32 v10, v3, v5
	v_add_co_u32_e32 v7, vcc, v7, v11
	v_addc_co_u32_e32 v10, vcc, 0, v10, vcc
	v_add_co_u32_e32 v7, vcc, v7, v9
	v_mul_hi_u32 v6, v4, v5
	v_addc_co_u32_e32 v7, vcc, v10, v8, vcc
	v_addc_co_u32_e32 v6, vcc, 0, v6, vcc
	v_mul_lo_u32 v5, v4, v5
	v_add_co_u32_e32 v5, vcc, v7, v5
	v_addc_co_u32_e32 v6, vcc, 0, v6, vcc
	v_add_co_u32_e32 v3, vcc, v3, v5
	v_addc_co_u32_e32 v6, vcc, v4, v6, vcc
	v_ashrrev_i32_e32 v8, 31, v1
	v_add_co_u32_e32 v4, vcc, v0, v8
	v_addc_co_u32_e32 v5, vcc, v1, v8, vcc
	v_xor_b32_e32 v10, v4, v8
	v_xor_b32_e32 v9, v5, v8
	v_mad_u64_u32 v[4:5], s[0:1], v10, v6, 0
	v_mul_hi_u32 v7, v10, v3
	v_add_co_u32_e32 v11, vcc, v7, v4
	v_addc_co_u32_e32 v12, vcc, 0, v5, vcc
	v_mad_u64_u32 v[4:5], s[0:1], v9, v6, 0
	v_mad_u64_u32 v[6:7], s[0:1], v9, v3, 0
	v_add_co_u32_e32 v3, vcc, v11, v6
	v_addc_co_u32_e32 v3, vcc, v12, v7, vcc
	v_addc_co_u32_e32 v5, vcc, 0, v5, vcc
	v_add_co_u32_e32 v3, vcc, v3, v4
	v_addc_co_u32_e32 v6, vcc, 0, v5, vcc
	v_mul_lo_u32 v7, s41, v3
	v_mul_lo_u32 v11, s40, v6
	v_mad_u64_u32 v[4:5], s[0:1], s40, v3, 0
	v_add3_u32 v5, v5, v11, v7
	v_sub_u32_e32 v7, v9, v5
	v_mov_b32_e32 v11, s41
	v_sub_co_u32_e32 v4, vcc, v10, v4
	v_subb_co_u32_e64 v7, s[0:1], v7, v11, vcc
	v_subrev_co_u32_e64 v10, s[0:1], s40, v4
	v_subbrev_co_u32_e64 v7, s[0:1], 0, v7, s[0:1]
	v_cmp_le_u32_e64 s[0:1], s41, v7
	v_cndmask_b32_e64 v11, 0, -1, s[0:1]
	v_cmp_le_u32_e64 s[0:1], s40, v10
	v_cndmask_b32_e64 v12, 0, -1, s[0:1]
	v_cmp_eq_u32_e64 s[0:1], s41, v7
	v_cndmask_b32_e64 v7, v11, v12, s[0:1]
	v_add_co_u32_e64 v11, s[0:1], 2, v3
	v_addc_co_u32_e64 v12, s[0:1], 0, v6, s[0:1]
	v_add_co_u32_e64 v13, s[0:1], 1, v3
	v_subb_co_u32_e32 v5, vcc, v9, v5, vcc
	v_addc_co_u32_e64 v14, s[0:1], 0, v6, s[0:1]
	v_cmp_le_u32_e32 vcc, s41, v5
	v_cmp_ne_u32_e64 s[0:1], 0, v7
	v_cndmask_b32_e64 v9, 0, -1, vcc
	v_cmp_le_u32_e32 vcc, s40, v4
	v_cndmask_b32_e64 v7, v14, v12, s[0:1]
	v_cndmask_b32_e64 v12, 0, -1, vcc
	v_cmp_eq_u32_e32 vcc, s41, v5
	v_cndmask_b32_e32 v5, v9, v12, vcc
	v_cmp_ne_u32_e32 vcc, 0, v5
	v_cndmask_b32_e32 v5, v6, v7, vcc
	v_cndmask_b32_e64 v6, v13, v11, s[0:1]
	v_cndmask_b32_e32 v3, v3, v6, vcc
	v_xor_b32_e32 v7, s2, v8
	v_xor_b32_e32 v6, s3, v8
	;; [unrolled: 1-line block ×4, first 2 shown]
	v_sub_co_u32_e64 v14, s[2:3], v3, v7
	v_subb_co_u32_e64 v15, s[2:3], v5, v6, s[2:3]
	v_subrev_co_u32_e64 v3, s[2:3], s40, v10
	v_cndmask_b32_e64 v3, v10, v3, s[0:1]
	v_cndmask_b32_e32 v3, v4, v3, vcc
	v_xor_b32_e32 v3, v3, v8
	v_sub_co_u32_e32 v4, vcc, v3, v8
.LBB25_5:                               ;   in Loop: Header=BB25_3 Depth=1
	s_andn2_saveexec_b64 s[2:3], s[38:39]
	s_cbranch_execz .LBB25_7
; %bb.6:                                ;   in Loop: Header=BB25_3 Depth=1
	s_sub_i32 s0, 0, s47
	v_mul_lo_u32 v3, s0, v22
	v_mul_hi_u32 v3, v22, v3
	v_add_u32_e32 v3, v22, v3
	v_mul_hi_u32 v3, v0, v3
	v_mul_lo_u32 v4, v3, s47
	v_sub_u32_e32 v4, v0, v4
	v_subrev_u32_e32 v5, s47, v4
	v_cmp_le_u32_e32 vcc, s47, v4
	v_cndmask_b32_e32 v4, v4, v5, vcc
	v_subrev_u32_e32 v5, s47, v4
	v_cmp_le_u32_e64 s[0:1], s47, v4
	v_cndmask_b32_e64 v4, v4, v5, s[0:1]
	v_add_u32_e32 v5, 1, v3
	v_cndmask_b32_e32 v3, v3, v5, vcc
	v_add_u32_e32 v5, 1, v3
	v_cndmask_b32_e64 v14, v3, v5, s[0:1]
	v_mov_b32_e32 v15, v2
.LBB25_7:                               ;   in Loop: Header=BB25_3 Depth=1
	s_or_b64 exec, exec, s[2:3]
	v_or_b32_e32 v3, s48, v15
	v_cmp_ne_u64_e32 vcc, 0, v[2:3]
                                        ; implicit-def: $vgpr6_vgpr7
	s_and_saveexec_b64 s[0:1], vcc
	s_xor_b64 s[2:3], exec, s[0:1]
	s_cbranch_execz .LBB25_9
; %bb.8:                                ;   in Loop: Header=BB25_3 Depth=1
	s_add_u32 s38, s12, s48
	s_mov_b32 s0, s48
	s_mov_b32 s1, s48
	s_addc_u32 s39, s48, s48
	s_xor_b64 s[38:39], s[38:39], s[0:1]
	v_cvt_f32_u32_e32 v5, s38
	v_cvt_f32_u32_e32 v6, s39
	s_sub_u32 s0, 0, s38
	s_subb_u32 s1, 0, s39
	v_mac_f32_e32 v5, 0x4f800000, v6
	v_rcp_f32_e32 v5, v5
	v_mul_f32_e32 v5, 0x5f7ffffc, v5
	v_mul_f32_e32 v6, 0x2f800000, v5
	v_trunc_f32_e32 v6, v6
	v_mac_f32_e32 v5, 0xcf800000, v6
	v_cvt_u32_f32_e32 v6, v6
	v_cvt_u32_f32_e32 v5, v5
	v_mul_lo_u32 v7, s0, v6
	v_mul_hi_u32 v9, s0, v5
	v_mul_lo_u32 v8, s1, v5
	v_add_u32_e32 v7, v9, v7
	v_mul_lo_u32 v10, s0, v5
	v_add_u32_e32 v7, v7, v8
	v_mul_lo_u32 v9, v5, v7
	v_mul_hi_u32 v11, v5, v10
	v_mul_hi_u32 v8, v5, v7
	v_add_co_u32_e32 v9, vcc, v11, v9
	v_addc_co_u32_e32 v8, vcc, 0, v8, vcc
	v_mul_hi_u32 v12, v6, v10
	v_mul_lo_u32 v10, v6, v10
	v_add_co_u32_e32 v9, vcc, v9, v10
	v_mul_hi_u32 v11, v6, v7
	v_addc_co_u32_e32 v8, vcc, v8, v12, vcc
	v_addc_co_u32_e32 v9, vcc, 0, v11, vcc
	v_mul_lo_u32 v7, v6, v7
	v_add_co_u32_e32 v7, vcc, v8, v7
	v_addc_co_u32_e32 v8, vcc, 0, v9, vcc
	v_add_co_u32_e32 v5, vcc, v5, v7
	v_addc_co_u32_e32 v6, vcc, v6, v8, vcc
	v_mul_lo_u32 v7, s0, v6
	v_mul_hi_u32 v8, s0, v5
	v_add_u32_e32 v7, v8, v7
	v_mul_lo_u32 v8, s1, v5
	v_add_u32_e32 v7, v7, v8
	v_mul_lo_u32 v9, s0, v5
	v_mul_hi_u32 v10, v6, v9
	v_mul_lo_u32 v11, v6, v9
	v_mul_lo_u32 v13, v5, v7
	v_mul_hi_u32 v9, v5, v9
	v_mul_hi_u32 v12, v5, v7
	v_add_co_u32_e32 v9, vcc, v9, v13
	v_addc_co_u32_e32 v12, vcc, 0, v12, vcc
	v_add_co_u32_e32 v9, vcc, v9, v11
	v_mul_hi_u32 v8, v6, v7
	v_addc_co_u32_e32 v9, vcc, v12, v10, vcc
	v_addc_co_u32_e32 v8, vcc, 0, v8, vcc
	v_mul_lo_u32 v7, v6, v7
	v_add_co_u32_e32 v7, vcc, v9, v7
	v_addc_co_u32_e32 v8, vcc, 0, v8, vcc
	v_add_co_u32_e32 v5, vcc, v5, v7
	v_addc_co_u32_e32 v8, vcc, v6, v8, vcc
	v_ashrrev_i32_e32 v10, 31, v15
	v_add_co_u32_e32 v6, vcc, v14, v10
	v_addc_co_u32_e32 v7, vcc, v15, v10, vcc
	v_xor_b32_e32 v12, v6, v10
	v_xor_b32_e32 v11, v7, v10
	v_mad_u64_u32 v[6:7], s[0:1], v12, v8, 0
	v_mul_hi_u32 v9, v12, v5
	v_add_co_u32_e32 v13, vcc, v9, v6
	v_addc_co_u32_e32 v16, vcc, 0, v7, vcc
	v_mad_u64_u32 v[6:7], s[0:1], v11, v8, 0
	v_mad_u64_u32 v[8:9], s[0:1], v11, v5, 0
	v_add_co_u32_e32 v5, vcc, v13, v8
	v_addc_co_u32_e32 v5, vcc, v16, v9, vcc
	v_addc_co_u32_e32 v7, vcc, 0, v7, vcc
	v_add_co_u32_e32 v5, vcc, v5, v6
	v_addc_co_u32_e32 v6, vcc, 0, v7, vcc
	v_mul_lo_u32 v8, s39, v5
	v_mul_lo_u32 v9, s38, v6
	v_mad_u64_u32 v[6:7], s[0:1], s38, v5, 0
	v_add3_u32 v5, v7, v9, v8
	v_sub_u32_e32 v7, v11, v5
	v_mov_b32_e32 v8, s39
	v_sub_co_u32_e32 v6, vcc, v12, v6
	v_subb_co_u32_e64 v7, s[0:1], v7, v8, vcc
	v_subrev_co_u32_e64 v8, s[0:1], s38, v6
	v_subbrev_co_u32_e64 v7, s[0:1], 0, v7, s[0:1]
	v_cmp_le_u32_e64 s[0:1], s39, v7
	v_subb_co_u32_e32 v5, vcc, v11, v5, vcc
	v_cndmask_b32_e64 v9, 0, -1, s[0:1]
	v_cmp_le_u32_e64 s[0:1], s38, v8
	v_cmp_le_u32_e32 vcc, s39, v5
	v_cndmask_b32_e64 v12, 0, -1, s[0:1]
	v_cmp_eq_u32_e64 s[0:1], s39, v7
	v_cndmask_b32_e64 v11, 0, -1, vcc
	v_cmp_le_u32_e32 vcc, s38, v6
	v_cndmask_b32_e64 v7, v9, v12, s[0:1]
	v_cndmask_b32_e64 v12, 0, -1, vcc
	v_cmp_eq_u32_e32 vcc, s39, v5
	v_subrev_co_u32_e64 v9, s[0:1], s38, v8
	v_cndmask_b32_e32 v5, v11, v12, vcc
	v_cmp_ne_u32_e32 vcc, 0, v7
	v_cndmask_b32_e32 v7, v8, v9, vcc
	v_cmp_ne_u32_e32 vcc, 0, v5
	v_cndmask_b32_e32 v5, v6, v7, vcc
	v_xor_b32_e32 v5, v5, v10
	v_sub_co_u32_e32 v6, vcc, v5, v10
.LBB25_9:                               ;   in Loop: Header=BB25_3 Depth=1
	s_andn2_saveexec_b64 s[0:1], s[2:3]
	s_cbranch_execz .LBB25_11
; %bb.10:                               ;   in Loop: Header=BB25_3 Depth=1
	v_cvt_f32_u32_e32 v5, s12
	s_sub_i32 s2, 0, s12
	v_rcp_iflag_f32_e32 v5, v5
	v_mul_f32_e32 v5, 0x4f7ffffe, v5
	v_cvt_u32_f32_e32 v5, v5
	v_mul_lo_u32 v6, s2, v5
	v_mul_hi_u32 v6, v5, v6
	v_add_u32_e32 v5, v5, v6
	v_mul_hi_u32 v5, v14, v5
	v_mul_lo_u32 v5, v5, s12
	v_sub_u32_e32 v5, v14, v5
	v_subrev_u32_e32 v6, s12, v5
	v_cmp_le_u32_e32 vcc, s12, v5
	v_cndmask_b32_e32 v5, v5, v6, vcc
	v_subrev_u32_e32 v6, s12, v5
	v_cmp_le_u32_e32 vcc, s12, v5
	v_cndmask_b32_e32 v6, v5, v6, vcc
.LBB25_11:                              ;   in Loop: Header=BB25_3 Depth=1
	s_or_b64 exec, exec, s[0:1]
	v_mul_lo_u32 v8, s17, v4
	v_mad_u64_u32 v[10:11], s[0:1], s16, v6, v[8:9]
	v_mul_lo_u32 v8, s19, v4
	s_andn2_b64 vcc, exec, s[14:15]
	v_mad_u64_u32 v[8:9], s[0:1], s18, v6, v[8:9]
	s_cbranch_vccnz .LBB25_41
; %bb.12:                               ;   in Loop: Header=BB25_3 Depth=1
	v_cmp_ne_u64_e32 vcc, 0, v[2:3]
                                        ; implicit-def: $vgpr12_vgpr13
	s_and_saveexec_b64 s[0:1], vcc
	s_xor_b64 s[2:3], exec, s[0:1]
	s_cbranch_execz .LBB25_14
; %bb.13:                               ;   in Loop: Header=BB25_3 Depth=1
	s_add_u32 s0, s12, s48
	s_mov_b32 s38, s48
	s_mov_b32 s39, s48
	s_addc_u32 s1, s48, s48
	s_xor_b64 s[40:41], s[0:1], s[38:39]
	v_cvt_f32_u32_e32 v3, s40
	v_cvt_f32_u32_e32 v5, s41
	s_sub_u32 s0, 0, s40
	s_subb_u32 s1, 0, s41
	v_mac_f32_e32 v3, 0x4f800000, v5
	v_rcp_f32_e32 v3, v3
	v_mul_f32_e32 v3, 0x5f7ffffc, v3
	v_mul_f32_e32 v5, 0x2f800000, v3
	v_trunc_f32_e32 v5, v5
	v_mac_f32_e32 v3, 0xcf800000, v5
	v_cvt_u32_f32_e32 v5, v5
	v_cvt_u32_f32_e32 v3, v3
	v_mul_lo_u32 v7, s0, v5
	v_mul_hi_u32 v11, s0, v3
	v_mul_lo_u32 v9, s1, v3
	v_add_u32_e32 v7, v11, v7
	v_mul_lo_u32 v12, s0, v3
	v_add_u32_e32 v7, v7, v9
	v_mul_lo_u32 v11, v3, v7
	v_mul_hi_u32 v13, v3, v12
	v_mul_hi_u32 v9, v3, v7
	v_add_co_u32_e32 v11, vcc, v13, v11
	v_addc_co_u32_e32 v9, vcc, 0, v9, vcc
	v_mul_hi_u32 v16, v5, v12
	v_mul_lo_u32 v12, v5, v12
	v_add_co_u32_e32 v11, vcc, v11, v12
	v_mul_hi_u32 v13, v5, v7
	v_addc_co_u32_e32 v9, vcc, v9, v16, vcc
	v_addc_co_u32_e32 v11, vcc, 0, v13, vcc
	v_mul_lo_u32 v7, v5, v7
	v_add_co_u32_e32 v7, vcc, v9, v7
	v_addc_co_u32_e32 v9, vcc, 0, v11, vcc
	v_add_co_u32_e32 v3, vcc, v3, v7
	v_addc_co_u32_e32 v5, vcc, v5, v9, vcc
	v_mul_lo_u32 v7, s0, v5
	v_mul_hi_u32 v9, s0, v3
	v_add_u32_e32 v7, v9, v7
	v_mul_lo_u32 v9, s1, v3
	v_add_u32_e32 v7, v7, v9
	v_mul_lo_u32 v11, s0, v3
	v_mul_hi_u32 v12, v5, v11
	v_mul_lo_u32 v13, v5, v11
	v_mul_lo_u32 v17, v3, v7
	v_mul_hi_u32 v11, v3, v11
	v_mul_hi_u32 v16, v3, v7
	v_add_co_u32_e32 v11, vcc, v11, v17
	v_addc_co_u32_e32 v16, vcc, 0, v16, vcc
	v_add_co_u32_e32 v11, vcc, v11, v13
	v_mul_hi_u32 v9, v5, v7
	v_addc_co_u32_e32 v11, vcc, v16, v12, vcc
	v_addc_co_u32_e32 v9, vcc, 0, v9, vcc
	v_mul_lo_u32 v7, v5, v7
	v_add_co_u32_e32 v7, vcc, v11, v7
	v_addc_co_u32_e32 v9, vcc, 0, v9, vcc
	v_add_co_u32_e32 v3, vcc, v3, v7
	v_addc_co_u32_e32 v5, vcc, v5, v9, vcc
	v_ashrrev_i32_e32 v7, 31, v15
	v_add_co_u32_e32 v9, vcc, v14, v7
	v_xor_b32_e32 v9, v9, v7
	v_addc_co_u32_e32 v11, vcc, v15, v7, vcc
	v_mad_u64_u32 v[12:13], s[0:1], v9, v5, 0
	v_mul_hi_u32 v14, v9, v3
	v_xor_b32_e32 v11, v11, v7
	v_add_co_u32_e32 v16, vcc, v14, v12
	v_addc_co_u32_e32 v17, vcc, 0, v13, vcc
	v_mad_u64_u32 v[14:15], s[0:1], v11, v3, 0
	v_add_co_u32_e32 v3, vcc, v16, v14
	v_mad_u64_u32 v[12:13], s[0:1], v11, v5, 0
	v_addc_co_u32_e32 v3, vcc, v17, v15, vcc
	v_addc_co_u32_e32 v5, vcc, 0, v13, vcc
	v_add_co_u32_e32 v3, vcc, v3, v12
	v_addc_co_u32_e32 v5, vcc, 0, v5, vcc
	v_mul_lo_u32 v14, s41, v3
	v_mul_lo_u32 v15, s40, v5
	v_mad_u64_u32 v[12:13], s[0:1], s40, v3, 0
	v_add3_u32 v13, v13, v15, v14
	v_sub_u32_e32 v14, v11, v13
	v_mov_b32_e32 v15, s41
	v_sub_co_u32_e32 v9, vcc, v9, v12
	v_subb_co_u32_e64 v12, s[0:1], v14, v15, vcc
	v_subrev_co_u32_e64 v14, s[0:1], s40, v9
	v_subbrev_co_u32_e64 v12, s[0:1], 0, v12, s[0:1]
	v_cmp_le_u32_e64 s[0:1], s41, v12
	v_cndmask_b32_e64 v15, 0, -1, s[0:1]
	v_cmp_le_u32_e64 s[0:1], s40, v14
	v_cndmask_b32_e64 v14, 0, -1, s[0:1]
	v_cmp_eq_u32_e64 s[0:1], s41, v12
	v_cndmask_b32_e64 v12, v15, v14, s[0:1]
	v_add_co_u32_e64 v14, s[0:1], 2, v3
	v_subb_co_u32_e32 v11, vcc, v11, v13, vcc
	v_addc_co_u32_e64 v15, s[0:1], 0, v5, s[0:1]
	v_cmp_le_u32_e32 vcc, s41, v11
	v_add_co_u32_e64 v16, s[0:1], 1, v3
	v_cndmask_b32_e64 v13, 0, -1, vcc
	v_cmp_le_u32_e32 vcc, s40, v9
	v_addc_co_u32_e64 v17, s[0:1], 0, v5, s[0:1]
	v_cndmask_b32_e64 v9, 0, -1, vcc
	v_cmp_eq_u32_e32 vcc, s41, v11
	v_cmp_ne_u32_e64 s[0:1], 0, v12
	v_cndmask_b32_e32 v9, v13, v9, vcc
	v_cmp_ne_u32_e32 vcc, 0, v9
	v_cndmask_b32_e64 v9, v16, v14, s[0:1]
	v_cndmask_b32_e64 v12, v17, v15, s[0:1]
	v_cndmask_b32_e32 v3, v3, v9, vcc
	v_xor_b32_e32 v9, s39, v7
	v_xor_b32_e32 v7, s38, v7
	v_cndmask_b32_e32 v5, v5, v12, vcc
	v_xor_b32_e32 v3, v3, v7
	v_xor_b32_e32 v5, v5, v9
	v_sub_co_u32_e32 v12, vcc, v3, v7
	v_subb_co_u32_e32 v13, vcc, v5, v9, vcc
                                        ; implicit-def: $vgpr14_vgpr15
.LBB25_14:                              ;   in Loop: Header=BB25_3 Depth=1
	s_andn2_saveexec_b64 s[0:1], s[2:3]
	s_cbranch_execz .LBB25_16
; %bb.15:                               ;   in Loop: Header=BB25_3 Depth=1
	v_cvt_f32_u32_e32 v3, s12
	s_sub_i32 s2, 0, s12
	v_mov_b32_e32 v13, v2
	v_rcp_iflag_f32_e32 v3, v3
	v_mul_f32_e32 v3, 0x4f7ffffe, v3
	v_cvt_u32_f32_e32 v3, v3
	v_mul_lo_u32 v5, s2, v3
	v_mul_hi_u32 v5, v3, v5
	v_add_u32_e32 v3, v3, v5
	v_mul_hi_u32 v3, v14, v3
	v_mul_lo_u32 v5, v3, s12
	v_sub_u32_e32 v5, v14, v5
	v_add_u32_e32 v7, 1, v3
	v_subrev_u32_e32 v9, s12, v5
	v_cmp_le_u32_e32 vcc, s12, v5
	v_cndmask_b32_e32 v5, v5, v9, vcc
	v_cndmask_b32_e32 v3, v3, v7, vcc
	v_add_u32_e32 v7, 1, v3
	v_cmp_le_u32_e32 vcc, s12, v5
	v_cndmask_b32_e32 v12, v3, v7, vcc
.LBB25_16:                              ;   in Loop: Header=BB25_3 Depth=1
	s_or_b64 exec, exec, s[0:1]
	s_andn2_b64 vcc, exec, s[26:27]
	s_mov_b32 s56, 1
	s_mov_b32 s20, s52
	s_cbranch_vccz .LBB25_37
.LBB25_17:                              ;   in Loop: Header=BB25_3 Depth=1
	s_and_b64 vcc, exec, s[28:29]
	s_cbranch_vccz .LBB25_41
.LBB25_18:                              ;   Parent Loop BB25_3 Depth=1
                                        ; =>  This Inner Loop Header: Depth=2
	s_lshl_b64 s[2:3], s[20:21], 2
	s_add_u32 s38, s33, s2
	s_addc_u32 s39, s46, s3
	s_load_dword s56, s[38:39], 0x8
                                        ; implicit-def: $vgpr14_vgpr15
	s_waitcnt lgkmcnt(0)
	s_ashr_i32 s0, s56, 31
	v_or_b32_e32 v3, s0, v13
	v_cmp_ne_u64_e32 vcc, 0, v[2:3]
	s_and_saveexec_b64 s[40:41], vcc
	s_xor_b64 s[40:41], exec, s[40:41]
	s_cbranch_execz .LBB25_20
; %bb.19:                               ;   in Loop: Header=BB25_18 Depth=2
	s_add_u32 s44, s56, s0
	s_mov_b32 s42, s0
	s_mov_b32 s43, s0
	s_addc_u32 s45, s0, s0
	s_xor_b64 s[44:45], s[44:45], s[42:43]
	v_cvt_f32_u32_e32 v3, s44
	v_cvt_f32_u32_e32 v5, s45
	s_sub_u32 s0, 0, s44
	s_subb_u32 s1, 0, s45
	v_mac_f32_e32 v3, 0x4f800000, v5
	v_rcp_f32_e32 v3, v3
	v_mul_f32_e32 v3, 0x5f7ffffc, v3
	v_mul_f32_e32 v5, 0x2f800000, v3
	v_trunc_f32_e32 v5, v5
	v_mac_f32_e32 v3, 0xcf800000, v5
	v_cvt_u32_f32_e32 v5, v5
	v_cvt_u32_f32_e32 v3, v3
	v_mul_lo_u32 v7, s0, v5
	v_mul_hi_u32 v11, s0, v3
	v_mul_lo_u32 v9, s1, v3
	v_add_u32_e32 v7, v11, v7
	v_mul_lo_u32 v14, s0, v3
	v_add_u32_e32 v7, v7, v9
	v_mul_lo_u32 v11, v3, v7
	v_mul_hi_u32 v15, v3, v14
	v_mul_hi_u32 v9, v3, v7
	v_add_co_u32_e32 v11, vcc, v15, v11
	v_addc_co_u32_e32 v9, vcc, 0, v9, vcc
	v_mul_hi_u32 v16, v5, v14
	v_mul_lo_u32 v14, v5, v14
	v_add_co_u32_e32 v11, vcc, v11, v14
	v_mul_hi_u32 v15, v5, v7
	v_addc_co_u32_e32 v9, vcc, v9, v16, vcc
	v_addc_co_u32_e32 v11, vcc, 0, v15, vcc
	v_mul_lo_u32 v7, v5, v7
	v_add_co_u32_e32 v7, vcc, v9, v7
	v_addc_co_u32_e32 v9, vcc, 0, v11, vcc
	v_add_co_u32_e32 v3, vcc, v3, v7
	v_addc_co_u32_e32 v5, vcc, v5, v9, vcc
	v_mul_lo_u32 v7, s0, v5
	v_mul_hi_u32 v9, s0, v3
	v_add_u32_e32 v7, v9, v7
	v_mul_lo_u32 v9, s1, v3
	v_add_u32_e32 v7, v7, v9
	v_mul_lo_u32 v11, s0, v3
	v_mul_hi_u32 v14, v5, v11
	v_mul_lo_u32 v15, v5, v11
	v_mul_lo_u32 v17, v3, v7
	v_mul_hi_u32 v11, v3, v11
	v_mul_hi_u32 v16, v3, v7
	v_add_co_u32_e32 v11, vcc, v11, v17
	v_addc_co_u32_e32 v16, vcc, 0, v16, vcc
	v_add_co_u32_e32 v11, vcc, v11, v15
	v_mul_hi_u32 v9, v5, v7
	v_addc_co_u32_e32 v11, vcc, v16, v14, vcc
	v_addc_co_u32_e32 v9, vcc, 0, v9, vcc
	v_mul_lo_u32 v7, v5, v7
	v_add_co_u32_e32 v7, vcc, v11, v7
	v_addc_co_u32_e32 v9, vcc, 0, v9, vcc
	v_add_co_u32_e32 v3, vcc, v3, v7
	v_addc_co_u32_e32 v5, vcc, v5, v9, vcc
	v_ashrrev_i32_e32 v7, 31, v13
	v_add_co_u32_e32 v9, vcc, v12, v7
	v_xor_b32_e32 v9, v9, v7
	v_addc_co_u32_e32 v11, vcc, v13, v7, vcc
	v_mad_u64_u32 v[14:15], s[0:1], v9, v5, 0
	v_mul_hi_u32 v13, v9, v3
	v_xor_b32_e32 v11, v11, v7
	v_add_co_u32_e32 v13, vcc, v13, v14
	v_addc_co_u32_e32 v18, vcc, 0, v15, vcc
	v_mad_u64_u32 v[16:17], s[0:1], v11, v3, 0
	v_add_co_u32_e32 v3, vcc, v13, v16
	v_mad_u64_u32 v[14:15], s[0:1], v11, v5, 0
	v_addc_co_u32_e32 v3, vcc, v18, v17, vcc
	v_addc_co_u32_e32 v5, vcc, 0, v15, vcc
	v_add_co_u32_e32 v3, vcc, v3, v14
	v_addc_co_u32_e32 v5, vcc, 0, v5, vcc
	v_mul_lo_u32 v13, s45, v3
	v_mul_lo_u32 v16, s44, v5
	v_mad_u64_u32 v[14:15], s[0:1], s44, v3, 0
	v_add3_u32 v13, v15, v16, v13
	v_sub_u32_e32 v15, v11, v13
	v_mov_b32_e32 v16, s45
	v_sub_co_u32_e32 v9, vcc, v9, v14
	v_subb_co_u32_e64 v14, s[0:1], v15, v16, vcc
	v_subrev_co_u32_e64 v15, s[0:1], s44, v9
	v_subbrev_co_u32_e64 v14, s[0:1], 0, v14, s[0:1]
	v_cmp_le_u32_e64 s[0:1], s45, v14
	v_cndmask_b32_e64 v16, 0, -1, s[0:1]
	v_cmp_le_u32_e64 s[0:1], s44, v15
	v_cndmask_b32_e64 v15, 0, -1, s[0:1]
	v_cmp_eq_u32_e64 s[0:1], s45, v14
	v_cndmask_b32_e64 v14, v16, v15, s[0:1]
	v_add_co_u32_e64 v15, s[0:1], 2, v3
	v_subb_co_u32_e32 v11, vcc, v11, v13, vcc
	v_addc_co_u32_e64 v16, s[0:1], 0, v5, s[0:1]
	v_cmp_le_u32_e32 vcc, s45, v11
	v_add_co_u32_e64 v17, s[0:1], 1, v3
	v_cndmask_b32_e64 v13, 0, -1, vcc
	v_cmp_le_u32_e32 vcc, s44, v9
	v_addc_co_u32_e64 v18, s[0:1], 0, v5, s[0:1]
	v_cndmask_b32_e64 v9, 0, -1, vcc
	v_cmp_eq_u32_e32 vcc, s45, v11
	v_cmp_ne_u32_e64 s[0:1], 0, v14
	v_cndmask_b32_e32 v9, v13, v9, vcc
	v_cmp_ne_u32_e32 vcc, 0, v9
	v_cndmask_b32_e64 v9, v17, v15, s[0:1]
	v_cndmask_b32_e64 v14, v18, v16, s[0:1]
	v_cndmask_b32_e32 v3, v3, v9, vcc
	v_xor_b32_e32 v9, s43, v7
	v_xor_b32_e32 v7, s42, v7
	v_cndmask_b32_e32 v5, v5, v14, vcc
	v_xor_b32_e32 v3, v3, v7
	v_xor_b32_e32 v5, v5, v9
	v_sub_co_u32_e32 v14, vcc, v3, v7
	v_subb_co_u32_e32 v15, vcc, v5, v9, vcc
.LBB25_20:                              ;   in Loop: Header=BB25_18 Depth=2
	s_andn2_saveexec_b64 s[0:1], s[40:41]
	s_cbranch_execz .LBB25_22
; %bb.21:                               ;   in Loop: Header=BB25_18 Depth=2
	v_cvt_f32_u32_e32 v3, s56
	s_sub_i32 s40, 0, s56
	v_mov_b32_e32 v15, v2
	v_rcp_iflag_f32_e32 v3, v3
	v_mul_f32_e32 v3, 0x4f7ffffe, v3
	v_cvt_u32_f32_e32 v3, v3
	v_mul_lo_u32 v5, s40, v3
	v_mul_hi_u32 v5, v3, v5
	v_add_u32_e32 v3, v3, v5
	v_mul_hi_u32 v3, v12, v3
	v_mul_lo_u32 v5, v3, s56
	v_sub_u32_e32 v5, v12, v5
	v_add_u32_e32 v7, 1, v3
	v_subrev_u32_e32 v9, s56, v5
	v_cmp_le_u32_e32 vcc, s56, v5
	v_cndmask_b32_e32 v5, v5, v9, vcc
	v_cndmask_b32_e32 v3, v3, v7, vcc
	v_add_u32_e32 v7, 1, v3
	v_cmp_le_u32_e32 vcc, s56, v5
	v_cndmask_b32_e32 v14, v3, v7, vcc
.LBB25_22:                              ;   in Loop: Header=BB25_18 Depth=2
	s_or_b64 exec, exec, s[0:1]
	s_add_u32 s0, s50, s2
	s_addc_u32 s1, s51, s3
	s_add_i32 s2, s20, -1
	s_mov_b32 s3, s21
	s_lshl_b64 s[40:41], s[2:3], 2
	s_add_u32 s2, s33, s40
	s_addc_u32 s3, s46, s41
	s_load_dword s57, s[2:3], 0x8
	s_load_dword s58, s[38:39], 0x6c
	;; [unrolled: 1-line block ×3, first 2 shown]
                                        ; implicit-def: $vgpr16_vgpr17
	s_waitcnt lgkmcnt(0)
	s_ashr_i32 s0, s57, 31
	v_or_b32_e32 v3, s0, v15
	v_cmp_ne_u64_e32 vcc, 0, v[2:3]
	s_and_saveexec_b64 s[38:39], vcc
	s_xor_b64 s[38:39], exec, s[38:39]
	s_cbranch_execz .LBB25_24
; %bb.23:                               ;   in Loop: Header=BB25_18 Depth=2
	s_add_u32 s44, s57, s0
	s_mov_b32 s42, s0
	s_mov_b32 s43, s0
	s_addc_u32 s45, s0, s0
	s_xor_b64 s[44:45], s[44:45], s[42:43]
	v_cvt_f32_u32_e32 v3, s44
	v_cvt_f32_u32_e32 v5, s45
	s_sub_u32 s0, 0, s44
	s_subb_u32 s1, 0, s45
	v_mac_f32_e32 v3, 0x4f800000, v5
	v_rcp_f32_e32 v3, v3
	v_mul_f32_e32 v3, 0x5f7ffffc, v3
	v_mul_f32_e32 v5, 0x2f800000, v3
	v_trunc_f32_e32 v5, v5
	v_mac_f32_e32 v3, 0xcf800000, v5
	v_cvt_u32_f32_e32 v5, v5
	v_cvt_u32_f32_e32 v3, v3
	v_mul_lo_u32 v7, s0, v5
	v_mul_hi_u32 v11, s0, v3
	v_mul_lo_u32 v9, s1, v3
	v_add_u32_e32 v7, v11, v7
	v_mul_lo_u32 v13, s0, v3
	v_add_u32_e32 v7, v7, v9
	v_mul_lo_u32 v11, v3, v7
	v_mul_hi_u32 v16, v3, v13
	v_mul_hi_u32 v9, v3, v7
	v_add_co_u32_e32 v11, vcc, v16, v11
	v_addc_co_u32_e32 v9, vcc, 0, v9, vcc
	v_mul_hi_u32 v17, v5, v13
	v_mul_lo_u32 v13, v5, v13
	v_add_co_u32_e32 v11, vcc, v11, v13
	v_mul_hi_u32 v16, v5, v7
	v_addc_co_u32_e32 v9, vcc, v9, v17, vcc
	v_addc_co_u32_e32 v11, vcc, 0, v16, vcc
	v_mul_lo_u32 v7, v5, v7
	v_add_co_u32_e32 v7, vcc, v9, v7
	v_addc_co_u32_e32 v9, vcc, 0, v11, vcc
	v_add_co_u32_e32 v3, vcc, v3, v7
	v_addc_co_u32_e32 v5, vcc, v5, v9, vcc
	v_mul_lo_u32 v7, s0, v5
	v_mul_hi_u32 v9, s0, v3
	v_add_u32_e32 v7, v9, v7
	v_mul_lo_u32 v9, s1, v3
	v_add_u32_e32 v7, v7, v9
	v_mul_lo_u32 v11, s0, v3
	v_mul_hi_u32 v13, v5, v11
	v_mul_lo_u32 v16, v5, v11
	v_mul_lo_u32 v18, v3, v7
	v_mul_hi_u32 v11, v3, v11
	v_mul_hi_u32 v17, v3, v7
	v_add_co_u32_e32 v11, vcc, v11, v18
	v_addc_co_u32_e32 v17, vcc, 0, v17, vcc
	v_add_co_u32_e32 v11, vcc, v11, v16
	v_mul_hi_u32 v9, v5, v7
	v_addc_co_u32_e32 v11, vcc, v17, v13, vcc
	v_addc_co_u32_e32 v9, vcc, 0, v9, vcc
	v_mul_lo_u32 v7, v5, v7
	v_add_co_u32_e32 v7, vcc, v11, v7
	v_addc_co_u32_e32 v9, vcc, 0, v9, vcc
	v_add_co_u32_e32 v3, vcc, v3, v7
	v_addc_co_u32_e32 v5, vcc, v5, v9, vcc
	v_ashrrev_i32_e32 v7, 31, v15
	v_add_co_u32_e32 v9, vcc, v14, v7
	v_xor_b32_e32 v9, v9, v7
	v_addc_co_u32_e32 v11, vcc, v15, v7, vcc
	v_mad_u64_u32 v[16:17], s[0:1], v9, v5, 0
	v_mul_hi_u32 v13, v9, v3
	v_xor_b32_e32 v11, v11, v7
	v_add_co_u32_e32 v13, vcc, v13, v16
	v_addc_co_u32_e32 v15, vcc, 0, v17, vcc
	v_mad_u64_u32 v[18:19], s[0:1], v11, v3, 0
	v_add_co_u32_e32 v3, vcc, v13, v18
	v_mad_u64_u32 v[16:17], s[0:1], v11, v5, 0
	v_addc_co_u32_e32 v3, vcc, v15, v19, vcc
	v_addc_co_u32_e32 v5, vcc, 0, v17, vcc
	v_add_co_u32_e32 v3, vcc, v3, v16
	v_addc_co_u32_e32 v5, vcc, 0, v5, vcc
	v_mul_lo_u32 v13, s45, v3
	v_mul_lo_u32 v15, s44, v5
	v_mad_u64_u32 v[16:17], s[0:1], s44, v3, 0
	v_add3_u32 v13, v17, v15, v13
	v_sub_u32_e32 v15, v11, v13
	v_mov_b32_e32 v17, s45
	v_sub_co_u32_e32 v9, vcc, v9, v16
	v_subb_co_u32_e64 v15, s[0:1], v15, v17, vcc
	v_subrev_co_u32_e64 v16, s[0:1], s44, v9
	v_subbrev_co_u32_e64 v15, s[0:1], 0, v15, s[0:1]
	v_cmp_le_u32_e64 s[0:1], s45, v15
	v_cndmask_b32_e64 v17, 0, -1, s[0:1]
	v_cmp_le_u32_e64 s[0:1], s44, v16
	v_cndmask_b32_e64 v16, 0, -1, s[0:1]
	v_cmp_eq_u32_e64 s[0:1], s45, v15
	v_cndmask_b32_e64 v15, v17, v16, s[0:1]
	v_add_co_u32_e64 v16, s[0:1], 2, v3
	v_subb_co_u32_e32 v11, vcc, v11, v13, vcc
	v_addc_co_u32_e64 v17, s[0:1], 0, v5, s[0:1]
	v_cmp_le_u32_e32 vcc, s45, v11
	v_add_co_u32_e64 v18, s[0:1], 1, v3
	v_cndmask_b32_e64 v13, 0, -1, vcc
	v_cmp_le_u32_e32 vcc, s44, v9
	v_addc_co_u32_e64 v19, s[0:1], 0, v5, s[0:1]
	v_cndmask_b32_e64 v9, 0, -1, vcc
	v_cmp_eq_u32_e32 vcc, s45, v11
	v_cmp_ne_u32_e64 s[0:1], 0, v15
	v_cndmask_b32_e32 v9, v13, v9, vcc
	v_cmp_ne_u32_e32 vcc, 0, v9
	v_cndmask_b32_e64 v9, v18, v16, s[0:1]
	v_cndmask_b32_e64 v15, v19, v17, s[0:1]
	v_cndmask_b32_e32 v3, v3, v9, vcc
	v_xor_b32_e32 v9, s43, v7
	v_xor_b32_e32 v7, s42, v7
	v_cndmask_b32_e32 v5, v5, v15, vcc
	v_xor_b32_e32 v3, v3, v7
	v_xor_b32_e32 v5, v5, v9
	v_sub_co_u32_e32 v16, vcc, v3, v7
	v_subb_co_u32_e32 v17, vcc, v5, v9, vcc
.LBB25_24:                              ;   in Loop: Header=BB25_18 Depth=2
	s_andn2_saveexec_b64 s[0:1], s[38:39]
	s_cbranch_execz .LBB25_26
; %bb.25:                               ;   in Loop: Header=BB25_18 Depth=2
	v_cvt_f32_u32_e32 v3, s57
	s_sub_i32 s38, 0, s57
	v_mov_b32_e32 v17, v2
	v_rcp_iflag_f32_e32 v3, v3
	v_mul_f32_e32 v3, 0x4f7ffffe, v3
	v_cvt_u32_f32_e32 v3, v3
	v_mul_lo_u32 v5, s38, v3
	v_mul_hi_u32 v5, v3, v5
	v_add_u32_e32 v3, v3, v5
	v_mul_hi_u32 v3, v14, v3
	v_mul_lo_u32 v5, v3, s57
	v_sub_u32_e32 v5, v14, v5
	v_add_u32_e32 v7, 1, v3
	v_subrev_u32_e32 v9, s57, v5
	v_cmp_le_u32_e32 vcc, s57, v5
	v_cndmask_b32_e32 v5, v5, v9, vcc
	v_cndmask_b32_e32 v3, v3, v7, vcc
	v_add_u32_e32 v7, 1, v3
	v_cmp_le_u32_e32 vcc, s57, v5
	v_cndmask_b32_e32 v16, v3, v7, vcc
.LBB25_26:                              ;   in Loop: Header=BB25_18 Depth=2
	s_or_b64 exec, exec, s[0:1]
	s_add_u32 s0, s50, s40
	s_addc_u32 s1, s51, s41
	s_add_i32 s38, s20, -2
	s_mov_b32 s39, s21
	s_lshl_b64 s[38:39], s[38:39], 2
	s_add_u32 s40, s33, s38
	s_addc_u32 s41, s46, s39
	s_load_dword s60, s[40:41], 0x8
	s_load_dword s62, s[2:3], 0x6c
	;; [unrolled: 1-line block ×3, first 2 shown]
                                        ; implicit-def: $vgpr18_vgpr19
	s_waitcnt lgkmcnt(0)
	s_ashr_i32 s0, s60, 31
	v_or_b32_e32 v3, s0, v17
	v_cmp_ne_u64_e32 vcc, 0, v[2:3]
	s_and_saveexec_b64 s[2:3], vcc
	s_xor_b64 s[2:3], exec, s[2:3]
	s_cbranch_execz .LBB25_28
; %bb.27:                               ;   in Loop: Header=BB25_18 Depth=2
	s_add_u32 s44, s60, s0
	s_mov_b32 s42, s0
	s_mov_b32 s43, s0
	s_addc_u32 s45, s0, s0
	s_xor_b64 s[44:45], s[44:45], s[42:43]
	v_cvt_f32_u32_e32 v3, s44
	v_cvt_f32_u32_e32 v5, s45
	s_sub_u32 s0, 0, s44
	s_subb_u32 s1, 0, s45
	v_mac_f32_e32 v3, 0x4f800000, v5
	v_rcp_f32_e32 v3, v3
	v_mul_f32_e32 v3, 0x5f7ffffc, v3
	v_mul_f32_e32 v5, 0x2f800000, v3
	v_trunc_f32_e32 v5, v5
	v_mac_f32_e32 v3, 0xcf800000, v5
	v_cvt_u32_f32_e32 v5, v5
	v_cvt_u32_f32_e32 v3, v3
	v_mul_lo_u32 v7, s0, v5
	v_mul_hi_u32 v11, s0, v3
	v_mul_lo_u32 v9, s1, v3
	v_add_u32_e32 v7, v11, v7
	v_mul_lo_u32 v13, s0, v3
	v_add_u32_e32 v7, v7, v9
	v_mul_lo_u32 v11, v3, v7
	v_mul_hi_u32 v15, v3, v13
	v_mul_hi_u32 v9, v3, v7
	v_add_co_u32_e32 v11, vcc, v15, v11
	v_addc_co_u32_e32 v9, vcc, 0, v9, vcc
	v_mul_hi_u32 v18, v5, v13
	v_mul_lo_u32 v13, v5, v13
	v_add_co_u32_e32 v11, vcc, v11, v13
	v_mul_hi_u32 v15, v5, v7
	v_addc_co_u32_e32 v9, vcc, v9, v18, vcc
	v_addc_co_u32_e32 v11, vcc, 0, v15, vcc
	v_mul_lo_u32 v7, v5, v7
	v_add_co_u32_e32 v7, vcc, v9, v7
	v_addc_co_u32_e32 v9, vcc, 0, v11, vcc
	v_add_co_u32_e32 v3, vcc, v3, v7
	v_addc_co_u32_e32 v5, vcc, v5, v9, vcc
	v_mul_lo_u32 v7, s0, v5
	v_mul_hi_u32 v9, s0, v3
	v_add_u32_e32 v7, v9, v7
	v_mul_lo_u32 v9, s1, v3
	v_add_u32_e32 v7, v7, v9
	v_mul_lo_u32 v11, s0, v3
	v_mul_hi_u32 v13, v5, v11
	v_mul_lo_u32 v15, v5, v11
	v_mul_lo_u32 v19, v3, v7
	v_mul_hi_u32 v11, v3, v11
	v_mul_hi_u32 v18, v3, v7
	v_add_co_u32_e32 v11, vcc, v11, v19
	v_addc_co_u32_e32 v18, vcc, 0, v18, vcc
	v_add_co_u32_e32 v11, vcc, v11, v15
	v_mul_hi_u32 v9, v5, v7
	v_addc_co_u32_e32 v11, vcc, v18, v13, vcc
	v_addc_co_u32_e32 v9, vcc, 0, v9, vcc
	v_mul_lo_u32 v7, v5, v7
	v_add_co_u32_e32 v7, vcc, v11, v7
	v_addc_co_u32_e32 v9, vcc, 0, v9, vcc
	v_add_co_u32_e32 v3, vcc, v3, v7
	v_addc_co_u32_e32 v5, vcc, v5, v9, vcc
	v_ashrrev_i32_e32 v7, 31, v17
	v_add_co_u32_e32 v9, vcc, v16, v7
	v_xor_b32_e32 v9, v9, v7
	v_addc_co_u32_e32 v11, vcc, v17, v7, vcc
	v_mad_u64_u32 v[18:19], s[0:1], v9, v5, 0
	v_mul_hi_u32 v13, v9, v3
	v_xor_b32_e32 v11, v11, v7
	v_add_co_u32_e32 v13, vcc, v13, v18
	v_addc_co_u32_e32 v15, vcc, 0, v19, vcc
	v_mad_u64_u32 v[20:21], s[0:1], v11, v3, 0
	v_add_co_u32_e32 v3, vcc, v13, v20
	v_mad_u64_u32 v[18:19], s[0:1], v11, v5, 0
	v_addc_co_u32_e32 v3, vcc, v15, v21, vcc
	v_addc_co_u32_e32 v5, vcc, 0, v19, vcc
	v_add_co_u32_e32 v3, vcc, v3, v18
	v_addc_co_u32_e32 v5, vcc, 0, v5, vcc
	v_mul_lo_u32 v13, s45, v3
	v_mul_lo_u32 v15, s44, v5
	v_mad_u64_u32 v[18:19], s[0:1], s44, v3, 0
	v_add3_u32 v13, v19, v15, v13
	v_sub_u32_e32 v15, v11, v13
	v_mov_b32_e32 v17, s45
	v_sub_co_u32_e32 v9, vcc, v9, v18
	v_subb_co_u32_e64 v15, s[0:1], v15, v17, vcc
	v_subrev_co_u32_e64 v17, s[0:1], s44, v9
	v_subbrev_co_u32_e64 v15, s[0:1], 0, v15, s[0:1]
	v_cmp_le_u32_e64 s[0:1], s45, v15
	v_cndmask_b32_e64 v18, 0, -1, s[0:1]
	v_cmp_le_u32_e64 s[0:1], s44, v17
	v_cndmask_b32_e64 v17, 0, -1, s[0:1]
	v_cmp_eq_u32_e64 s[0:1], s45, v15
	v_cndmask_b32_e64 v15, v18, v17, s[0:1]
	v_add_co_u32_e64 v17, s[0:1], 2, v3
	v_subb_co_u32_e32 v11, vcc, v11, v13, vcc
	v_addc_co_u32_e64 v18, s[0:1], 0, v5, s[0:1]
	v_cmp_le_u32_e32 vcc, s45, v11
	v_add_co_u32_e64 v19, s[0:1], 1, v3
	v_cndmask_b32_e64 v13, 0, -1, vcc
	v_cmp_le_u32_e32 vcc, s44, v9
	v_addc_co_u32_e64 v20, s[0:1], 0, v5, s[0:1]
	v_cndmask_b32_e64 v9, 0, -1, vcc
	v_cmp_eq_u32_e32 vcc, s45, v11
	v_cmp_ne_u32_e64 s[0:1], 0, v15
	v_cndmask_b32_e32 v9, v13, v9, vcc
	v_cmp_ne_u32_e32 vcc, 0, v9
	v_cndmask_b32_e64 v9, v19, v17, s[0:1]
	v_cndmask_b32_e64 v15, v20, v18, s[0:1]
	v_cndmask_b32_e32 v3, v3, v9, vcc
	v_xor_b32_e32 v9, s43, v7
	v_xor_b32_e32 v7, s42, v7
	v_cndmask_b32_e32 v5, v5, v15, vcc
	v_xor_b32_e32 v3, v3, v7
	v_xor_b32_e32 v5, v5, v9
	v_sub_co_u32_e32 v18, vcc, v3, v7
	v_subb_co_u32_e32 v19, vcc, v5, v9, vcc
.LBB25_28:                              ;   in Loop: Header=BB25_18 Depth=2
	s_andn2_saveexec_b64 s[0:1], s[2:3]
	s_cbranch_execz .LBB25_30
; %bb.29:                               ;   in Loop: Header=BB25_18 Depth=2
	v_cvt_f32_u32_e32 v3, s60
	s_sub_i32 s2, 0, s60
	v_mov_b32_e32 v19, v2
	v_rcp_iflag_f32_e32 v3, v3
	v_mul_f32_e32 v3, 0x4f7ffffe, v3
	v_cvt_u32_f32_e32 v3, v3
	v_mul_lo_u32 v5, s2, v3
	v_mul_hi_u32 v5, v3, v5
	v_add_u32_e32 v3, v3, v5
	v_mul_hi_u32 v3, v16, v3
	v_mul_lo_u32 v5, v3, s60
	v_sub_u32_e32 v5, v16, v5
	v_add_u32_e32 v7, 1, v3
	v_subrev_u32_e32 v9, s60, v5
	v_cmp_le_u32_e32 vcc, s60, v5
	v_cndmask_b32_e32 v5, v5, v9, vcc
	v_cndmask_b32_e32 v3, v3, v7, vcc
	v_add_u32_e32 v7, 1, v3
	v_cmp_le_u32_e32 vcc, s60, v5
	v_cndmask_b32_e32 v18, v3, v7, vcc
.LBB25_30:                              ;   in Loop: Header=BB25_18 Depth=2
	s_or_b64 exec, exec, s[0:1]
	s_add_u32 s0, s50, s38
	s_addc_u32 s1, s51, s39
	s_add_i32 s2, s20, -3
	s_mov_b32 s3, s21
	s_lshl_b64 s[2:3], s[2:3], 2
	s_add_u32 s38, s33, s2
	s_addc_u32 s39, s46, s3
	s_load_dword s63, s[38:39], 0x8
	s_load_dword s64, s[40:41], 0x6c
	;; [unrolled: 1-line block ×3, first 2 shown]
                                        ; implicit-def: $vgpr20_vgpr21
	s_waitcnt lgkmcnt(0)
	s_ashr_i32 s0, s63, 31
	v_or_b32_e32 v3, s0, v19
	v_cmp_ne_u64_e32 vcc, 0, v[2:3]
	s_and_saveexec_b64 s[40:41], vcc
	s_xor_b64 s[40:41], exec, s[40:41]
	s_cbranch_execz .LBB25_32
; %bb.31:                               ;   in Loop: Header=BB25_18 Depth=2
	s_add_u32 s44, s63, s0
	s_mov_b32 s42, s0
	s_mov_b32 s43, s0
	s_addc_u32 s45, s0, s0
	s_xor_b64 s[44:45], s[44:45], s[42:43]
	v_cvt_f32_u32_e32 v3, s44
	v_cvt_f32_u32_e32 v5, s45
	s_sub_u32 s0, 0, s44
	s_subb_u32 s1, 0, s45
	v_mac_f32_e32 v3, 0x4f800000, v5
	v_rcp_f32_e32 v3, v3
	v_mul_f32_e32 v3, 0x5f7ffffc, v3
	v_mul_f32_e32 v5, 0x2f800000, v3
	v_trunc_f32_e32 v5, v5
	v_mac_f32_e32 v3, 0xcf800000, v5
	v_cvt_u32_f32_e32 v5, v5
	v_cvt_u32_f32_e32 v3, v3
	v_mul_lo_u32 v7, s0, v5
	v_mul_hi_u32 v11, s0, v3
	v_mul_lo_u32 v9, s1, v3
	v_add_u32_e32 v7, v11, v7
	v_mul_lo_u32 v13, s0, v3
	v_add_u32_e32 v7, v7, v9
	v_mul_lo_u32 v11, v3, v7
	v_mul_hi_u32 v15, v3, v13
	v_mul_hi_u32 v9, v3, v7
	v_add_co_u32_e32 v11, vcc, v15, v11
	v_addc_co_u32_e32 v9, vcc, 0, v9, vcc
	v_mul_hi_u32 v17, v5, v13
	v_mul_lo_u32 v13, v5, v13
	v_add_co_u32_e32 v11, vcc, v11, v13
	v_mul_hi_u32 v15, v5, v7
	v_addc_co_u32_e32 v9, vcc, v9, v17, vcc
	v_addc_co_u32_e32 v11, vcc, 0, v15, vcc
	v_mul_lo_u32 v7, v5, v7
	v_add_co_u32_e32 v7, vcc, v9, v7
	v_addc_co_u32_e32 v9, vcc, 0, v11, vcc
	v_add_co_u32_e32 v3, vcc, v3, v7
	v_addc_co_u32_e32 v5, vcc, v5, v9, vcc
	v_mul_lo_u32 v7, s0, v5
	v_mul_hi_u32 v9, s0, v3
	v_add_u32_e32 v7, v9, v7
	v_mul_lo_u32 v9, s1, v3
	v_add_u32_e32 v7, v7, v9
	v_mul_lo_u32 v11, s0, v3
	v_mul_hi_u32 v13, v5, v11
	v_mul_lo_u32 v15, v5, v11
	v_mul_lo_u32 v20, v3, v7
	v_mul_hi_u32 v11, v3, v11
	v_mul_hi_u32 v17, v3, v7
	v_add_co_u32_e32 v11, vcc, v11, v20
	v_addc_co_u32_e32 v17, vcc, 0, v17, vcc
	v_add_co_u32_e32 v11, vcc, v11, v15
	v_mul_hi_u32 v9, v5, v7
	v_addc_co_u32_e32 v11, vcc, v17, v13, vcc
	v_addc_co_u32_e32 v9, vcc, 0, v9, vcc
	v_mul_lo_u32 v7, v5, v7
	v_add_co_u32_e32 v7, vcc, v11, v7
	v_addc_co_u32_e32 v9, vcc, 0, v9, vcc
	v_add_co_u32_e32 v3, vcc, v3, v7
	v_addc_co_u32_e32 v5, vcc, v5, v9, vcc
	v_ashrrev_i32_e32 v7, 31, v19
	v_add_co_u32_e32 v9, vcc, v18, v7
	v_xor_b32_e32 v9, v9, v7
	v_addc_co_u32_e32 v11, vcc, v19, v7, vcc
	v_mad_u64_u32 v[20:21], s[0:1], v9, v5, 0
	v_mul_hi_u32 v13, v9, v3
	v_xor_b32_e32 v11, v11, v7
	v_add_co_u32_e32 v13, vcc, v13, v20
	v_addc_co_u32_e32 v15, vcc, 0, v21, vcc
	v_mad_u64_u32 v[24:25], s[0:1], v11, v3, 0
	v_add_co_u32_e32 v3, vcc, v13, v24
	v_mad_u64_u32 v[20:21], s[0:1], v11, v5, 0
	v_addc_co_u32_e32 v3, vcc, v15, v25, vcc
	v_addc_co_u32_e32 v5, vcc, 0, v21, vcc
	v_add_co_u32_e32 v3, vcc, v3, v20
	v_addc_co_u32_e32 v5, vcc, 0, v5, vcc
	v_mul_lo_u32 v13, s45, v3
	v_mul_lo_u32 v15, s44, v5
	v_mad_u64_u32 v[20:21], s[0:1], s44, v3, 0
	v_add3_u32 v13, v21, v15, v13
	v_sub_u32_e32 v15, v11, v13
	v_mov_b32_e32 v17, s45
	v_sub_co_u32_e32 v9, vcc, v9, v20
	v_subb_co_u32_e64 v15, s[0:1], v15, v17, vcc
	v_subrev_co_u32_e64 v17, s[0:1], s44, v9
	v_subbrev_co_u32_e64 v15, s[0:1], 0, v15, s[0:1]
	v_cmp_le_u32_e64 s[0:1], s45, v15
	v_cndmask_b32_e64 v19, 0, -1, s[0:1]
	v_cmp_le_u32_e64 s[0:1], s44, v17
	v_cndmask_b32_e64 v17, 0, -1, s[0:1]
	v_cmp_eq_u32_e64 s[0:1], s45, v15
	v_cndmask_b32_e64 v15, v19, v17, s[0:1]
	v_add_co_u32_e64 v17, s[0:1], 2, v3
	v_subb_co_u32_e32 v11, vcc, v11, v13, vcc
	v_addc_co_u32_e64 v19, s[0:1], 0, v5, s[0:1]
	v_cmp_le_u32_e32 vcc, s45, v11
	v_add_co_u32_e64 v20, s[0:1], 1, v3
	v_cndmask_b32_e64 v13, 0, -1, vcc
	v_cmp_le_u32_e32 vcc, s44, v9
	v_addc_co_u32_e64 v21, s[0:1], 0, v5, s[0:1]
	v_cndmask_b32_e64 v9, 0, -1, vcc
	v_cmp_eq_u32_e32 vcc, s45, v11
	v_cmp_ne_u32_e64 s[0:1], 0, v15
	v_cndmask_b32_e32 v9, v13, v9, vcc
	v_cmp_ne_u32_e32 vcc, 0, v9
	v_cndmask_b32_e64 v9, v20, v17, s[0:1]
	v_cndmask_b32_e64 v15, v21, v19, s[0:1]
	v_cndmask_b32_e32 v3, v3, v9, vcc
	v_xor_b32_e32 v9, s43, v7
	v_xor_b32_e32 v7, s42, v7
	v_cndmask_b32_e32 v5, v5, v15, vcc
	v_xor_b32_e32 v3, v3, v7
	v_xor_b32_e32 v5, v5, v9
	v_sub_co_u32_e32 v20, vcc, v3, v7
	v_subb_co_u32_e32 v21, vcc, v5, v9, vcc
.LBB25_32:                              ;   in Loop: Header=BB25_18 Depth=2
	s_andn2_saveexec_b64 s[0:1], s[40:41]
	s_cbranch_execz .LBB25_34
; %bb.33:                               ;   in Loop: Header=BB25_18 Depth=2
	v_cvt_f32_u32_e32 v3, s63
	s_sub_i32 s40, 0, s63
	v_mov_b32_e32 v21, v2
	v_rcp_iflag_f32_e32 v3, v3
	v_mul_f32_e32 v3, 0x4f7ffffe, v3
	v_cvt_u32_f32_e32 v3, v3
	v_mul_lo_u32 v5, s40, v3
	v_mul_hi_u32 v5, v3, v5
	v_add_u32_e32 v3, v3, v5
	v_mul_hi_u32 v3, v18, v3
	v_mul_lo_u32 v5, v3, s63
	v_sub_u32_e32 v5, v18, v5
	v_add_u32_e32 v7, 1, v3
	v_subrev_u32_e32 v9, s63, v5
	v_cmp_le_u32_e32 vcc, s63, v5
	v_cndmask_b32_e32 v5, v5, v9, vcc
	v_cndmask_b32_e32 v3, v3, v7, vcc
	v_add_u32_e32 v7, 1, v3
	v_cmp_le_u32_e32 vcc, s63, v5
	v_cndmask_b32_e32 v20, v3, v7, vcc
.LBB25_34:                              ;   in Loop: Header=BB25_18 Depth=2
	s_or_b64 exec, exec, s[0:1]
	s_add_u32 s0, s50, s2
	v_mul_lo_u32 v3, v14, s56
	v_mul_lo_u32 v7, v16, s57
	s_load_dword s2, s[38:39], 0x6c
	s_addc_u32 s1, s51, s3
	s_load_dword s0, s[0:1], 0x0
	v_sub_u32_e32 v3, v12, v3
	v_sub_u32_e32 v7, v14, v7
	v_mul_lo_u32 v5, s58, v3
	v_mul_lo_u32 v3, s59, v3
	;; [unrolled: 1-line block ×4, first 2 shown]
	v_add3_u32 v5, v5, v10, v9
	v_add3_u32 v3, v3, v8, v7
	v_mul_lo_u32 v7, v18, s60
	v_mul_lo_u32 v9, v20, s63
	v_sub_u32_e32 v7, v16, v7
	v_sub_u32_e32 v9, v18, v9
	v_mul_lo_u32 v8, s64, v7
	s_waitcnt lgkmcnt(0)
	v_mul_lo_u32 v10, s2, v9
	v_mul_lo_u32 v7, s65, v7
	v_add3_u32 v10, v8, v5, v10
	v_mul_lo_u32 v5, s0, v9
	s_add_i32 s20, s20, -4
	s_cmp_eq_u32 s20, -1
	v_add3_u32 v8, v7, v3, v5
	s_cbranch_scc1 .LBB25_41
; %bb.35:                               ;   in Loop: Header=BB25_18 Depth=2
	v_pk_mov_b32 v[12:13], v[20:21], v[20:21] op_sel:[0,1]
	s_branch .LBB25_18
.LBB25_36:                              ;   in Loop: Header=BB25_37 Depth=2
	s_or_b64 exec, exec, s[0:1]
	s_load_dword s38, s[38:39], 0x6c
	s_add_u32 s0, s50, s2
	s_addc_u32 s1, s51, s3
	s_load_dword s2, s[0:1], 0x0
	v_mul_lo_u32 v3, v12, s57
	v_sub_u32_e32 v3, v14, v3
	s_waitcnt lgkmcnt(0)
	v_mad_u64_u32 v[10:11], s[0:1], s38, v3, v[10:11]
	s_add_i32 s20, s20, -1
	s_xor_b32 s0, s55, s56
	s_add_i32 s56, s56, 1
	s_cmp_lg_u32 s0, 2
	v_mad_u64_u32 v[8:9], s[0:1], s2, v3, v[8:9]
	s_cbranch_scc0 .LBB25_17
.LBB25_37:                              ;   Parent Loop BB25_3 Depth=1
                                        ; =>  This Inner Loop Header: Depth=2
	s_lshl_b64 s[2:3], s[20:21], 2
	s_add_u32 s38, s33, s2
	s_addc_u32 s39, s46, s3
	s_load_dword s57, s[38:39], 0x8
	v_pk_mov_b32 v[14:15], v[12:13], v[12:13] op_sel:[0,1]
                                        ; implicit-def: $vgpr12_vgpr13
	s_waitcnt lgkmcnt(0)
	s_ashr_i32 s0, s57, 31
	v_or_b32_e32 v3, s0, v15
	v_cmp_ne_u64_e32 vcc, 0, v[2:3]
	s_and_saveexec_b64 s[40:41], vcc
	s_xor_b64 s[40:41], exec, s[40:41]
	s_cbranch_execz .LBB25_39
; %bb.38:                               ;   in Loop: Header=BB25_37 Depth=2
	s_add_u32 s44, s57, s0
	s_mov_b32 s42, s0
	s_mov_b32 s43, s0
	s_addc_u32 s45, s0, s0
	s_xor_b64 s[44:45], s[44:45], s[42:43]
	v_cvt_f32_u32_e32 v3, s44
	v_cvt_f32_u32_e32 v5, s45
	s_sub_u32 s0, 0, s44
	s_subb_u32 s1, 0, s45
	v_mac_f32_e32 v3, 0x4f800000, v5
	v_rcp_f32_e32 v3, v3
	v_mul_f32_e32 v3, 0x5f7ffffc, v3
	v_mul_f32_e32 v5, 0x2f800000, v3
	v_trunc_f32_e32 v5, v5
	v_mac_f32_e32 v3, 0xcf800000, v5
	v_cvt_u32_f32_e32 v5, v5
	v_cvt_u32_f32_e32 v3, v3
	v_mul_lo_u32 v7, s0, v5
	v_mul_hi_u32 v11, s0, v3
	v_mul_lo_u32 v9, s1, v3
	v_add_u32_e32 v7, v11, v7
	v_mul_lo_u32 v12, s0, v3
	v_add_u32_e32 v7, v7, v9
	v_mul_lo_u32 v11, v3, v7
	v_mul_hi_u32 v13, v3, v12
	v_mul_hi_u32 v9, v3, v7
	v_add_co_u32_e32 v11, vcc, v13, v11
	v_addc_co_u32_e32 v9, vcc, 0, v9, vcc
	v_mul_hi_u32 v16, v5, v12
	v_mul_lo_u32 v12, v5, v12
	v_add_co_u32_e32 v11, vcc, v11, v12
	v_mul_hi_u32 v13, v5, v7
	v_addc_co_u32_e32 v9, vcc, v9, v16, vcc
	v_addc_co_u32_e32 v11, vcc, 0, v13, vcc
	v_mul_lo_u32 v7, v5, v7
	v_add_co_u32_e32 v7, vcc, v9, v7
	v_addc_co_u32_e32 v9, vcc, 0, v11, vcc
	v_add_co_u32_e32 v3, vcc, v3, v7
	v_addc_co_u32_e32 v5, vcc, v5, v9, vcc
	v_mul_lo_u32 v7, s0, v5
	v_mul_hi_u32 v9, s0, v3
	v_add_u32_e32 v7, v9, v7
	v_mul_lo_u32 v9, s1, v3
	v_add_u32_e32 v7, v7, v9
	v_mul_lo_u32 v11, s0, v3
	v_mul_hi_u32 v12, v5, v11
	v_mul_lo_u32 v13, v5, v11
	v_mul_lo_u32 v17, v3, v7
	v_mul_hi_u32 v11, v3, v11
	v_mul_hi_u32 v16, v3, v7
	v_add_co_u32_e32 v11, vcc, v11, v17
	v_addc_co_u32_e32 v16, vcc, 0, v16, vcc
	v_add_co_u32_e32 v11, vcc, v11, v13
	v_mul_hi_u32 v9, v5, v7
	v_addc_co_u32_e32 v11, vcc, v16, v12, vcc
	v_addc_co_u32_e32 v9, vcc, 0, v9, vcc
	v_mul_lo_u32 v7, v5, v7
	v_add_co_u32_e32 v7, vcc, v11, v7
	v_addc_co_u32_e32 v9, vcc, 0, v9, vcc
	v_add_co_u32_e32 v3, vcc, v3, v7
	v_addc_co_u32_e32 v5, vcc, v5, v9, vcc
	v_ashrrev_i32_e32 v7, 31, v15
	v_add_co_u32_e32 v9, vcc, v14, v7
	v_xor_b32_e32 v9, v9, v7
	v_addc_co_u32_e32 v11, vcc, v15, v7, vcc
	v_mad_u64_u32 v[12:13], s[0:1], v9, v5, 0
	v_mul_hi_u32 v15, v9, v3
	v_xor_b32_e32 v11, v11, v7
	v_add_co_u32_e32 v15, vcc, v15, v12
	v_addc_co_u32_e32 v18, vcc, 0, v13, vcc
	v_mad_u64_u32 v[16:17], s[0:1], v11, v3, 0
	v_add_co_u32_e32 v3, vcc, v15, v16
	v_mad_u64_u32 v[12:13], s[0:1], v11, v5, 0
	v_addc_co_u32_e32 v3, vcc, v18, v17, vcc
	v_addc_co_u32_e32 v5, vcc, 0, v13, vcc
	v_add_co_u32_e32 v3, vcc, v3, v12
	v_addc_co_u32_e32 v5, vcc, 0, v5, vcc
	v_mul_lo_u32 v15, s45, v3
	v_mul_lo_u32 v16, s44, v5
	v_mad_u64_u32 v[12:13], s[0:1], s44, v3, 0
	v_add3_u32 v13, v13, v16, v15
	v_sub_u32_e32 v15, v11, v13
	v_mov_b32_e32 v16, s45
	v_sub_co_u32_e32 v9, vcc, v9, v12
	v_subb_co_u32_e64 v12, s[0:1], v15, v16, vcc
	v_subrev_co_u32_e64 v15, s[0:1], s44, v9
	v_subbrev_co_u32_e64 v12, s[0:1], 0, v12, s[0:1]
	v_cmp_le_u32_e64 s[0:1], s45, v12
	v_cndmask_b32_e64 v16, 0, -1, s[0:1]
	v_cmp_le_u32_e64 s[0:1], s44, v15
	v_cndmask_b32_e64 v15, 0, -1, s[0:1]
	v_cmp_eq_u32_e64 s[0:1], s45, v12
	v_cndmask_b32_e64 v12, v16, v15, s[0:1]
	v_add_co_u32_e64 v15, s[0:1], 2, v3
	v_subb_co_u32_e32 v11, vcc, v11, v13, vcc
	v_addc_co_u32_e64 v16, s[0:1], 0, v5, s[0:1]
	v_cmp_le_u32_e32 vcc, s45, v11
	v_add_co_u32_e64 v17, s[0:1], 1, v3
	v_cndmask_b32_e64 v13, 0, -1, vcc
	v_cmp_le_u32_e32 vcc, s44, v9
	v_addc_co_u32_e64 v18, s[0:1], 0, v5, s[0:1]
	v_cndmask_b32_e64 v9, 0, -1, vcc
	v_cmp_eq_u32_e32 vcc, s45, v11
	v_cmp_ne_u32_e64 s[0:1], 0, v12
	v_cndmask_b32_e32 v9, v13, v9, vcc
	v_cmp_ne_u32_e32 vcc, 0, v9
	v_cndmask_b32_e64 v9, v17, v15, s[0:1]
	v_cndmask_b32_e64 v12, v18, v16, s[0:1]
	v_cndmask_b32_e32 v3, v3, v9, vcc
	v_xor_b32_e32 v9, s43, v7
	v_xor_b32_e32 v7, s42, v7
	v_cndmask_b32_e32 v5, v5, v12, vcc
	v_xor_b32_e32 v3, v3, v7
	v_xor_b32_e32 v5, v5, v9
	v_sub_co_u32_e32 v12, vcc, v3, v7
	v_subb_co_u32_e32 v13, vcc, v5, v9, vcc
.LBB25_39:                              ;   in Loop: Header=BB25_37 Depth=2
	s_andn2_saveexec_b64 s[0:1], s[40:41]
	s_cbranch_execz .LBB25_36
; %bb.40:                               ;   in Loop: Header=BB25_37 Depth=2
	v_cvt_f32_u32_e32 v3, s57
	s_sub_i32 s40, 0, s57
	v_mov_b32_e32 v13, v2
	v_rcp_iflag_f32_e32 v3, v3
	v_mul_f32_e32 v3, 0x4f7ffffe, v3
	v_cvt_u32_f32_e32 v3, v3
	v_mul_lo_u32 v5, s40, v3
	v_mul_hi_u32 v5, v3, v5
	v_add_u32_e32 v3, v3, v5
	v_mul_hi_u32 v3, v14, v3
	v_mul_lo_u32 v5, v3, s57
	v_sub_u32_e32 v5, v14, v5
	v_add_u32_e32 v7, 1, v3
	v_subrev_u32_e32 v9, s57, v5
	v_cmp_le_u32_e32 vcc, s57, v5
	v_cndmask_b32_e32 v5, v5, v9, vcc
	v_cndmask_b32_e32 v3, v3, v7, vcc
	v_add_u32_e32 v7, 1, v3
	v_cmp_le_u32_e32 vcc, s57, v5
	v_cndmask_b32_e32 v12, v3, v7, vcc
	s_branch .LBB25_36
.LBB25_41:                              ;   in Loop: Header=BB25_3 Depth=1
	v_mov_b32_e32 v3, v4
	v_sub_u32_e32 v4, v4, v6
	v_ashrrev_i32_e32 v5, 31, v4
	v_cmp_ge_i64_e32 vcc, s[8:9], v[4:5]
                                        ; implicit-def: $vgpr7
                                        ; implicit-def: $vgpr11
	s_and_saveexec_b64 s[0:1], vcc
	s_xor_b64 s[0:1], exec, s[0:1]
	s_cbranch_execnz .LBB25_44
; %bb.42:                               ;   in Loop: Header=BB25_3 Depth=1
	s_andn2_saveexec_b64 s[0:1], s[0:1]
	s_cbranch_execnz .LBB25_49
.LBB25_43:                              ;   in Loop: Header=BB25_3 Depth=1
	s_or_b64 exec, exec, s[0:1]
	v_cmp_gt_i32_e32 vcc, s13, v3
	s_and_saveexec_b64 s[0:1], vcc
	s_cbranch_execz .LBB25_2
	s_branch .LBB25_50
.LBB25_44:                              ;   in Loop: Header=BB25_3 Depth=1
	v_cmp_gt_i32_e32 vcc, s13, v3
	v_mov_b32_e32 v7, 0
	v_mov_b32_e32 v9, 0
	s_and_saveexec_b64 s[2:3], vcc
	s_cbranch_execz .LBB25_48
; %bb.45:                               ;   in Loop: Header=BB25_3 Depth=1
	v_ashrrev_i32_e32 v11, 31, v10
	v_lshlrev_b64 v[4:5], 2, v[10:11]
	v_mov_b32_e32 v7, s7
	v_add_co_u32_e32 v4, vcc, s6, v4
	v_addc_co_u32_e32 v5, vcc, v7, v5, vcc
	global_load_dword v7, v[4:5], off
	v_add_u32_e32 v9, 1, v3
	v_cmp_gt_i32_e32 vcc, s13, v9
	v_mov_b32_e32 v9, 0
	s_and_saveexec_b64 s[38:39], vcc
	s_xor_b64 s[38:39], exec, s[38:39]
	s_cbranch_execz .LBB25_47
; %bb.46:                               ;   in Loop: Header=BB25_3 Depth=1
	v_mov_b32_e32 v9, s35
	v_add_co_u32_e32 v4, vcc, s34, v4
	v_addc_co_u32_e32 v5, vcc, v5, v9, vcc
	global_load_dword v9, v[4:5], off
.LBB25_47:                              ;   in Loop: Header=BB25_3 Depth=1
	s_or_b64 exec, exec, s[38:39]
.LBB25_48:                              ;   in Loop: Header=BB25_3 Depth=1
	s_or_b64 exec, exec, s[2:3]
	v_sub_u32_e32 v4, v3, v6
	v_add_u32_e32 v12, 1, v4
	v_ashrrev_i32_e32 v5, 31, v4
	v_ashrrev_i32_e32 v13, 31, v12
	v_cmp_ge_i64_e32 vcc, s[22:23], v[4:5]
	s_waitcnt vmcnt(0)
	v_cndmask_b32_e32 v11, 0, v7, vcc
	v_cmp_ge_i64_e32 vcc, s[24:25], v[12:13]
	v_cndmask_b32_e32 v7, 0, v9, vcc
	s_andn2_saveexec_b64 s[0:1], s[0:1]
	s_cbranch_execz .LBB25_43
.LBB25_49:                              ;   in Loop: Header=BB25_3 Depth=1
	v_mov_b32_e32 v11, 0
	v_mov_b32_e32 v7, 0
	s_or_b64 exec, exec, s[0:1]
	v_cmp_gt_i32_e32 vcc, s13, v3
	s_and_saveexec_b64 s[0:1], vcc
	s_cbranch_execz .LBB25_2
.LBB25_50:                              ;   in Loop: Header=BB25_3 Depth=1
	v_ashrrev_i32_e32 v9, 31, v8
	v_lshlrev_b64 v[4:5], 2, v[8:9]
	v_mov_b32_e32 v6, s5
	v_add_co_u32_e32 v4, vcc, s4, v4
	v_addc_co_u32_e32 v5, vcc, v6, v5, vcc
	v_add_u32_e32 v3, 1, v3
	v_cmp_gt_i32_e32 vcc, s13, v3
	global_store_dword v[4:5], v11, off
	s_and_saveexec_b64 s[2:3], vcc
	s_xor_b64 s[2:3], exec, s[2:3]
	s_cbranch_execz .LBB25_2
; %bb.51:                               ;   in Loop: Header=BB25_3 Depth=1
	v_mov_b32_e32 v3, s37
	v_add_co_u32_e32 v4, vcc, s36, v4
	v_addc_co_u32_e32 v5, vcc, v5, v3, vcc
	global_store_dword v[4:5], v7, off
	s_branch .LBB25_2
.LBB25_52:
	s_endpgm
	.section	.rodata,"a",@progbits
	.p2align	6, 0x0
	.amdhsa_kernel _ZN2at6native16triu_tril_kernelIfiLb0ELi2ELb0EEEvNS_4cuda6detail10TensorInfoIT_T0_EENS4_IKS5_S6_EEllS6_
		.amdhsa_group_segment_fixed_size 0
		.amdhsa_private_segment_fixed_size 0
		.amdhsa_kernarg_size 712
		.amdhsa_user_sgpr_count 6
		.amdhsa_user_sgpr_private_segment_buffer 1
		.amdhsa_user_sgpr_dispatch_ptr 0
		.amdhsa_user_sgpr_queue_ptr 0
		.amdhsa_user_sgpr_kernarg_segment_ptr 1
		.amdhsa_user_sgpr_dispatch_id 0
		.amdhsa_user_sgpr_flat_scratch_init 0
		.amdhsa_user_sgpr_kernarg_preload_length 0
		.amdhsa_user_sgpr_kernarg_preload_offset 0
		.amdhsa_user_sgpr_private_segment_size 0
		.amdhsa_uses_dynamic_stack 0
		.amdhsa_system_sgpr_private_segment_wavefront_offset 0
		.amdhsa_system_sgpr_workgroup_id_x 1
		.amdhsa_system_sgpr_workgroup_id_y 0
		.amdhsa_system_sgpr_workgroup_id_z 0
		.amdhsa_system_sgpr_workgroup_info 0
		.amdhsa_system_vgpr_workitem_id 0
		.amdhsa_next_free_vgpr 26
		.amdhsa_next_free_sgpr 66
		.amdhsa_accum_offset 28
		.amdhsa_reserve_vcc 1
		.amdhsa_reserve_flat_scratch 0
		.amdhsa_float_round_mode_32 0
		.amdhsa_float_round_mode_16_64 0
		.amdhsa_float_denorm_mode_32 3
		.amdhsa_float_denorm_mode_16_64 3
		.amdhsa_dx10_clamp 1
		.amdhsa_ieee_mode 1
		.amdhsa_fp16_overflow 0
		.amdhsa_tg_split 0
		.amdhsa_exception_fp_ieee_invalid_op 0
		.amdhsa_exception_fp_denorm_src 0
		.amdhsa_exception_fp_ieee_div_zero 0
		.amdhsa_exception_fp_ieee_overflow 0
		.amdhsa_exception_fp_ieee_underflow 0
		.amdhsa_exception_fp_ieee_inexact 0
		.amdhsa_exception_int_div_zero 0
	.end_amdhsa_kernel
	.section	.text._ZN2at6native16triu_tril_kernelIfiLb0ELi2ELb0EEEvNS_4cuda6detail10TensorInfoIT_T0_EENS4_IKS5_S6_EEllS6_,"axG",@progbits,_ZN2at6native16triu_tril_kernelIfiLb0ELi2ELb0EEEvNS_4cuda6detail10TensorInfoIT_T0_EENS4_IKS5_S6_EEllS6_,comdat
.Lfunc_end25:
	.size	_ZN2at6native16triu_tril_kernelIfiLb0ELi2ELb0EEEvNS_4cuda6detail10TensorInfoIT_T0_EENS4_IKS5_S6_EEllS6_, .Lfunc_end25-_ZN2at6native16triu_tril_kernelIfiLb0ELi2ELb0EEEvNS_4cuda6detail10TensorInfoIT_T0_EENS4_IKS5_S6_EEllS6_
                                        ; -- End function
	.section	.AMDGPU.csdata,"",@progbits
; Kernel info:
; codeLenInByte = 7652
; NumSgprs: 70
; NumVgprs: 26
; NumAgprs: 0
; TotalNumVgprs: 26
; ScratchSize: 0
; MemoryBound: 0
; FloatMode: 240
; IeeeMode: 1
; LDSByteSize: 0 bytes/workgroup (compile time only)
; SGPRBlocks: 8
; VGPRBlocks: 3
; NumSGPRsForWavesPerEU: 70
; NumVGPRsForWavesPerEU: 26
; AccumOffset: 28
; Occupancy: 8
; WaveLimiterHint : 0
; COMPUTE_PGM_RSRC2:SCRATCH_EN: 0
; COMPUTE_PGM_RSRC2:USER_SGPR: 6
; COMPUTE_PGM_RSRC2:TRAP_HANDLER: 0
; COMPUTE_PGM_RSRC2:TGID_X_EN: 1
; COMPUTE_PGM_RSRC2:TGID_Y_EN: 0
; COMPUTE_PGM_RSRC2:TGID_Z_EN: 0
; COMPUTE_PGM_RSRC2:TIDIG_COMP_CNT: 0
; COMPUTE_PGM_RSRC3_GFX90A:ACCUM_OFFSET: 6
; COMPUTE_PGM_RSRC3_GFX90A:TG_SPLIT: 0
	.section	.text._ZN2at6native16triu_tril_kernelIflLb0ELi2ELb1EEEvNS_4cuda6detail10TensorInfoIT_T0_EENS4_IKS5_S6_EEllS6_,"axG",@progbits,_ZN2at6native16triu_tril_kernelIflLb0ELi2ELb1EEEvNS_4cuda6detail10TensorInfoIT_T0_EENS4_IKS5_S6_EEllS6_,comdat
	.protected	_ZN2at6native16triu_tril_kernelIflLb0ELi2ELb1EEEvNS_4cuda6detail10TensorInfoIT_T0_EENS4_IKS5_S6_EEllS6_ ; -- Begin function _ZN2at6native16triu_tril_kernelIflLb0ELi2ELb1EEEvNS_4cuda6detail10TensorInfoIT_T0_EENS4_IKS5_S6_EEllS6_
	.globl	_ZN2at6native16triu_tril_kernelIflLb0ELi2ELb1EEEvNS_4cuda6detail10TensorInfoIT_T0_EENS4_IKS5_S6_EEllS6_
	.p2align	8
	.type	_ZN2at6native16triu_tril_kernelIflLb0ELi2ELb1EEEvNS_4cuda6detail10TensorInfoIT_T0_EENS4_IKS5_S6_EEllS6_,@function
_ZN2at6native16triu_tril_kernelIflLb0ELi2ELb1EEEvNS_4cuda6detail10TensorInfoIT_T0_EENS4_IKS5_S6_EEllS6_: ; @_ZN2at6native16triu_tril_kernelIflLb0ELi2ELb1EEEvNS_4cuda6detail10TensorInfoIT_T0_EENS4_IKS5_S6_EEllS6_
; %bb.0:
	s_load_dword s2, s[4:5], 0x364
	s_load_dwordx4 s[8:11], s[4:5], 0x340
	s_add_u32 s0, s4, 0x358
	v_mov_b32_e32 v2, 0
	s_addc_u32 s1, s5, 0
	s_waitcnt lgkmcnt(0)
	s_and_b32 s12, s2, 0xffff
	v_mov_b32_e32 v1, v2
	v_mov_b32_e32 v3, s6
	v_mad_u64_u32 v[0:1], s[2:3], s12, v3, v[0:1]
	v_lshlrev_b64 v[0:1], 1, v[0:1]
	v_cmp_gt_i64_e32 vcc, s[10:11], v[0:1]
	s_and_saveexec_b64 s[2:3], vcc
	s_cbranch_execz .LBB26_23
; %bb.1:
	s_load_dword s13, s[0:1], 0x0
	s_load_dword s18, s[4:5], 0x338
	s_load_dwordx2 s[2:3], s[4:5], 0x350
	s_load_dwordx2 s[6:7], s[4:5], 0x0
	s_mov_b32 s48, 0
	s_waitcnt lgkmcnt(0)
	s_mul_i32 s20, s13, s12
	s_ashr_i32 s19, s18, 31
	s_add_u32 s24, s4, 0x1a8
	s_addc_u32 s25, s5, 0
	s_lshl_b64 s[0:1], s[18:19], 3
	s_add_u32 s16, s0, -16
	s_addc_u32 s17, s1, -1
	s_add_u32 s14, s24, s16
	s_addc_u32 s15, s25, s17
	v_cmp_gt_i64_e64 s[12:13], s[18:19], 2
	s_add_u32 s19, s0, -8
	s_addc_u32 s21, s1, -1
	s_add_u32 s26, s4, 0xd0
	s_addc_u32 s27, s5, 0
	s_add_u32 s4, s26, s19
	v_cvt_f32_u32_e32 v3, s2
	s_addc_u32 s5, s27, s21
	s_add_u32 s16, s26, s16
	s_addc_u32 s17, s27, s17
	s_add_i32 s0, s18, -3
	s_ashr_i32 s1, s0, 31
	v_rcp_iflag_f32_e32 v3, v3
	s_add_u32 s18, s24, s19
	s_addc_u32 s19, s25, s21
	s_lshl_b32 s33, s20, 1
	s_lshl_b64 s[22:23], s[0:1], 3
	s_add_u32 s20, s26, s22
	s_load_dwordx2 s[14:15], s[14:15], 0x0
	s_addc_u32 s21, s27, s23
	v_mul_f32_e32 v3, 0x4f7ffffe, v3
	s_add_u32 s22, s24, s22
	v_cvt_u32_f32_e32 v14, v3
	s_addc_u32 s23, s25, s23
	s_add_u32 s24, s0, 1
	s_addc_u32 s25, s1, 0
	s_mov_b64 s[26:27], 0
	s_branch .LBB26_3
.LBB26_2:                               ;   in Loop: Header=BB26_3 Depth=1
	s_or_b64 exec, exec, s[28:29]
	v_mov_b32_e32 v3, s48
	v_add_co_u32_e32 v0, vcc, s33, v0
	v_addc_co_u32_e32 v1, vcc, v1, v3, vcc
	v_cmp_le_i64_e32 vcc, s[10:11], v[0:1]
	s_or_b64 s[26:27], vcc, s[26:27]
	s_andn2_b64 exec, exec, s[26:27]
	s_cbranch_execz .LBB26_23
.LBB26_3:                               ; =>This Loop Header: Depth=1
                                        ;     Child Loop BB26_19 Depth 2
	v_or_b32_e32 v3, s3, v1
	v_cmp_ne_u64_e32 vcc, 0, v[2:3]
                                        ; implicit-def: $vgpr6_vgpr7
	s_and_saveexec_b64 s[0:1], vcc
	s_xor_b64 s[28:29], exec, s[0:1]
	s_cbranch_execz .LBB26_5
; %bb.4:                                ;   in Loop: Header=BB26_3 Depth=1
	s_ashr_i32 s30, s3, 31
	s_add_u32 s0, s2, s30
	s_mov_b32 s31, s30
	s_addc_u32 s1, s3, s30
	s_xor_b64 s[34:35], s[0:1], s[30:31]
	v_cvt_f32_u32_e32 v3, s34
	v_cvt_f32_u32_e32 v4, s35
	s_sub_u32 s0, 0, s34
	s_subb_u32 s1, 0, s35
	v_mac_f32_e32 v3, 0x4f800000, v4
	v_rcp_f32_e32 v3, v3
	v_mul_f32_e32 v3, 0x5f7ffffc, v3
	v_mul_f32_e32 v4, 0x2f800000, v3
	v_trunc_f32_e32 v4, v4
	v_mac_f32_e32 v3, 0xcf800000, v4
	v_cvt_u32_f32_e32 v4, v4
	v_cvt_u32_f32_e32 v3, v3
	v_mul_lo_u32 v5, s0, v4
	v_mul_hi_u32 v7, s0, v3
	v_mul_lo_u32 v6, s1, v3
	v_add_u32_e32 v5, v7, v5
	v_mul_lo_u32 v8, s0, v3
	v_add_u32_e32 v5, v5, v6
	v_mul_lo_u32 v7, v3, v5
	v_mul_hi_u32 v9, v3, v8
	v_mul_hi_u32 v6, v3, v5
	v_add_co_u32_e32 v7, vcc, v9, v7
	v_addc_co_u32_e32 v6, vcc, 0, v6, vcc
	v_mul_hi_u32 v10, v4, v8
	v_mul_lo_u32 v8, v4, v8
	v_add_co_u32_e32 v7, vcc, v7, v8
	v_mul_hi_u32 v9, v4, v5
	v_addc_co_u32_e32 v6, vcc, v6, v10, vcc
	v_addc_co_u32_e32 v7, vcc, 0, v9, vcc
	v_mul_lo_u32 v5, v4, v5
	v_add_co_u32_e32 v5, vcc, v6, v5
	v_addc_co_u32_e32 v6, vcc, 0, v7, vcc
	v_add_co_u32_e32 v3, vcc, v3, v5
	v_addc_co_u32_e32 v4, vcc, v4, v6, vcc
	v_mul_lo_u32 v5, s0, v4
	v_mul_hi_u32 v6, s0, v3
	v_add_u32_e32 v5, v6, v5
	v_mul_lo_u32 v6, s1, v3
	v_add_u32_e32 v5, v5, v6
	v_mul_lo_u32 v7, s0, v3
	v_mul_hi_u32 v8, v4, v7
	v_mul_lo_u32 v9, v4, v7
	v_mul_lo_u32 v11, v3, v5
	v_mul_hi_u32 v7, v3, v7
	v_mul_hi_u32 v10, v3, v5
	v_add_co_u32_e32 v7, vcc, v7, v11
	v_addc_co_u32_e32 v10, vcc, 0, v10, vcc
	v_add_co_u32_e32 v7, vcc, v7, v9
	v_mul_hi_u32 v6, v4, v5
	v_addc_co_u32_e32 v7, vcc, v10, v8, vcc
	v_addc_co_u32_e32 v6, vcc, 0, v6, vcc
	v_mul_lo_u32 v5, v4, v5
	v_add_co_u32_e32 v5, vcc, v7, v5
	v_addc_co_u32_e32 v6, vcc, 0, v6, vcc
	v_add_co_u32_e32 v3, vcc, v3, v5
	v_addc_co_u32_e32 v6, vcc, v4, v6, vcc
	v_ashrrev_i32_e32 v8, 31, v1
	v_add_co_u32_e32 v4, vcc, v0, v8
	v_addc_co_u32_e32 v5, vcc, v1, v8, vcc
	v_xor_b32_e32 v10, v4, v8
	v_xor_b32_e32 v9, v5, v8
	v_mad_u64_u32 v[4:5], s[0:1], v10, v6, 0
	v_mul_hi_u32 v7, v10, v3
	v_add_co_u32_e32 v11, vcc, v7, v4
	v_addc_co_u32_e32 v12, vcc, 0, v5, vcc
	v_mad_u64_u32 v[4:5], s[0:1], v9, v6, 0
	v_mad_u64_u32 v[6:7], s[0:1], v9, v3, 0
	v_add_co_u32_e32 v3, vcc, v11, v6
	v_addc_co_u32_e32 v3, vcc, v12, v7, vcc
	v_addc_co_u32_e32 v5, vcc, 0, v5, vcc
	v_add_co_u32_e32 v3, vcc, v3, v4
	v_addc_co_u32_e32 v6, vcc, 0, v5, vcc
	v_mul_lo_u32 v7, s35, v3
	v_mul_lo_u32 v11, s34, v6
	v_mad_u64_u32 v[4:5], s[0:1], s34, v3, 0
	v_add3_u32 v5, v5, v11, v7
	v_sub_u32_e32 v7, v9, v5
	v_mov_b32_e32 v11, s35
	v_sub_co_u32_e32 v4, vcc, v10, v4
	v_subb_co_u32_e64 v7, s[0:1], v7, v11, vcc
	v_subrev_co_u32_e64 v10, s[0:1], s34, v4
	v_subbrev_co_u32_e64 v7, s[0:1], 0, v7, s[0:1]
	v_cmp_le_u32_e64 s[0:1], s35, v7
	v_cndmask_b32_e64 v11, 0, -1, s[0:1]
	v_cmp_le_u32_e64 s[0:1], s34, v10
	v_cndmask_b32_e64 v10, 0, -1, s[0:1]
	v_cmp_eq_u32_e64 s[0:1], s35, v7
	v_cndmask_b32_e64 v7, v11, v10, s[0:1]
	v_add_co_u32_e64 v10, s[0:1], 2, v3
	v_subb_co_u32_e32 v5, vcc, v9, v5, vcc
	v_addc_co_u32_e64 v11, s[0:1], 0, v6, s[0:1]
	v_cmp_le_u32_e32 vcc, s35, v5
	v_add_co_u32_e64 v12, s[0:1], 1, v3
	v_cndmask_b32_e64 v9, 0, -1, vcc
	v_cmp_le_u32_e32 vcc, s34, v4
	v_addc_co_u32_e64 v13, s[0:1], 0, v6, s[0:1]
	v_cndmask_b32_e64 v4, 0, -1, vcc
	v_cmp_eq_u32_e32 vcc, s35, v5
	v_cmp_ne_u32_e64 s[0:1], 0, v7
	v_cndmask_b32_e32 v4, v9, v4, vcc
	v_cmp_ne_u32_e32 vcc, 0, v4
	v_cndmask_b32_e64 v5, v12, v10, s[0:1]
	v_cndmask_b32_e64 v7, v13, v11, s[0:1]
	v_cndmask_b32_e32 v3, v3, v5, vcc
	v_xor_b32_e32 v5, s30, v8
	v_cndmask_b32_e32 v4, v6, v7, vcc
	v_xor_b32_e32 v3, v3, v5
	v_xor_b32_e32 v4, v4, v5
	v_sub_co_u32_e32 v6, vcc, v3, v5
	v_subb_co_u32_e32 v7, vcc, v4, v5, vcc
.LBB26_5:                               ;   in Loop: Header=BB26_3 Depth=1
	s_andn2_saveexec_b64 s[0:1], s[28:29]
	s_cbranch_execz .LBB26_7
; %bb.6:                                ;   in Loop: Header=BB26_3 Depth=1
	s_sub_i32 s28, 0, s2
	v_mul_lo_u32 v3, s28, v14
	v_mul_hi_u32 v3, v14, v3
	v_add_u32_e32 v3, v14, v3
	v_mul_hi_u32 v3, v0, v3
	v_mul_lo_u32 v4, v3, s2
	v_sub_u32_e32 v4, v0, v4
	v_subrev_u32_e32 v5, s2, v4
	v_cmp_le_u32_e32 vcc, s2, v4
	v_cndmask_b32_e32 v4, v4, v5, vcc
	v_add_u32_e32 v5, 1, v3
	v_cndmask_b32_e32 v3, v3, v5, vcc
	v_add_u32_e32 v5, 1, v3
	v_cmp_le_u32_e32 vcc, s2, v4
	v_cndmask_b32_e32 v6, v3, v5, vcc
	v_mov_b32_e32 v7, v2
.LBB26_7:                               ;   in Loop: Header=BB26_3 Depth=1
	s_or_b64 exec, exec, s[0:1]
	s_waitcnt lgkmcnt(0)
	v_or_b32_e32 v3, s15, v7
	v_cmp_ne_u64_e32 vcc, 0, v[2:3]
                                        ; implicit-def: $vgpr8_vgpr9
	s_and_saveexec_b64 s[0:1], vcc
	s_xor_b64 s[28:29], exec, s[0:1]
	s_cbranch_execz .LBB26_9
; %bb.8:                                ;   in Loop: Header=BB26_3 Depth=1
	s_ashr_i32 s30, s15, 31
	s_add_u32 s0, s14, s30
	s_mov_b32 s31, s30
	s_addc_u32 s1, s15, s30
	s_xor_b64 s[34:35], s[0:1], s[30:31]
	v_cvt_f32_u32_e32 v3, s34
	v_cvt_f32_u32_e32 v4, s35
	s_sub_u32 s0, 0, s34
	s_subb_u32 s1, 0, s35
	v_mac_f32_e32 v3, 0x4f800000, v4
	v_rcp_f32_e32 v3, v3
	v_mul_f32_e32 v3, 0x5f7ffffc, v3
	v_mul_f32_e32 v4, 0x2f800000, v3
	v_trunc_f32_e32 v4, v4
	v_mac_f32_e32 v3, 0xcf800000, v4
	v_cvt_u32_f32_e32 v4, v4
	v_cvt_u32_f32_e32 v3, v3
	v_mul_lo_u32 v5, s0, v4
	v_mul_hi_u32 v9, s0, v3
	v_mul_lo_u32 v8, s1, v3
	v_add_u32_e32 v5, v9, v5
	v_mul_lo_u32 v10, s0, v3
	v_add_u32_e32 v5, v5, v8
	v_mul_lo_u32 v9, v3, v5
	v_mul_hi_u32 v11, v3, v10
	v_mul_hi_u32 v8, v3, v5
	v_add_co_u32_e32 v9, vcc, v11, v9
	v_addc_co_u32_e32 v8, vcc, 0, v8, vcc
	v_mul_hi_u32 v12, v4, v10
	v_mul_lo_u32 v10, v4, v10
	v_add_co_u32_e32 v9, vcc, v9, v10
	v_mul_hi_u32 v11, v4, v5
	v_addc_co_u32_e32 v8, vcc, v8, v12, vcc
	v_addc_co_u32_e32 v9, vcc, 0, v11, vcc
	v_mul_lo_u32 v5, v4, v5
	v_add_co_u32_e32 v5, vcc, v8, v5
	v_addc_co_u32_e32 v8, vcc, 0, v9, vcc
	v_add_co_u32_e32 v3, vcc, v3, v5
	v_addc_co_u32_e32 v4, vcc, v4, v8, vcc
	v_mul_lo_u32 v5, s0, v4
	v_mul_hi_u32 v8, s0, v3
	v_add_u32_e32 v5, v8, v5
	v_mul_lo_u32 v8, s1, v3
	v_add_u32_e32 v5, v5, v8
	v_mul_lo_u32 v9, s0, v3
	v_mul_hi_u32 v10, v4, v9
	v_mul_lo_u32 v11, v4, v9
	v_mul_lo_u32 v13, v3, v5
	v_mul_hi_u32 v9, v3, v9
	v_mul_hi_u32 v12, v3, v5
	v_add_co_u32_e32 v9, vcc, v9, v13
	v_addc_co_u32_e32 v12, vcc, 0, v12, vcc
	v_add_co_u32_e32 v9, vcc, v9, v11
	v_mul_hi_u32 v8, v4, v5
	v_addc_co_u32_e32 v9, vcc, v12, v10, vcc
	v_addc_co_u32_e32 v8, vcc, 0, v8, vcc
	v_mul_lo_u32 v5, v4, v5
	v_add_co_u32_e32 v5, vcc, v9, v5
	v_addc_co_u32_e32 v8, vcc, 0, v8, vcc
	v_add_co_u32_e32 v3, vcc, v3, v5
	v_addc_co_u32_e32 v8, vcc, v4, v8, vcc
	v_ashrrev_i32_e32 v10, 31, v7
	v_add_co_u32_e32 v4, vcc, v6, v10
	v_addc_co_u32_e32 v5, vcc, v7, v10, vcc
	v_xor_b32_e32 v12, v4, v10
	v_xor_b32_e32 v11, v5, v10
	v_mad_u64_u32 v[4:5], s[0:1], v12, v8, 0
	v_mul_hi_u32 v9, v12, v3
	v_add_co_u32_e32 v13, vcc, v9, v4
	v_addc_co_u32_e32 v15, vcc, 0, v5, vcc
	v_mad_u64_u32 v[4:5], s[0:1], v11, v8, 0
	v_mad_u64_u32 v[8:9], s[0:1], v11, v3, 0
	v_add_co_u32_e32 v3, vcc, v13, v8
	v_addc_co_u32_e32 v3, vcc, v15, v9, vcc
	v_addc_co_u32_e32 v5, vcc, 0, v5, vcc
	v_add_co_u32_e32 v3, vcc, v3, v4
	v_addc_co_u32_e32 v8, vcc, 0, v5, vcc
	v_mul_lo_u32 v9, s35, v3
	v_mul_lo_u32 v13, s34, v8
	v_mad_u64_u32 v[4:5], s[0:1], s34, v3, 0
	v_add3_u32 v5, v5, v13, v9
	v_sub_u32_e32 v9, v11, v5
	v_mov_b32_e32 v13, s35
	v_sub_co_u32_e32 v4, vcc, v12, v4
	v_subb_co_u32_e64 v9, s[0:1], v9, v13, vcc
	v_subrev_co_u32_e64 v12, s[0:1], s34, v4
	v_subbrev_co_u32_e64 v9, s[0:1], 0, v9, s[0:1]
	v_cmp_le_u32_e64 s[0:1], s35, v9
	v_cndmask_b32_e64 v13, 0, -1, s[0:1]
	v_cmp_le_u32_e64 s[0:1], s34, v12
	v_cndmask_b32_e64 v12, 0, -1, s[0:1]
	v_cmp_eq_u32_e64 s[0:1], s35, v9
	v_cndmask_b32_e64 v9, v13, v12, s[0:1]
	v_add_co_u32_e64 v12, s[0:1], 2, v3
	v_subb_co_u32_e32 v5, vcc, v11, v5, vcc
	v_addc_co_u32_e64 v13, s[0:1], 0, v8, s[0:1]
	v_cmp_le_u32_e32 vcc, s35, v5
	v_add_co_u32_e64 v15, s[0:1], 1, v3
	v_cndmask_b32_e64 v11, 0, -1, vcc
	v_cmp_le_u32_e32 vcc, s34, v4
	v_addc_co_u32_e64 v16, s[0:1], 0, v8, s[0:1]
	v_cndmask_b32_e64 v4, 0, -1, vcc
	v_cmp_eq_u32_e32 vcc, s35, v5
	v_cmp_ne_u32_e64 s[0:1], 0, v9
	v_cndmask_b32_e32 v4, v11, v4, vcc
	v_cmp_ne_u32_e32 vcc, 0, v4
	v_cndmask_b32_e64 v5, v15, v12, s[0:1]
	v_cndmask_b32_e64 v9, v16, v13, s[0:1]
	v_cndmask_b32_e32 v3, v3, v5, vcc
	v_xor_b32_e32 v5, s30, v10
	v_cndmask_b32_e32 v4, v8, v9, vcc
	v_xor_b32_e32 v3, v3, v5
	v_xor_b32_e32 v4, v4, v5
	v_sub_co_u32_e32 v8, vcc, v3, v5
	v_subb_co_u32_e32 v9, vcc, v4, v5, vcc
.LBB26_9:                               ;   in Loop: Header=BB26_3 Depth=1
	s_andn2_saveexec_b64 s[0:1], s[28:29]
	s_cbranch_execz .LBB26_11
; %bb.10:                               ;   in Loop: Header=BB26_3 Depth=1
	v_cvt_f32_u32_e32 v3, s14
	s_sub_i32 s28, 0, s14
	v_mov_b32_e32 v9, v2
	v_rcp_iflag_f32_e32 v3, v3
	v_mul_f32_e32 v3, 0x4f7ffffe, v3
	v_cvt_u32_f32_e32 v3, v3
	v_mul_lo_u32 v4, s28, v3
	v_mul_hi_u32 v4, v3, v4
	v_add_u32_e32 v3, v3, v4
	v_mul_hi_u32 v3, v6, v3
	v_mul_lo_u32 v4, v3, s14
	v_sub_u32_e32 v4, v6, v4
	v_add_u32_e32 v5, 1, v3
	v_subrev_u32_e32 v8, s14, v4
	v_cmp_le_u32_e32 vcc, s14, v4
	v_cndmask_b32_e32 v4, v4, v8, vcc
	v_cndmask_b32_e32 v3, v3, v5, vcc
	v_add_u32_e32 v5, 1, v3
	v_cmp_le_u32_e32 vcc, s14, v4
	v_cndmask_b32_e32 v8, v3, v5, vcc
.LBB26_11:                              ;   in Loop: Header=BB26_3 Depth=1
	s_or_b64 exec, exec, s[0:1]
	v_mul_lo_u32 v3, v7, s2
	v_mul_lo_u32 v10, v6, s3
	v_mad_u64_u32 v[4:5], s[0:1], v6, s2, 0
	v_add3_u32 v3, v5, v10, v3
	v_sub_co_u32_e32 v4, vcc, v0, v4
	v_subb_co_u32_e32 v5, vcc, v1, v3, vcc
	v_mul_lo_u32 v3, v9, s14
	v_mul_lo_u32 v12, v8, s15
	v_mad_u64_u32 v[10:11], s[0:1], v8, s14, 0
	v_add3_u32 v3, v11, v12, v3
	v_sub_co_u32_e32 v15, vcc, v6, v10
	v_subb_co_u32_e32 v16, vcc, v7, v3, vcc
	v_sub_co_u32_e32 v6, vcc, v4, v15
	v_subb_co_u32_e32 v7, vcc, v5, v16, vcc
	v_add_co_u32_e32 v10, vcc, 2, v6
	v_addc_co_u32_e32 v11, vcc, 0, v7, vcc
	v_cmp_lt_i64_e32 vcc, s[8:9], v[10:11]
	s_and_saveexec_b64 s[28:29], vcc
	s_cbranch_execz .LBB26_2
; %bb.12:                               ;   in Loop: Header=BB26_3 Depth=1
	s_load_dwordx2 s[30:31], s[4:5], 0x0
	s_load_dwordx2 s[0:1], s[16:17], 0x0
	s_and_b64 vcc, exec, s[12:13]
	s_mov_b64 s[36:37], s[22:23]
	s_mov_b64 s[38:39], s[20:21]
	s_waitcnt lgkmcnt(0)
	v_mul_lo_u32 v3, s31, v4
	v_mul_lo_u32 v12, s30, v5
	v_mad_u64_u32 v[10:11], s[34:35], s30, v4, 0
	v_add3_u32 v11, v11, v12, v3
	v_mad_u64_u32 v[10:11], s[34:35], s0, v15, v[10:11]
	v_mul_lo_u32 v3, s0, v16
	v_mul_lo_u32 v12, s1, v15
	v_add3_u32 v11, v12, v11, v3
	s_mov_b64 s[34:35], s[24:25]
	s_cbranch_vccnz .LBB26_19
.LBB26_13:                              ;   in Loop: Header=BB26_3 Depth=1
	s_load_dwordx2 s[0:1], s[18:19], 0x0
	s_waitcnt lgkmcnt(0)
	v_cmp_gt_i64_e32 vcc, s[0:1], v[4:5]
	s_and_b64 exec, exec, vcc
	s_cbranch_execz .LBB26_2
; %bb.14:                               ;   in Loop: Header=BB26_3 Depth=1
	v_lshlrev_b64 v[8:9], 2, v[10:11]
	v_mov_b32_e32 v3, s7
	v_add_co_u32_e32 v8, vcc, s6, v8
	v_addc_co_u32_e32 v9, vcc, v3, v9, vcc
	v_cmp_lt_i64_e32 vcc, s[8:9], v[6:7]
	s_and_saveexec_b64 s[34:35], vcc
	s_cbranch_execz .LBB26_16
; %bb.15:                               ;   in Loop: Header=BB26_3 Depth=1
	global_store_dword v[8:9], v2, off
.LBB26_16:                              ;   in Loop: Header=BB26_3 Depth=1
	s_or_b64 exec, exec, s[34:35]
	v_add_co_u32_e32 v4, vcc, 1, v4
	v_addc_co_u32_e32 v5, vcc, 0, v5, vcc
	v_cmp_gt_i64_e32 vcc, s[0:1], v[4:5]
	v_sub_co_u32_e64 v4, s[0:1], v4, v15
	v_subb_co_u32_e64 v5, s[0:1], v5, v16, s[0:1]
	v_cmp_lt_i64_e64 s[0:1], s[8:9], v[4:5]
	s_and_b64 s[0:1], vcc, s[0:1]
	s_and_b64 exec, exec, s[0:1]
	s_cbranch_execz .LBB26_2
; %bb.17:                               ;   in Loop: Header=BB26_3 Depth=1
	s_lshl_b64 s[0:1], s[30:31], 2
	v_mov_b32_e32 v3, s1
	v_add_co_u32_e32 v4, vcc, s0, v8
	v_addc_co_u32_e32 v5, vcc, v9, v3, vcc
	global_store_dword v[4:5], v2, off
	s_branch .LBB26_2
.LBB26_18:                              ;   in Loop: Header=BB26_19 Depth=2
	s_or_b64 exec, exec, s[0:1]
	v_mad_u64_u32 v[18:19], s[0:1], v12, s40, 0
	s_load_dwordx2 s[0:1], s[38:39], 0x0
	s_add_u32 s38, s38, -8
	s_addc_u32 s39, s39, -1
	v_mul_lo_u32 v3, v13, s40
	v_mul_lo_u32 v17, v12, s41
	s_add_u32 s36, s36, -8
	v_add3_u32 v3, v19, v17, v3
	v_sub_co_u32_e32 v8, vcc, v8, v18
	s_addc_u32 s37, s37, -1
	v_subb_co_u32_e32 v3, vcc, v9, v3, vcc
	s_add_u32 s34, s34, -1
	s_waitcnt lgkmcnt(0)
	v_mul_lo_u32 v3, s0, v3
	v_mul_lo_u32 v9, s1, v8
	v_mad_u64_u32 v[10:11], s[0:1], s0, v8, v[10:11]
	s_addc_u32 s35, s35, -1
	v_cmp_lt_i64_e64 s[0:1], s[34:35], 1
	v_add3_u32 v11, v9, v11, v3
	s_and_b64 vcc, exec, s[0:1]
	v_pk_mov_b32 v[8:9], v[12:13], v[12:13] op_sel:[0,1]
	s_cbranch_vccnz .LBB26_13
.LBB26_19:                              ;   Parent Loop BB26_3 Depth=1
                                        ; =>  This Inner Loop Header: Depth=2
	s_load_dwordx2 s[40:41], s[36:37], 0x0
                                        ; implicit-def: $vgpr12_vgpr13
	s_waitcnt lgkmcnt(0)
	v_or_b32_e32 v3, s41, v9
	v_cmp_ne_u64_e32 vcc, 0, v[2:3]
	s_and_saveexec_b64 s[0:1], vcc
	s_xor_b64 s[42:43], exec, s[0:1]
	s_cbranch_execz .LBB26_21
; %bb.20:                               ;   in Loop: Header=BB26_19 Depth=2
	s_ashr_i32 s44, s41, 31
	s_add_u32 s0, s40, s44
	s_mov_b32 s45, s44
	s_addc_u32 s1, s41, s44
	s_xor_b64 s[46:47], s[0:1], s[44:45]
	v_cvt_f32_u32_e32 v3, s46
	v_cvt_f32_u32_e32 v12, s47
	s_sub_u32 s0, 0, s46
	s_subb_u32 s1, 0, s47
	v_mac_f32_e32 v3, 0x4f800000, v12
	v_rcp_f32_e32 v3, v3
	v_mul_f32_e32 v3, 0x5f7ffffc, v3
	v_mul_f32_e32 v12, 0x2f800000, v3
	v_trunc_f32_e32 v12, v12
	v_mac_f32_e32 v3, 0xcf800000, v12
	v_cvt_u32_f32_e32 v12, v12
	v_cvt_u32_f32_e32 v3, v3
	v_mul_lo_u32 v13, s0, v12
	v_mul_hi_u32 v18, s0, v3
	v_mul_lo_u32 v17, s1, v3
	v_add_u32_e32 v13, v18, v13
	v_mul_lo_u32 v19, s0, v3
	v_add_u32_e32 v13, v13, v17
	v_mul_lo_u32 v18, v3, v13
	v_mul_hi_u32 v20, v3, v19
	v_mul_hi_u32 v17, v3, v13
	v_add_co_u32_e32 v18, vcc, v20, v18
	v_addc_co_u32_e32 v17, vcc, 0, v17, vcc
	v_mul_hi_u32 v21, v12, v19
	v_mul_lo_u32 v19, v12, v19
	v_add_co_u32_e32 v18, vcc, v18, v19
	v_mul_hi_u32 v20, v12, v13
	v_addc_co_u32_e32 v17, vcc, v17, v21, vcc
	v_addc_co_u32_e32 v18, vcc, 0, v20, vcc
	v_mul_lo_u32 v13, v12, v13
	v_add_co_u32_e32 v13, vcc, v17, v13
	v_addc_co_u32_e32 v17, vcc, 0, v18, vcc
	v_add_co_u32_e32 v3, vcc, v3, v13
	v_addc_co_u32_e32 v12, vcc, v12, v17, vcc
	v_mul_lo_u32 v13, s0, v12
	v_mul_hi_u32 v17, s0, v3
	v_add_u32_e32 v13, v17, v13
	v_mul_lo_u32 v17, s1, v3
	v_add_u32_e32 v13, v13, v17
	v_mul_lo_u32 v18, s0, v3
	v_mul_hi_u32 v19, v12, v18
	v_mul_lo_u32 v20, v12, v18
	v_mul_lo_u32 v22, v3, v13
	v_mul_hi_u32 v18, v3, v18
	v_mul_hi_u32 v21, v3, v13
	v_add_co_u32_e32 v18, vcc, v18, v22
	v_addc_co_u32_e32 v21, vcc, 0, v21, vcc
	v_add_co_u32_e32 v18, vcc, v18, v20
	v_mul_hi_u32 v17, v12, v13
	v_addc_co_u32_e32 v18, vcc, v21, v19, vcc
	v_addc_co_u32_e32 v17, vcc, 0, v17, vcc
	v_mul_lo_u32 v13, v12, v13
	v_add_co_u32_e32 v13, vcc, v18, v13
	v_addc_co_u32_e32 v17, vcc, 0, v17, vcc
	v_add_co_u32_e32 v3, vcc, v3, v13
	v_addc_co_u32_e32 v17, vcc, v12, v17, vcc
	v_ashrrev_i32_e32 v20, 31, v9
	v_add_co_u32_e32 v12, vcc, v8, v20
	v_addc_co_u32_e32 v13, vcc, v9, v20, vcc
	v_xor_b32_e32 v22, v12, v20
	v_xor_b32_e32 v21, v13, v20
	v_mad_u64_u32 v[12:13], s[0:1], v22, v17, 0
	v_mul_hi_u32 v18, v22, v3
	v_add_co_u32_e32 v23, vcc, v18, v12
	v_addc_co_u32_e32 v24, vcc, 0, v13, vcc
	v_mad_u64_u32 v[18:19], s[0:1], v21, v3, 0
	v_add_co_u32_e32 v3, vcc, v23, v18
	v_mad_u64_u32 v[12:13], s[0:1], v21, v17, 0
	v_addc_co_u32_e32 v3, vcc, v24, v19, vcc
	v_addc_co_u32_e32 v13, vcc, 0, v13, vcc
	v_add_co_u32_e32 v3, vcc, v3, v12
	v_addc_co_u32_e32 v17, vcc, 0, v13, vcc
	v_mul_lo_u32 v18, s47, v3
	v_mul_lo_u32 v19, s46, v17
	v_mad_u64_u32 v[12:13], s[0:1], s46, v3, 0
	v_add3_u32 v13, v13, v19, v18
	v_sub_u32_e32 v18, v21, v13
	v_mov_b32_e32 v19, s47
	v_sub_co_u32_e32 v12, vcc, v22, v12
	v_subb_co_u32_e64 v18, s[0:1], v18, v19, vcc
	v_subrev_co_u32_e64 v19, s[0:1], s46, v12
	v_subbrev_co_u32_e64 v18, s[0:1], 0, v18, s[0:1]
	v_cmp_le_u32_e64 s[0:1], s47, v18
	v_cndmask_b32_e64 v22, 0, -1, s[0:1]
	v_cmp_le_u32_e64 s[0:1], s46, v19
	v_cndmask_b32_e64 v19, 0, -1, s[0:1]
	v_cmp_eq_u32_e64 s[0:1], s47, v18
	v_cndmask_b32_e64 v18, v22, v19, s[0:1]
	v_add_co_u32_e64 v19, s[0:1], 2, v3
	v_subb_co_u32_e32 v13, vcc, v21, v13, vcc
	v_addc_co_u32_e64 v22, s[0:1], 0, v17, s[0:1]
	v_cmp_le_u32_e32 vcc, s47, v13
	v_add_co_u32_e64 v23, s[0:1], 1, v3
	v_cndmask_b32_e64 v21, 0, -1, vcc
	v_cmp_le_u32_e32 vcc, s46, v12
	v_addc_co_u32_e64 v24, s[0:1], 0, v17, s[0:1]
	v_cndmask_b32_e64 v12, 0, -1, vcc
	v_cmp_eq_u32_e32 vcc, s47, v13
	v_cmp_ne_u32_e64 s[0:1], 0, v18
	v_cndmask_b32_e32 v12, v21, v12, vcc
	v_cmp_ne_u32_e32 vcc, 0, v12
	v_cndmask_b32_e64 v13, v23, v19, s[0:1]
	v_cndmask_b32_e64 v18, v24, v22, s[0:1]
	v_cndmask_b32_e32 v3, v3, v13, vcc
	v_xor_b32_e32 v13, s44, v20
	v_cndmask_b32_e32 v12, v17, v18, vcc
	v_xor_b32_e32 v3, v3, v13
	v_xor_b32_e32 v17, v12, v13
	v_sub_co_u32_e32 v12, vcc, v3, v13
	v_subb_co_u32_e32 v13, vcc, v17, v13, vcc
.LBB26_21:                              ;   in Loop: Header=BB26_19 Depth=2
	s_andn2_saveexec_b64 s[0:1], s[42:43]
	s_cbranch_execz .LBB26_18
; %bb.22:                               ;   in Loop: Header=BB26_19 Depth=2
	v_cvt_f32_u32_e32 v3, s40
	s_sub_i32 s42, 0, s40
	v_rcp_iflag_f32_e32 v3, v3
	v_mul_f32_e32 v3, 0x4f7ffffe, v3
	v_cvt_u32_f32_e32 v3, v3
	v_mul_lo_u32 v12, s42, v3
	v_mul_hi_u32 v12, v3, v12
	v_add_u32_e32 v3, v3, v12
	v_mul_hi_u32 v3, v8, v3
	v_mul_lo_u32 v12, v3, s40
	v_sub_u32_e32 v12, v8, v12
	v_add_u32_e32 v13, 1, v3
	v_subrev_u32_e32 v17, s40, v12
	v_cmp_le_u32_e32 vcc, s40, v12
	v_cndmask_b32_e32 v12, v12, v17, vcc
	v_cndmask_b32_e32 v3, v3, v13, vcc
	v_add_u32_e32 v13, 1, v3
	v_cmp_le_u32_e32 vcc, s40, v12
	v_cndmask_b32_e32 v12, v3, v13, vcc
	v_mov_b32_e32 v13, v2
	s_branch .LBB26_18
.LBB26_23:
	s_endpgm
	.section	.rodata,"a",@progbits
	.p2align	6, 0x0
	.amdhsa_kernel _ZN2at6native16triu_tril_kernelIflLb0ELi2ELb1EEEvNS_4cuda6detail10TensorInfoIT_T0_EENS4_IKS5_S6_EEllS6_
		.amdhsa_group_segment_fixed_size 0
		.amdhsa_private_segment_fixed_size 0
		.amdhsa_kernarg_size 1112
		.amdhsa_user_sgpr_count 6
		.amdhsa_user_sgpr_private_segment_buffer 1
		.amdhsa_user_sgpr_dispatch_ptr 0
		.amdhsa_user_sgpr_queue_ptr 0
		.amdhsa_user_sgpr_kernarg_segment_ptr 1
		.amdhsa_user_sgpr_dispatch_id 0
		.amdhsa_user_sgpr_flat_scratch_init 0
		.amdhsa_user_sgpr_kernarg_preload_length 0
		.amdhsa_user_sgpr_kernarg_preload_offset 0
		.amdhsa_user_sgpr_private_segment_size 0
		.amdhsa_uses_dynamic_stack 0
		.amdhsa_system_sgpr_private_segment_wavefront_offset 0
		.amdhsa_system_sgpr_workgroup_id_x 1
		.amdhsa_system_sgpr_workgroup_id_y 0
		.amdhsa_system_sgpr_workgroup_id_z 0
		.amdhsa_system_sgpr_workgroup_info 0
		.amdhsa_system_vgpr_workitem_id 0
		.amdhsa_next_free_vgpr 25
		.amdhsa_next_free_sgpr 49
		.amdhsa_accum_offset 28
		.amdhsa_reserve_vcc 1
		.amdhsa_reserve_flat_scratch 0
		.amdhsa_float_round_mode_32 0
		.amdhsa_float_round_mode_16_64 0
		.amdhsa_float_denorm_mode_32 3
		.amdhsa_float_denorm_mode_16_64 3
		.amdhsa_dx10_clamp 1
		.amdhsa_ieee_mode 1
		.amdhsa_fp16_overflow 0
		.amdhsa_tg_split 0
		.amdhsa_exception_fp_ieee_invalid_op 0
		.amdhsa_exception_fp_denorm_src 0
		.amdhsa_exception_fp_ieee_div_zero 0
		.amdhsa_exception_fp_ieee_overflow 0
		.amdhsa_exception_fp_ieee_underflow 0
		.amdhsa_exception_fp_ieee_inexact 0
		.amdhsa_exception_int_div_zero 0
	.end_amdhsa_kernel
	.section	.text._ZN2at6native16triu_tril_kernelIflLb0ELi2ELb1EEEvNS_4cuda6detail10TensorInfoIT_T0_EENS4_IKS5_S6_EEllS6_,"axG",@progbits,_ZN2at6native16triu_tril_kernelIflLb0ELi2ELb1EEEvNS_4cuda6detail10TensorInfoIT_T0_EENS4_IKS5_S6_EEllS6_,comdat
.Lfunc_end26:
	.size	_ZN2at6native16triu_tril_kernelIflLb0ELi2ELb1EEEvNS_4cuda6detail10TensorInfoIT_T0_EENS4_IKS5_S6_EEllS6_, .Lfunc_end26-_ZN2at6native16triu_tril_kernelIflLb0ELi2ELb1EEEvNS_4cuda6detail10TensorInfoIT_T0_EENS4_IKS5_S6_EEllS6_
                                        ; -- End function
	.section	.AMDGPU.csdata,"",@progbits
; Kernel info:
; codeLenInByte = 3212
; NumSgprs: 53
; NumVgprs: 25
; NumAgprs: 0
; TotalNumVgprs: 25
; ScratchSize: 0
; MemoryBound: 0
; FloatMode: 240
; IeeeMode: 1
; LDSByteSize: 0 bytes/workgroup (compile time only)
; SGPRBlocks: 6
; VGPRBlocks: 3
; NumSGPRsForWavesPerEU: 53
; NumVGPRsForWavesPerEU: 25
; AccumOffset: 28
; Occupancy: 8
; WaveLimiterHint : 0
; COMPUTE_PGM_RSRC2:SCRATCH_EN: 0
; COMPUTE_PGM_RSRC2:USER_SGPR: 6
; COMPUTE_PGM_RSRC2:TRAP_HANDLER: 0
; COMPUTE_PGM_RSRC2:TGID_X_EN: 1
; COMPUTE_PGM_RSRC2:TGID_Y_EN: 0
; COMPUTE_PGM_RSRC2:TGID_Z_EN: 0
; COMPUTE_PGM_RSRC2:TIDIG_COMP_CNT: 0
; COMPUTE_PGM_RSRC3_GFX90A:ACCUM_OFFSET: 6
; COMPUTE_PGM_RSRC3_GFX90A:TG_SPLIT: 0
	.section	.text._ZN2at6native16triu_tril_kernelIflLb0ELi2ELb0EEEvNS_4cuda6detail10TensorInfoIT_T0_EENS4_IKS5_S6_EEllS6_,"axG",@progbits,_ZN2at6native16triu_tril_kernelIflLb0ELi2ELb0EEEvNS_4cuda6detail10TensorInfoIT_T0_EENS4_IKS5_S6_EEllS6_,comdat
	.protected	_ZN2at6native16triu_tril_kernelIflLb0ELi2ELb0EEEvNS_4cuda6detail10TensorInfoIT_T0_EENS4_IKS5_S6_EEllS6_ ; -- Begin function _ZN2at6native16triu_tril_kernelIflLb0ELi2ELb0EEEvNS_4cuda6detail10TensorInfoIT_T0_EENS4_IKS5_S6_EEllS6_
	.globl	_ZN2at6native16triu_tril_kernelIflLb0ELi2ELb0EEEvNS_4cuda6detail10TensorInfoIT_T0_EENS4_IKS5_S6_EEllS6_
	.p2align	8
	.type	_ZN2at6native16triu_tril_kernelIflLb0ELi2ELb0EEEvNS_4cuda6detail10TensorInfoIT_T0_EENS4_IKS5_S6_EEllS6_,@function
_ZN2at6native16triu_tril_kernelIflLb0ELi2ELb0EEEvNS_4cuda6detail10TensorInfoIT_T0_EENS4_IKS5_S6_EEllS6_: ; @_ZN2at6native16triu_tril_kernelIflLb0ELi2ELb0EEEvNS_4cuda6detail10TensorInfoIT_T0_EENS4_IKS5_S6_EEllS6_
; %bb.0:
	s_load_dword s2, s[4:5], 0x364
	s_load_dwordx4 s[8:11], s[4:5], 0x340
	s_add_u32 s0, s4, 0x358
	v_mov_b32_e32 v2, 0
	s_addc_u32 s1, s5, 0
	s_waitcnt lgkmcnt(0)
	s_and_b32 s7, s2, 0xffff
	v_mov_b32_e32 v1, v2
	v_mov_b32_e32 v3, s6
	v_mad_u64_u32 v[0:1], s[2:3], s7, v3, v[0:1]
	v_lshlrev_b64 v[0:1], 1, v[0:1]
	v_cmp_gt_i64_e32 vcc, s[10:11], v[0:1]
	s_and_saveexec_b64 s[2:3], vcc
	s_cbranch_execz .LBB27_26
; %bb.1:
	s_load_dword s6, s[0:1], 0x0
	s_load_dwordx2 s[2:3], s[4:5], 0x350
	s_load_dword s26, s[4:5], 0x338
	s_add_u32 s12, s4, 0x1a0
	s_addc_u32 s13, s5, 0
	s_waitcnt lgkmcnt(0)
	s_mul_i32 s28, s6, s7
	v_cvt_f32_u32_e32 v3, s2
	s_ashr_i32 s27, s26, 31
	s_add_u32 s30, s4, 0x1a8
	s_addc_u32 s31, s5, 0
	s_lshl_b64 s[0:1], s[26:27], 3
	s_add_u32 s22, s0, -16
	s_addc_u32 s23, s1, -1
	s_add_u32 s0, s30, s22
	s_addc_u32 s1, s31, s23
	s_add_u32 s20, s12, s22
	s_addc_u32 s21, s13, s23
	v_cmp_gt_i64_e64 s[24:25], s[26:27], 2
	s_add_u32 s27, s4, 0xd0
	s_addc_u32 s34, s5, 0
	s_load_dwordx4 s[12:15], s[0:1], 0x0
	s_load_dwordx4 s[16:19], s[20:21], 0xd0
	s_add_u32 s0, s27, s22
	s_addc_u32 s1, s34, s23
	s_load_dwordx2 s[6:7], s[4:5], 0x1a0
	s_load_dwordx4 s[20:23], s[0:1], 0x0
	v_rcp_iflag_f32_e32 v3, v3
	s_load_dwordx2 s[4:5], s[4:5], 0x0
	s_add_i32 s0, s26, -3
	s_ashr_i32 s1, s0, 31
	s_lshl_b32 s33, s28, 1
	s_lshl_b64 s[28:29], s[0:1], 3
	s_add_u32 s26, s27, s28
	s_addc_u32 s27, s34, s29
	v_mul_f32_e32 v3, 0x4f7ffffe, v3
	s_add_u32 s28, s30, s28
	v_cvt_u32_f32_e32 v14, v3
	s_addc_u32 s29, s31, s29
	s_add_u32 s30, s0, 1
	s_mov_b32 s50, 0
	s_addc_u32 s31, s1, 0
	s_mov_b64 s[34:35], 0
	s_branch .LBB27_3
.LBB27_2:                               ;   in Loop: Header=BB27_3 Depth=1
	s_or_b64 exec, exec, s[0:1]
	v_mov_b32_e32 v3, s50
	v_add_co_u32_e32 v0, vcc, s33, v0
	v_addc_co_u32_e32 v1, vcc, v1, v3, vcc
	v_cmp_le_i64_e32 vcc, s[10:11], v[0:1]
	s_or_b64 s[34:35], vcc, s[34:35]
	s_andn2_b64 exec, exec, s[34:35]
	s_cbranch_execz .LBB27_26
.LBB27_3:                               ; =>This Loop Header: Depth=1
                                        ;     Child Loop BB27_22 Depth 2
	v_or_b32_e32 v3, s3, v1
	v_cmp_ne_u64_e32 vcc, 0, v[2:3]
                                        ; implicit-def: $vgpr6_vgpr7
	s_and_saveexec_b64 s[0:1], vcc
	s_xor_b64 s[36:37], exec, s[0:1]
	s_cbranch_execz .LBB27_5
; %bb.4:                                ;   in Loop: Header=BB27_3 Depth=1
	s_ashr_i32 s38, s3, 31
	s_add_u32 s0, s2, s38
	s_mov_b32 s39, s38
	s_addc_u32 s1, s3, s38
	s_xor_b64 s[40:41], s[0:1], s[38:39]
	v_cvt_f32_u32_e32 v3, s40
	v_cvt_f32_u32_e32 v4, s41
	s_sub_u32 s0, 0, s40
	s_subb_u32 s1, 0, s41
	v_mac_f32_e32 v3, 0x4f800000, v4
	v_rcp_f32_e32 v3, v3
	v_mul_f32_e32 v3, 0x5f7ffffc, v3
	v_mul_f32_e32 v4, 0x2f800000, v3
	v_trunc_f32_e32 v4, v4
	v_mac_f32_e32 v3, 0xcf800000, v4
	v_cvt_u32_f32_e32 v4, v4
	v_cvt_u32_f32_e32 v3, v3
	v_mul_lo_u32 v5, s0, v4
	v_mul_hi_u32 v7, s0, v3
	v_mul_lo_u32 v6, s1, v3
	v_add_u32_e32 v5, v7, v5
	v_mul_lo_u32 v8, s0, v3
	v_add_u32_e32 v5, v5, v6
	v_mul_lo_u32 v7, v3, v5
	v_mul_hi_u32 v9, v3, v8
	v_mul_hi_u32 v6, v3, v5
	v_add_co_u32_e32 v7, vcc, v9, v7
	v_addc_co_u32_e32 v6, vcc, 0, v6, vcc
	v_mul_hi_u32 v10, v4, v8
	v_mul_lo_u32 v8, v4, v8
	v_add_co_u32_e32 v7, vcc, v7, v8
	v_mul_hi_u32 v9, v4, v5
	v_addc_co_u32_e32 v6, vcc, v6, v10, vcc
	v_addc_co_u32_e32 v7, vcc, 0, v9, vcc
	v_mul_lo_u32 v5, v4, v5
	v_add_co_u32_e32 v5, vcc, v6, v5
	v_addc_co_u32_e32 v6, vcc, 0, v7, vcc
	v_add_co_u32_e32 v3, vcc, v3, v5
	v_addc_co_u32_e32 v4, vcc, v4, v6, vcc
	v_mul_lo_u32 v5, s0, v4
	v_mul_hi_u32 v6, s0, v3
	v_add_u32_e32 v5, v6, v5
	v_mul_lo_u32 v6, s1, v3
	v_add_u32_e32 v5, v5, v6
	v_mul_lo_u32 v7, s0, v3
	v_mul_hi_u32 v8, v4, v7
	v_mul_lo_u32 v9, v4, v7
	v_mul_lo_u32 v11, v3, v5
	v_mul_hi_u32 v7, v3, v7
	v_mul_hi_u32 v10, v3, v5
	v_add_co_u32_e32 v7, vcc, v7, v11
	v_addc_co_u32_e32 v10, vcc, 0, v10, vcc
	v_add_co_u32_e32 v7, vcc, v7, v9
	v_mul_hi_u32 v6, v4, v5
	v_addc_co_u32_e32 v7, vcc, v10, v8, vcc
	v_addc_co_u32_e32 v6, vcc, 0, v6, vcc
	v_mul_lo_u32 v5, v4, v5
	v_add_co_u32_e32 v5, vcc, v7, v5
	v_addc_co_u32_e32 v6, vcc, 0, v6, vcc
	v_add_co_u32_e32 v3, vcc, v3, v5
	v_addc_co_u32_e32 v6, vcc, v4, v6, vcc
	v_ashrrev_i32_e32 v8, 31, v1
	v_add_co_u32_e32 v4, vcc, v0, v8
	v_addc_co_u32_e32 v5, vcc, v1, v8, vcc
	v_xor_b32_e32 v10, v4, v8
	v_xor_b32_e32 v9, v5, v8
	v_mad_u64_u32 v[4:5], s[0:1], v10, v6, 0
	v_mul_hi_u32 v7, v10, v3
	v_add_co_u32_e32 v11, vcc, v7, v4
	v_addc_co_u32_e32 v12, vcc, 0, v5, vcc
	v_mad_u64_u32 v[4:5], s[0:1], v9, v6, 0
	v_mad_u64_u32 v[6:7], s[0:1], v9, v3, 0
	v_add_co_u32_e32 v3, vcc, v11, v6
	v_addc_co_u32_e32 v3, vcc, v12, v7, vcc
	v_addc_co_u32_e32 v5, vcc, 0, v5, vcc
	v_add_co_u32_e32 v3, vcc, v3, v4
	v_addc_co_u32_e32 v6, vcc, 0, v5, vcc
	v_mul_lo_u32 v7, s41, v3
	v_mul_lo_u32 v11, s40, v6
	v_mad_u64_u32 v[4:5], s[0:1], s40, v3, 0
	v_add3_u32 v5, v5, v11, v7
	v_sub_u32_e32 v7, v9, v5
	v_mov_b32_e32 v11, s41
	v_sub_co_u32_e32 v4, vcc, v10, v4
	v_subb_co_u32_e64 v7, s[0:1], v7, v11, vcc
	v_subrev_co_u32_e64 v10, s[0:1], s40, v4
	v_subbrev_co_u32_e64 v7, s[0:1], 0, v7, s[0:1]
	v_cmp_le_u32_e64 s[0:1], s41, v7
	v_cndmask_b32_e64 v11, 0, -1, s[0:1]
	v_cmp_le_u32_e64 s[0:1], s40, v10
	v_cndmask_b32_e64 v10, 0, -1, s[0:1]
	v_cmp_eq_u32_e64 s[0:1], s41, v7
	v_cndmask_b32_e64 v7, v11, v10, s[0:1]
	v_add_co_u32_e64 v10, s[0:1], 2, v3
	v_subb_co_u32_e32 v5, vcc, v9, v5, vcc
	v_addc_co_u32_e64 v11, s[0:1], 0, v6, s[0:1]
	v_cmp_le_u32_e32 vcc, s41, v5
	v_add_co_u32_e64 v12, s[0:1], 1, v3
	v_cndmask_b32_e64 v9, 0, -1, vcc
	v_cmp_le_u32_e32 vcc, s40, v4
	v_addc_co_u32_e64 v13, s[0:1], 0, v6, s[0:1]
	v_cndmask_b32_e64 v4, 0, -1, vcc
	v_cmp_eq_u32_e32 vcc, s41, v5
	v_cmp_ne_u32_e64 s[0:1], 0, v7
	v_cndmask_b32_e32 v4, v9, v4, vcc
	v_cmp_ne_u32_e32 vcc, 0, v4
	v_cndmask_b32_e64 v5, v12, v10, s[0:1]
	v_cndmask_b32_e64 v7, v13, v11, s[0:1]
	v_cndmask_b32_e32 v3, v3, v5, vcc
	v_xor_b32_e32 v5, s38, v8
	v_cndmask_b32_e32 v4, v6, v7, vcc
	v_xor_b32_e32 v3, v3, v5
	v_xor_b32_e32 v4, v4, v5
	v_sub_co_u32_e32 v6, vcc, v3, v5
	v_subb_co_u32_e32 v7, vcc, v4, v5, vcc
.LBB27_5:                               ;   in Loop: Header=BB27_3 Depth=1
	s_andn2_saveexec_b64 s[0:1], s[36:37]
	s_cbranch_execz .LBB27_7
; %bb.6:                                ;   in Loop: Header=BB27_3 Depth=1
	s_sub_i32 s36, 0, s2
	v_mul_lo_u32 v3, s36, v14
	v_mul_hi_u32 v3, v14, v3
	v_add_u32_e32 v3, v14, v3
	v_mul_hi_u32 v3, v0, v3
	v_mul_lo_u32 v4, v3, s2
	v_sub_u32_e32 v4, v0, v4
	v_subrev_u32_e32 v5, s2, v4
	v_cmp_le_u32_e32 vcc, s2, v4
	v_cndmask_b32_e32 v4, v4, v5, vcc
	v_add_u32_e32 v5, 1, v3
	v_cndmask_b32_e32 v3, v3, v5, vcc
	v_add_u32_e32 v5, 1, v3
	v_cmp_le_u32_e32 vcc, s2, v4
	v_cndmask_b32_e32 v6, v3, v5, vcc
	v_mov_b32_e32 v7, v2
.LBB27_7:                               ;   in Loop: Header=BB27_3 Depth=1
	s_or_b64 exec, exec, s[0:1]
	s_waitcnt lgkmcnt(0)
	v_or_b32_e32 v3, s13, v7
	v_cmp_ne_u64_e32 vcc, 0, v[2:3]
                                        ; implicit-def: $vgpr10_vgpr11
	s_and_saveexec_b64 s[0:1], vcc
	s_xor_b64 s[36:37], exec, s[0:1]
	s_cbranch_execz .LBB27_9
; %bb.8:                                ;   in Loop: Header=BB27_3 Depth=1
	s_ashr_i32 s38, s13, 31
	s_add_u32 s0, s12, s38
	s_mov_b32 s39, s38
	s_addc_u32 s1, s13, s38
	s_xor_b64 s[40:41], s[0:1], s[38:39]
	v_cvt_f32_u32_e32 v3, s40
	v_cvt_f32_u32_e32 v4, s41
	s_sub_u32 s0, 0, s40
	s_subb_u32 s1, 0, s41
	v_mac_f32_e32 v3, 0x4f800000, v4
	v_rcp_f32_e32 v3, v3
	v_mul_f32_e32 v3, 0x5f7ffffc, v3
	v_mul_f32_e32 v4, 0x2f800000, v3
	v_trunc_f32_e32 v4, v4
	v_mac_f32_e32 v3, 0xcf800000, v4
	v_cvt_u32_f32_e32 v4, v4
	v_cvt_u32_f32_e32 v3, v3
	v_mul_lo_u32 v5, s0, v4
	v_mul_hi_u32 v9, s0, v3
	v_mul_lo_u32 v8, s1, v3
	v_add_u32_e32 v5, v9, v5
	v_mul_lo_u32 v10, s0, v3
	v_add_u32_e32 v5, v5, v8
	v_mul_lo_u32 v9, v3, v5
	v_mul_hi_u32 v11, v3, v10
	v_mul_hi_u32 v8, v3, v5
	v_add_co_u32_e32 v9, vcc, v11, v9
	v_addc_co_u32_e32 v8, vcc, 0, v8, vcc
	v_mul_hi_u32 v12, v4, v10
	v_mul_lo_u32 v10, v4, v10
	v_add_co_u32_e32 v9, vcc, v9, v10
	v_mul_hi_u32 v11, v4, v5
	v_addc_co_u32_e32 v8, vcc, v8, v12, vcc
	v_addc_co_u32_e32 v9, vcc, 0, v11, vcc
	v_mul_lo_u32 v5, v4, v5
	v_add_co_u32_e32 v5, vcc, v8, v5
	v_addc_co_u32_e32 v8, vcc, 0, v9, vcc
	v_add_co_u32_e32 v3, vcc, v3, v5
	v_addc_co_u32_e32 v4, vcc, v4, v8, vcc
	v_mul_lo_u32 v5, s0, v4
	v_mul_hi_u32 v8, s0, v3
	v_add_u32_e32 v5, v8, v5
	v_mul_lo_u32 v8, s1, v3
	v_add_u32_e32 v5, v5, v8
	v_mul_lo_u32 v9, s0, v3
	v_mul_hi_u32 v10, v4, v9
	v_mul_lo_u32 v11, v4, v9
	v_mul_lo_u32 v13, v3, v5
	v_mul_hi_u32 v9, v3, v9
	v_mul_hi_u32 v12, v3, v5
	v_add_co_u32_e32 v9, vcc, v9, v13
	v_addc_co_u32_e32 v12, vcc, 0, v12, vcc
	v_add_co_u32_e32 v9, vcc, v9, v11
	v_mul_hi_u32 v8, v4, v5
	v_addc_co_u32_e32 v9, vcc, v12, v10, vcc
	v_addc_co_u32_e32 v8, vcc, 0, v8, vcc
	v_mul_lo_u32 v5, v4, v5
	v_add_co_u32_e32 v5, vcc, v9, v5
	v_addc_co_u32_e32 v8, vcc, 0, v8, vcc
	v_add_co_u32_e32 v3, vcc, v3, v5
	v_addc_co_u32_e32 v8, vcc, v4, v8, vcc
	v_ashrrev_i32_e32 v10, 31, v7
	v_add_co_u32_e32 v4, vcc, v6, v10
	v_addc_co_u32_e32 v5, vcc, v7, v10, vcc
	v_xor_b32_e32 v12, v4, v10
	v_xor_b32_e32 v11, v5, v10
	v_mad_u64_u32 v[4:5], s[0:1], v12, v8, 0
	v_mul_hi_u32 v9, v12, v3
	v_add_co_u32_e32 v13, vcc, v9, v4
	v_addc_co_u32_e32 v15, vcc, 0, v5, vcc
	v_mad_u64_u32 v[4:5], s[0:1], v11, v8, 0
	v_mad_u64_u32 v[8:9], s[0:1], v11, v3, 0
	v_add_co_u32_e32 v3, vcc, v13, v8
	v_addc_co_u32_e32 v3, vcc, v15, v9, vcc
	v_addc_co_u32_e32 v5, vcc, 0, v5, vcc
	v_add_co_u32_e32 v3, vcc, v3, v4
	v_addc_co_u32_e32 v8, vcc, 0, v5, vcc
	v_mul_lo_u32 v9, s41, v3
	v_mul_lo_u32 v13, s40, v8
	v_mad_u64_u32 v[4:5], s[0:1], s40, v3, 0
	v_add3_u32 v5, v5, v13, v9
	v_sub_u32_e32 v9, v11, v5
	v_mov_b32_e32 v13, s41
	v_sub_co_u32_e32 v4, vcc, v12, v4
	v_subb_co_u32_e64 v9, s[0:1], v9, v13, vcc
	v_subrev_co_u32_e64 v12, s[0:1], s40, v4
	v_subbrev_co_u32_e64 v9, s[0:1], 0, v9, s[0:1]
	v_cmp_le_u32_e64 s[0:1], s41, v9
	v_cndmask_b32_e64 v13, 0, -1, s[0:1]
	v_cmp_le_u32_e64 s[0:1], s40, v12
	v_cndmask_b32_e64 v12, 0, -1, s[0:1]
	v_cmp_eq_u32_e64 s[0:1], s41, v9
	v_cndmask_b32_e64 v9, v13, v12, s[0:1]
	v_add_co_u32_e64 v12, s[0:1], 2, v3
	v_subb_co_u32_e32 v5, vcc, v11, v5, vcc
	v_addc_co_u32_e64 v13, s[0:1], 0, v8, s[0:1]
	v_cmp_le_u32_e32 vcc, s41, v5
	v_add_co_u32_e64 v15, s[0:1], 1, v3
	v_cndmask_b32_e64 v11, 0, -1, vcc
	v_cmp_le_u32_e32 vcc, s40, v4
	v_addc_co_u32_e64 v16, s[0:1], 0, v8, s[0:1]
	v_cndmask_b32_e64 v4, 0, -1, vcc
	v_cmp_eq_u32_e32 vcc, s41, v5
	v_cmp_ne_u32_e64 s[0:1], 0, v9
	v_cndmask_b32_e32 v4, v11, v4, vcc
	v_cmp_ne_u32_e32 vcc, 0, v4
	v_cndmask_b32_e64 v5, v15, v12, s[0:1]
	v_cndmask_b32_e64 v9, v16, v13, s[0:1]
	v_cndmask_b32_e32 v3, v3, v5, vcc
	v_xor_b32_e32 v5, s38, v10
	v_cndmask_b32_e32 v4, v8, v9, vcc
	v_xor_b32_e32 v3, v3, v5
	v_xor_b32_e32 v4, v4, v5
	v_sub_co_u32_e32 v10, vcc, v3, v5
	v_subb_co_u32_e32 v11, vcc, v4, v5, vcc
.LBB27_9:                               ;   in Loop: Header=BB27_3 Depth=1
	s_andn2_saveexec_b64 s[0:1], s[36:37]
	s_cbranch_execz .LBB27_11
; %bb.10:                               ;   in Loop: Header=BB27_3 Depth=1
	v_cvt_f32_u32_e32 v3, s12
	s_sub_i32 s36, 0, s12
	v_mov_b32_e32 v11, v2
	v_rcp_iflag_f32_e32 v3, v3
	v_mul_f32_e32 v3, 0x4f7ffffe, v3
	v_cvt_u32_f32_e32 v3, v3
	v_mul_lo_u32 v4, s36, v3
	v_mul_hi_u32 v4, v3, v4
	v_add_u32_e32 v3, v3, v4
	v_mul_hi_u32 v3, v6, v3
	v_mul_lo_u32 v4, v3, s12
	v_sub_u32_e32 v4, v6, v4
	v_add_u32_e32 v5, 1, v3
	v_subrev_u32_e32 v8, s12, v4
	v_cmp_le_u32_e32 vcc, s12, v4
	v_cndmask_b32_e32 v4, v4, v8, vcc
	v_cndmask_b32_e32 v3, v3, v5, vcc
	v_add_u32_e32 v5, 1, v3
	v_cmp_le_u32_e32 vcc, s12, v4
	v_cndmask_b32_e32 v10, v3, v5, vcc
.LBB27_11:                              ;   in Loop: Header=BB27_3 Depth=1
	s_or_b64 exec, exec, s[0:1]
	v_mul_lo_u32 v3, v7, s2
	v_mul_lo_u32 v8, v6, s3
	v_mad_u64_u32 v[4:5], s[0:1], v6, s2, 0
	v_add3_u32 v3, v5, v8, v3
	v_sub_co_u32_e32 v4, vcc, v0, v4
	v_subb_co_u32_e32 v5, vcc, v1, v3, vcc
	v_mul_lo_u32 v3, v11, s12
	v_mul_lo_u32 v12, v10, s13
	v_mad_u64_u32 v[8:9], s[0:1], v10, s12, 0
	v_add3_u32 v3, v9, v12, v3
	v_sub_co_u32_e32 v15, vcc, v6, v8
	v_subb_co_u32_e32 v16, vcc, v7, v3, vcc
	v_mul_lo_u32 v3, s19, v4
	v_mul_lo_u32 v8, s18, v5
	v_mad_u64_u32 v[6:7], s[0:1], s18, v4, 0
	v_add3_u32 v7, v7, v8, v3
	v_mul_lo_u32 v3, s23, v4
	v_mul_lo_u32 v8, s22, v5
	v_mad_u64_u32 v[12:13], s[0:1], s22, v4, 0
	v_add3_u32 v13, v13, v8, v3
	v_mad_u64_u32 v[8:9], s[0:1], s16, v15, v[6:7]
	v_mul_lo_u32 v3, s16, v16
	v_mul_lo_u32 v6, s17, v15
	v_add3_u32 v9, v6, v9, v3
	v_mad_u64_u32 v[6:7], s[0:1], s20, v15, v[12:13]
	v_mul_lo_u32 v3, s20, v16
	v_mul_lo_u32 v12, s21, v15
	v_add3_u32 v7, v12, v7, v3
	s_and_b64 vcc, exec, s[24:25]
	s_mov_b64 s[36:37], s[30:31]
	s_mov_b64 s[38:39], s[28:29]
	;; [unrolled: 1-line block ×3, first 2 shown]
	s_cbranch_vccnz .LBB27_22
.LBB27_12:                              ;   in Loop: Header=BB27_3 Depth=1
	v_sub_co_u32_e32 v10, vcc, v4, v15
	v_subb_co_u32_e32 v11, vcc, v5, v16, vcc
	v_cmp_ge_i64_e32 vcc, s[8:9], v[10:11]
	v_mov_b32_e32 v12, 0
	v_mov_b32_e32 v3, 0
	s_and_saveexec_b64 s[0:1], vcc
	s_cbranch_execz .LBB27_18
; %bb.13:                               ;   in Loop: Header=BB27_3 Depth=1
	v_cmp_gt_i64_e32 vcc, s[14:15], v[4:5]
	v_mov_b32_e32 v3, 0
	v_mov_b32_e32 v12, 0
	s_and_saveexec_b64 s[36:37], vcc
	s_cbranch_execz .LBB27_17
; %bb.14:                               ;   in Loop: Header=BB27_3 Depth=1
	v_lshlrev_b64 v[8:9], 2, v[8:9]
	v_mov_b32_e32 v3, s7
	v_add_co_u32_e32 v8, vcc, s6, v8
	v_addc_co_u32_e32 v9, vcc, v3, v9, vcc
	global_load_dword v3, v[8:9], off
	v_add_co_u32_e32 v12, vcc, 1, v4
	v_addc_co_u32_e32 v13, vcc, 0, v5, vcc
	v_cmp_gt_i64_e32 vcc, s[14:15], v[12:13]
	v_mov_b32_e32 v12, 0
	s_and_saveexec_b64 s[38:39], vcc
	s_xor_b64 s[38:39], exec, s[38:39]
	s_cbranch_execz .LBB27_16
; %bb.15:                               ;   in Loop: Header=BB27_3 Depth=1
	s_lshl_b64 s[40:41], s[18:19], 2
	v_mov_b32_e32 v12, s41
	v_add_co_u32_e32 v8, vcc, s40, v8
	v_addc_co_u32_e32 v9, vcc, v9, v12, vcc
	global_load_dword v12, v[8:9], off
.LBB27_16:                              ;   in Loop: Header=BB27_3 Depth=1
	s_or_b64 exec, exec, s[38:39]
.LBB27_17:                              ;   in Loop: Header=BB27_3 Depth=1
	s_or_b64 exec, exec, s[36:37]
	v_add_co_u32_e32 v8, vcc, 1, v10
	v_addc_co_u32_e32 v9, vcc, 0, v11, vcc
	v_cmp_ge_i64_e32 vcc, s[8:9], v[8:9]
	s_waitcnt vmcnt(0)
	v_cndmask_b32_e32 v12, 0, v12, vcc
.LBB27_18:                              ;   in Loop: Header=BB27_3 Depth=1
	s_or_b64 exec, exec, s[0:1]
	v_cmp_gt_i64_e32 vcc, s[14:15], v[4:5]
	s_and_saveexec_b64 s[0:1], vcc
	s_cbranch_execz .LBB27_2
; %bb.19:                               ;   in Loop: Header=BB27_3 Depth=1
	v_lshlrev_b64 v[6:7], 2, v[6:7]
	v_mov_b32_e32 v8, s5
	v_add_co_u32_e32 v6, vcc, s4, v6
	v_addc_co_u32_e32 v7, vcc, v8, v7, vcc
	v_add_co_u32_e32 v4, vcc, 1, v4
	v_addc_co_u32_e32 v5, vcc, 0, v5, vcc
	v_cmp_gt_i64_e32 vcc, s[14:15], v[4:5]
	global_store_dword v[6:7], v3, off
	s_and_saveexec_b64 s[36:37], vcc
	s_xor_b64 s[36:37], exec, s[36:37]
	s_cbranch_execz .LBB27_2
; %bb.20:                               ;   in Loop: Header=BB27_3 Depth=1
	s_lshl_b64 s[36:37], s[22:23], 2
	v_mov_b32_e32 v3, s37
	v_add_co_u32_e32 v4, vcc, s36, v6
	v_addc_co_u32_e32 v5, vcc, v7, v3, vcc
	global_store_dword v[4:5], v12, off
	s_branch .LBB27_2
.LBB27_21:                              ;   in Loop: Header=BB27_22 Depth=2
	s_or_b64 exec, exec, s[0:1]
	v_mad_u64_u32 v[18:19], s[0:1], v12, s42, 0
	v_mul_lo_u32 v3, v13, s42
	v_mul_lo_u32 v17, v12, s43
	s_load_dwordx2 s[0:1], s[38:39], 0xc8
	s_load_dwordx2 s[42:43], s[40:41], 0x0
	s_add_u32 s40, s40, -8
	s_addc_u32 s41, s41, -1
	s_add_u32 s38, s38, -8
	v_add3_u32 v3, v19, v17, v3
	v_sub_co_u32_e32 v10, vcc, v10, v18
	s_addc_u32 s39, s39, -1
	v_subb_co_u32_e32 v3, vcc, v11, v3, vcc
	s_add_u32 s36, s36, -1
	s_waitcnt lgkmcnt(0)
	v_mul_lo_u32 v11, s0, v3
	v_mul_lo_u32 v17, s1, v10
	v_mad_u64_u32 v[8:9], s[0:1], s0, v10, v[8:9]
	v_mad_u64_u32 v[6:7], s[0:1], s42, v10, v[6:7]
	s_addc_u32 s37, s37, -1
	v_add3_u32 v9, v17, v9, v11
	v_mul_lo_u32 v3, s42, v3
	v_mul_lo_u32 v11, s43, v10
	v_cmp_lt_i64_e64 s[0:1], s[36:37], 1
	v_add3_u32 v7, v11, v7, v3
	s_and_b64 vcc, exec, s[0:1]
	v_pk_mov_b32 v[10:11], v[12:13], v[12:13] op_sel:[0,1]
	s_cbranch_vccnz .LBB27_12
.LBB27_22:                              ;   Parent Loop BB27_3 Depth=1
                                        ; =>  This Inner Loop Header: Depth=2
	s_load_dwordx2 s[42:43], s[38:39], 0x0
                                        ; implicit-def: $vgpr12_vgpr13
	s_waitcnt lgkmcnt(0)
	v_or_b32_e32 v3, s43, v11
	v_cmp_ne_u64_e32 vcc, 0, v[2:3]
	s_and_saveexec_b64 s[0:1], vcc
	s_xor_b64 s[44:45], exec, s[0:1]
	s_cbranch_execz .LBB27_24
; %bb.23:                               ;   in Loop: Header=BB27_22 Depth=2
	s_ashr_i32 s46, s43, 31
	s_add_u32 s0, s42, s46
	s_mov_b32 s47, s46
	s_addc_u32 s1, s43, s46
	s_xor_b64 s[48:49], s[0:1], s[46:47]
	v_cvt_f32_u32_e32 v3, s48
	v_cvt_f32_u32_e32 v12, s49
	s_sub_u32 s0, 0, s48
	s_subb_u32 s1, 0, s49
	v_mac_f32_e32 v3, 0x4f800000, v12
	v_rcp_f32_e32 v3, v3
	v_mul_f32_e32 v3, 0x5f7ffffc, v3
	v_mul_f32_e32 v12, 0x2f800000, v3
	v_trunc_f32_e32 v12, v12
	v_mac_f32_e32 v3, 0xcf800000, v12
	v_cvt_u32_f32_e32 v12, v12
	v_cvt_u32_f32_e32 v3, v3
	v_mul_lo_u32 v13, s0, v12
	v_mul_hi_u32 v18, s0, v3
	v_mul_lo_u32 v17, s1, v3
	v_add_u32_e32 v13, v18, v13
	v_mul_lo_u32 v19, s0, v3
	v_add_u32_e32 v13, v13, v17
	v_mul_lo_u32 v18, v3, v13
	v_mul_hi_u32 v20, v3, v19
	v_mul_hi_u32 v17, v3, v13
	v_add_co_u32_e32 v18, vcc, v20, v18
	v_addc_co_u32_e32 v17, vcc, 0, v17, vcc
	v_mul_hi_u32 v21, v12, v19
	v_mul_lo_u32 v19, v12, v19
	v_add_co_u32_e32 v18, vcc, v18, v19
	v_mul_hi_u32 v20, v12, v13
	v_addc_co_u32_e32 v17, vcc, v17, v21, vcc
	v_addc_co_u32_e32 v18, vcc, 0, v20, vcc
	v_mul_lo_u32 v13, v12, v13
	v_add_co_u32_e32 v13, vcc, v17, v13
	v_addc_co_u32_e32 v17, vcc, 0, v18, vcc
	v_add_co_u32_e32 v3, vcc, v3, v13
	v_addc_co_u32_e32 v12, vcc, v12, v17, vcc
	v_mul_lo_u32 v13, s0, v12
	v_mul_hi_u32 v17, s0, v3
	v_add_u32_e32 v13, v17, v13
	v_mul_lo_u32 v17, s1, v3
	v_add_u32_e32 v13, v13, v17
	v_mul_lo_u32 v18, s0, v3
	v_mul_hi_u32 v19, v12, v18
	v_mul_lo_u32 v20, v12, v18
	v_mul_lo_u32 v22, v3, v13
	v_mul_hi_u32 v18, v3, v18
	v_mul_hi_u32 v21, v3, v13
	v_add_co_u32_e32 v18, vcc, v18, v22
	v_addc_co_u32_e32 v21, vcc, 0, v21, vcc
	v_add_co_u32_e32 v18, vcc, v18, v20
	v_mul_hi_u32 v17, v12, v13
	v_addc_co_u32_e32 v18, vcc, v21, v19, vcc
	v_addc_co_u32_e32 v17, vcc, 0, v17, vcc
	v_mul_lo_u32 v13, v12, v13
	v_add_co_u32_e32 v13, vcc, v18, v13
	v_addc_co_u32_e32 v17, vcc, 0, v17, vcc
	v_add_co_u32_e32 v3, vcc, v3, v13
	v_addc_co_u32_e32 v17, vcc, v12, v17, vcc
	v_ashrrev_i32_e32 v20, 31, v11
	v_add_co_u32_e32 v12, vcc, v10, v20
	v_addc_co_u32_e32 v13, vcc, v11, v20, vcc
	v_xor_b32_e32 v22, v12, v20
	v_xor_b32_e32 v21, v13, v20
	v_mad_u64_u32 v[12:13], s[0:1], v22, v17, 0
	v_mul_hi_u32 v18, v22, v3
	v_add_co_u32_e32 v23, vcc, v18, v12
	v_addc_co_u32_e32 v24, vcc, 0, v13, vcc
	v_mad_u64_u32 v[18:19], s[0:1], v21, v3, 0
	v_add_co_u32_e32 v3, vcc, v23, v18
	v_mad_u64_u32 v[12:13], s[0:1], v21, v17, 0
	v_addc_co_u32_e32 v3, vcc, v24, v19, vcc
	v_addc_co_u32_e32 v13, vcc, 0, v13, vcc
	v_add_co_u32_e32 v3, vcc, v3, v12
	v_addc_co_u32_e32 v17, vcc, 0, v13, vcc
	v_mul_lo_u32 v18, s49, v3
	v_mul_lo_u32 v19, s48, v17
	v_mad_u64_u32 v[12:13], s[0:1], s48, v3, 0
	v_add3_u32 v13, v13, v19, v18
	v_sub_u32_e32 v18, v21, v13
	v_mov_b32_e32 v19, s49
	v_sub_co_u32_e32 v12, vcc, v22, v12
	v_subb_co_u32_e64 v18, s[0:1], v18, v19, vcc
	v_subrev_co_u32_e64 v19, s[0:1], s48, v12
	v_subbrev_co_u32_e64 v18, s[0:1], 0, v18, s[0:1]
	v_cmp_le_u32_e64 s[0:1], s49, v18
	v_cndmask_b32_e64 v22, 0, -1, s[0:1]
	v_cmp_le_u32_e64 s[0:1], s48, v19
	v_cndmask_b32_e64 v19, 0, -1, s[0:1]
	v_cmp_eq_u32_e64 s[0:1], s49, v18
	v_cndmask_b32_e64 v18, v22, v19, s[0:1]
	v_add_co_u32_e64 v19, s[0:1], 2, v3
	v_subb_co_u32_e32 v13, vcc, v21, v13, vcc
	v_addc_co_u32_e64 v22, s[0:1], 0, v17, s[0:1]
	v_cmp_le_u32_e32 vcc, s49, v13
	v_add_co_u32_e64 v23, s[0:1], 1, v3
	v_cndmask_b32_e64 v21, 0, -1, vcc
	v_cmp_le_u32_e32 vcc, s48, v12
	v_addc_co_u32_e64 v24, s[0:1], 0, v17, s[0:1]
	v_cndmask_b32_e64 v12, 0, -1, vcc
	v_cmp_eq_u32_e32 vcc, s49, v13
	v_cmp_ne_u32_e64 s[0:1], 0, v18
	v_cndmask_b32_e32 v12, v21, v12, vcc
	v_cmp_ne_u32_e32 vcc, 0, v12
	v_cndmask_b32_e64 v13, v23, v19, s[0:1]
	v_cndmask_b32_e64 v18, v24, v22, s[0:1]
	v_cndmask_b32_e32 v3, v3, v13, vcc
	v_xor_b32_e32 v13, s46, v20
	v_cndmask_b32_e32 v12, v17, v18, vcc
	v_xor_b32_e32 v3, v3, v13
	v_xor_b32_e32 v17, v12, v13
	v_sub_co_u32_e32 v12, vcc, v3, v13
	v_subb_co_u32_e32 v13, vcc, v17, v13, vcc
.LBB27_24:                              ;   in Loop: Header=BB27_22 Depth=2
	s_andn2_saveexec_b64 s[0:1], s[44:45]
	s_cbranch_execz .LBB27_21
; %bb.25:                               ;   in Loop: Header=BB27_22 Depth=2
	v_cvt_f32_u32_e32 v3, s42
	s_sub_i32 s44, 0, s42
	v_rcp_iflag_f32_e32 v3, v3
	v_mul_f32_e32 v3, 0x4f7ffffe, v3
	v_cvt_u32_f32_e32 v3, v3
	v_mul_lo_u32 v12, s44, v3
	v_mul_hi_u32 v12, v3, v12
	v_add_u32_e32 v3, v3, v12
	v_mul_hi_u32 v3, v10, v3
	v_mul_lo_u32 v12, v3, s42
	v_sub_u32_e32 v12, v10, v12
	v_add_u32_e32 v13, 1, v3
	v_subrev_u32_e32 v17, s42, v12
	v_cmp_le_u32_e32 vcc, s42, v12
	v_cndmask_b32_e32 v12, v12, v17, vcc
	v_cndmask_b32_e32 v3, v3, v13, vcc
	v_add_u32_e32 v13, 1, v3
	v_cmp_le_u32_e32 vcc, s42, v12
	v_cndmask_b32_e32 v12, v3, v13, vcc
	v_mov_b32_e32 v13, v2
	s_branch .LBB27_21
.LBB27_26:
	s_endpgm
	.section	.rodata,"a",@progbits
	.p2align	6, 0x0
	.amdhsa_kernel _ZN2at6native16triu_tril_kernelIflLb0ELi2ELb0EEEvNS_4cuda6detail10TensorInfoIT_T0_EENS4_IKS5_S6_EEllS6_
		.amdhsa_group_segment_fixed_size 0
		.amdhsa_private_segment_fixed_size 0
		.amdhsa_kernarg_size 1112
		.amdhsa_user_sgpr_count 6
		.amdhsa_user_sgpr_private_segment_buffer 1
		.amdhsa_user_sgpr_dispatch_ptr 0
		.amdhsa_user_sgpr_queue_ptr 0
		.amdhsa_user_sgpr_kernarg_segment_ptr 1
		.amdhsa_user_sgpr_dispatch_id 0
		.amdhsa_user_sgpr_flat_scratch_init 0
		.amdhsa_user_sgpr_kernarg_preload_length 0
		.amdhsa_user_sgpr_kernarg_preload_offset 0
		.amdhsa_user_sgpr_private_segment_size 0
		.amdhsa_uses_dynamic_stack 0
		.amdhsa_system_sgpr_private_segment_wavefront_offset 0
		.amdhsa_system_sgpr_workgroup_id_x 1
		.amdhsa_system_sgpr_workgroup_id_y 0
		.amdhsa_system_sgpr_workgroup_id_z 0
		.amdhsa_system_sgpr_workgroup_info 0
		.amdhsa_system_vgpr_workitem_id 0
		.amdhsa_next_free_vgpr 25
		.amdhsa_next_free_sgpr 51
		.amdhsa_accum_offset 28
		.amdhsa_reserve_vcc 1
		.amdhsa_reserve_flat_scratch 0
		.amdhsa_float_round_mode_32 0
		.amdhsa_float_round_mode_16_64 0
		.amdhsa_float_denorm_mode_32 3
		.amdhsa_float_denorm_mode_16_64 3
		.amdhsa_dx10_clamp 1
		.amdhsa_ieee_mode 1
		.amdhsa_fp16_overflow 0
		.amdhsa_tg_split 0
		.amdhsa_exception_fp_ieee_invalid_op 0
		.amdhsa_exception_fp_denorm_src 0
		.amdhsa_exception_fp_ieee_div_zero 0
		.amdhsa_exception_fp_ieee_overflow 0
		.amdhsa_exception_fp_ieee_underflow 0
		.amdhsa_exception_fp_ieee_inexact 0
		.amdhsa_exception_int_div_zero 0
	.end_amdhsa_kernel
	.section	.text._ZN2at6native16triu_tril_kernelIflLb0ELi2ELb0EEEvNS_4cuda6detail10TensorInfoIT_T0_EENS4_IKS5_S6_EEllS6_,"axG",@progbits,_ZN2at6native16triu_tril_kernelIflLb0ELi2ELb0EEEvNS_4cuda6detail10TensorInfoIT_T0_EENS4_IKS5_S6_EEllS6_,comdat
.Lfunc_end27:
	.size	_ZN2at6native16triu_tril_kernelIflLb0ELi2ELb0EEEvNS_4cuda6detail10TensorInfoIT_T0_EENS4_IKS5_S6_EEllS6_, .Lfunc_end27-_ZN2at6native16triu_tril_kernelIflLb0ELi2ELb0EEEvNS_4cuda6detail10TensorInfoIT_T0_EENS4_IKS5_S6_EEllS6_
                                        ; -- End function
	.section	.AMDGPU.csdata,"",@progbits
; Kernel info:
; codeLenInByte = 3396
; NumSgprs: 55
; NumVgprs: 25
; NumAgprs: 0
; TotalNumVgprs: 25
; ScratchSize: 0
; MemoryBound: 0
; FloatMode: 240
; IeeeMode: 1
; LDSByteSize: 0 bytes/workgroup (compile time only)
; SGPRBlocks: 6
; VGPRBlocks: 3
; NumSGPRsForWavesPerEU: 55
; NumVGPRsForWavesPerEU: 25
; AccumOffset: 28
; Occupancy: 8
; WaveLimiterHint : 0
; COMPUTE_PGM_RSRC2:SCRATCH_EN: 0
; COMPUTE_PGM_RSRC2:USER_SGPR: 6
; COMPUTE_PGM_RSRC2:TRAP_HANDLER: 0
; COMPUTE_PGM_RSRC2:TGID_X_EN: 1
; COMPUTE_PGM_RSRC2:TGID_Y_EN: 0
; COMPUTE_PGM_RSRC2:TGID_Z_EN: 0
; COMPUTE_PGM_RSRC2:TIDIG_COMP_CNT: 0
; COMPUTE_PGM_RSRC3_GFX90A:ACCUM_OFFSET: 6
; COMPUTE_PGM_RSRC3_GFX90A:TG_SPLIT: 0
	.section	.text._ZN2at6native16triu_tril_kernelIN3c107complexIdEEiLb0ELi1ELb1EEEvNS_4cuda6detail10TensorInfoIT_T0_EENS7_IKS8_S9_EEllS9_,"axG",@progbits,_ZN2at6native16triu_tril_kernelIN3c107complexIdEEiLb0ELi1ELb1EEEvNS_4cuda6detail10TensorInfoIT_T0_EENS7_IKS8_S9_EEllS9_,comdat
	.protected	_ZN2at6native16triu_tril_kernelIN3c107complexIdEEiLb0ELi1ELb1EEEvNS_4cuda6detail10TensorInfoIT_T0_EENS7_IKS8_S9_EEllS9_ ; -- Begin function _ZN2at6native16triu_tril_kernelIN3c107complexIdEEiLb0ELi1ELb1EEEvNS_4cuda6detail10TensorInfoIT_T0_EENS7_IKS8_S9_EEllS9_
	.globl	_ZN2at6native16triu_tril_kernelIN3c107complexIdEEiLb0ELi1ELb1EEEvNS_4cuda6detail10TensorInfoIT_T0_EENS7_IKS8_S9_EEllS9_
	.p2align	8
	.type	_ZN2at6native16triu_tril_kernelIN3c107complexIdEEiLb0ELi1ELb1EEEvNS_4cuda6detail10TensorInfoIT_T0_EENS7_IKS8_S9_EEllS9_,@function
_ZN2at6native16triu_tril_kernelIN3c107complexIdEEiLb0ELi1ELb1EEEvNS_4cuda6detail10TensorInfoIT_T0_EENS7_IKS8_S9_EEllS9_: ; @_ZN2at6native16triu_tril_kernelIN3c107complexIdEEiLb0ELi1ELb1EEEvNS_4cuda6detail10TensorInfoIT_T0_EENS7_IKS8_S9_EEllS9_
; %bb.0:
	s_load_dword s2, s[4:5], 0x1d4
	s_load_dwordx4 s[8:11], s[4:5], 0x1b0
	s_add_u32 s0, s4, 0x1c8
	v_mov_b32_e32 v2, 0
	s_addc_u32 s1, s5, 0
	s_waitcnt lgkmcnt(0)
	s_and_b32 s16, s2, 0xffff
	v_mov_b32_e32 v1, v2
	v_mov_b32_e32 v3, s6
	v_mad_u64_u32 v[0:1], s[2:3], s16, v3, v[0:1]
	v_cmp_gt_i64_e32 vcc, s[10:11], v[0:1]
	s_and_saveexec_b64 s[2:3], vcc
	s_cbranch_execz .LBB28_60
; %bb.1:
	s_load_dword s33, s[4:5], 0x1c0
	s_load_dword s14, s[4:5], 0x1a8
	s_load_dwordx2 s[2:3], s[4:5], 0x0
	s_mov_b64 s[22:23], 0
	s_waitcnt lgkmcnt(0)
	s_ashr_i32 s38, s33, 31
	s_ashr_i32 s15, s14, 31
	s_add_u32 s39, s4, 0xe0
	s_addc_u32 s40, s5, 0
	s_add_i32 s18, s14, -2
	s_ashr_i32 s19, s18, 31
	s_lshl_b64 s[12:13], s[18:19], 2
	s_add_u32 s6, s39, s12
	s_addc_u32 s7, s40, s13
	s_load_dword s41, s[6:7], 0x0
	s_load_dword s17, s[0:1], 0x0
	s_lshl_b64 s[0:1], s[14:15], 2
	v_cvt_f32_u32_e32 v3, s33
	v_cmp_gt_i64_e64 s[6:7], s[14:15], 2
	s_waitcnt lgkmcnt(0)
	s_ashr_i32 s42, s41, 31
	s_add_u32 s0, s0, -4
	s_addc_u32 s1, s1, -1
	s_add_u32 s43, s4, 0x6c
	s_addc_u32 s44, s5, 0
	s_add_u32 s4, s43, s0
	v_rcp_iflag_f32_e32 v3, v3
	s_addc_u32 s5, s44, s1
	s_add_u32 s12, s43, s12
	s_addc_u32 s13, s44, s13
	s_add_i32 s45, s14, -3
	s_add_u32 s14, s39, s0
	v_mul_f32_e32 v3, 0x4f7ffffe, v3
	s_addc_u32 s15, s40, s1
	s_and_b32 s48, s18, 7
	v_cvt_u32_f32_e32 v26, v3
	s_cmp_lg_u32 s48, 0
	s_mul_i32 s46, s17, s16
	s_mov_b32 s17, 0
	s_cselect_b64 s[18:19], -1, 0
	s_cmp_gt_u32 s45, 6
	s_mov_b32 s47, s17
	s_cselect_b64 s[20:21], -1, 0
	s_branch .LBB28_3
.LBB28_2:                               ;   in Loop: Header=BB28_3 Depth=1
	s_or_b64 exec, exec, s[24:25]
	v_mov_b32_e32 v3, s47
	v_add_co_u32_e32 v0, vcc, s46, v0
	v_addc_co_u32_e32 v1, vcc, v1, v3, vcc
	v_cmp_le_i64_e32 vcc, s[10:11], v[0:1]
	s_or_b64 s[22:23], vcc, s[22:23]
	s_andn2_b64 exec, exec, s[22:23]
	s_cbranch_execz .LBB28_60
.LBB28_3:                               ; =>This Loop Header: Depth=1
                                        ;     Child Loop BB28_16 Depth 2
                                        ;     Child Loop BB28_23 Depth 2
	v_or_b32_e32 v3, s38, v1
	v_cmp_ne_u64_e32 vcc, 0, v[2:3]
                                        ; implicit-def: $vgpr4_vgpr5
	s_and_saveexec_b64 s[0:1], vcc
	s_xor_b64 s[24:25], exec, s[0:1]
	s_cbranch_execz .LBB28_5
; %bb.4:                                ;   in Loop: Header=BB28_3 Depth=1
	s_add_u32 s0, s33, s38
	s_mov_b32 s26, s38
	s_mov_b32 s27, s38
	s_addc_u32 s1, s38, s38
	s_xor_b64 s[28:29], s[0:1], s[26:27]
	v_cvt_f32_u32_e32 v3, s28
	v_cvt_f32_u32_e32 v4, s29
	s_sub_u32 s0, 0, s28
	s_subb_u32 s1, 0, s29
	v_mac_f32_e32 v3, 0x4f800000, v4
	v_rcp_f32_e32 v3, v3
	v_mul_f32_e32 v3, 0x5f7ffffc, v3
	v_mul_f32_e32 v4, 0x2f800000, v3
	v_trunc_f32_e32 v4, v4
	v_mac_f32_e32 v3, 0xcf800000, v4
	v_cvt_u32_f32_e32 v4, v4
	v_cvt_u32_f32_e32 v3, v3
	v_mul_lo_u32 v5, s0, v4
	v_mul_hi_u32 v7, s0, v3
	v_mul_lo_u32 v6, s1, v3
	v_add_u32_e32 v5, v7, v5
	v_mul_lo_u32 v8, s0, v3
	v_add_u32_e32 v5, v5, v6
	v_mul_lo_u32 v7, v3, v5
	v_mul_hi_u32 v9, v3, v8
	v_mul_hi_u32 v6, v3, v5
	v_add_co_u32_e32 v7, vcc, v9, v7
	v_addc_co_u32_e32 v6, vcc, 0, v6, vcc
	v_mul_hi_u32 v10, v4, v8
	v_mul_lo_u32 v8, v4, v8
	v_add_co_u32_e32 v7, vcc, v7, v8
	v_mul_hi_u32 v9, v4, v5
	v_addc_co_u32_e32 v6, vcc, v6, v10, vcc
	v_addc_co_u32_e32 v7, vcc, 0, v9, vcc
	v_mul_lo_u32 v5, v4, v5
	v_add_co_u32_e32 v5, vcc, v6, v5
	v_addc_co_u32_e32 v6, vcc, 0, v7, vcc
	v_add_co_u32_e32 v3, vcc, v3, v5
	v_addc_co_u32_e32 v4, vcc, v4, v6, vcc
	v_mul_lo_u32 v5, s0, v4
	v_mul_hi_u32 v6, s0, v3
	v_add_u32_e32 v5, v6, v5
	v_mul_lo_u32 v6, s1, v3
	v_add_u32_e32 v5, v5, v6
	v_mul_lo_u32 v7, s0, v3
	v_mul_hi_u32 v8, v4, v7
	v_mul_lo_u32 v9, v4, v7
	v_mul_lo_u32 v11, v3, v5
	v_mul_hi_u32 v7, v3, v7
	v_mul_hi_u32 v10, v3, v5
	v_add_co_u32_e32 v7, vcc, v7, v11
	v_addc_co_u32_e32 v10, vcc, 0, v10, vcc
	v_add_co_u32_e32 v7, vcc, v7, v9
	v_mul_hi_u32 v6, v4, v5
	v_addc_co_u32_e32 v7, vcc, v10, v8, vcc
	v_addc_co_u32_e32 v6, vcc, 0, v6, vcc
	v_mul_lo_u32 v5, v4, v5
	v_add_co_u32_e32 v5, vcc, v7, v5
	v_addc_co_u32_e32 v6, vcc, 0, v6, vcc
	v_add_co_u32_e32 v3, vcc, v3, v5
	v_addc_co_u32_e32 v6, vcc, v4, v6, vcc
	v_ashrrev_i32_e32 v8, 31, v1
	v_add_co_u32_e32 v4, vcc, v0, v8
	v_addc_co_u32_e32 v5, vcc, v1, v8, vcc
	v_xor_b32_e32 v10, v4, v8
	v_xor_b32_e32 v9, v5, v8
	v_mad_u64_u32 v[4:5], s[0:1], v10, v6, 0
	v_mul_hi_u32 v7, v10, v3
	v_add_co_u32_e32 v11, vcc, v7, v4
	v_addc_co_u32_e32 v12, vcc, 0, v5, vcc
	v_mad_u64_u32 v[4:5], s[0:1], v9, v6, 0
	v_mad_u64_u32 v[6:7], s[0:1], v9, v3, 0
	v_add_co_u32_e32 v3, vcc, v11, v6
	v_addc_co_u32_e32 v3, vcc, v12, v7, vcc
	v_addc_co_u32_e32 v5, vcc, 0, v5, vcc
	v_add_co_u32_e32 v3, vcc, v3, v4
	v_addc_co_u32_e32 v6, vcc, 0, v5, vcc
	v_mul_lo_u32 v7, s29, v3
	v_mul_lo_u32 v11, s28, v6
	v_mad_u64_u32 v[4:5], s[0:1], s28, v3, 0
	v_add3_u32 v5, v5, v11, v7
	v_sub_u32_e32 v7, v9, v5
	v_mov_b32_e32 v11, s29
	v_sub_co_u32_e32 v4, vcc, v10, v4
	v_subb_co_u32_e64 v7, s[0:1], v7, v11, vcc
	v_subrev_co_u32_e64 v10, s[0:1], s28, v4
	v_subbrev_co_u32_e64 v7, s[0:1], 0, v7, s[0:1]
	v_cmp_le_u32_e64 s[0:1], s29, v7
	v_cndmask_b32_e64 v11, 0, -1, s[0:1]
	v_cmp_le_u32_e64 s[0:1], s28, v10
	v_cndmask_b32_e64 v10, 0, -1, s[0:1]
	v_cmp_eq_u32_e64 s[0:1], s29, v7
	v_cndmask_b32_e64 v7, v11, v10, s[0:1]
	v_add_co_u32_e64 v10, s[0:1], 2, v3
	v_subb_co_u32_e32 v5, vcc, v9, v5, vcc
	v_addc_co_u32_e64 v11, s[0:1], 0, v6, s[0:1]
	v_cmp_le_u32_e32 vcc, s29, v5
	v_add_co_u32_e64 v12, s[0:1], 1, v3
	v_cndmask_b32_e64 v9, 0, -1, vcc
	v_cmp_le_u32_e32 vcc, s28, v4
	v_addc_co_u32_e64 v13, s[0:1], 0, v6, s[0:1]
	v_cndmask_b32_e64 v4, 0, -1, vcc
	v_cmp_eq_u32_e32 vcc, s29, v5
	v_cmp_ne_u32_e64 s[0:1], 0, v7
	v_cndmask_b32_e32 v4, v9, v4, vcc
	v_cndmask_b32_e64 v7, v13, v11, s[0:1]
	v_cmp_ne_u32_e32 vcc, 0, v4
	v_cndmask_b32_e64 v5, v12, v10, s[0:1]
	v_cndmask_b32_e32 v4, v6, v7, vcc
	v_cndmask_b32_e32 v3, v3, v5, vcc
	v_xor_b32_e32 v6, s26, v8
	v_xor_b32_e32 v5, s27, v8
	;; [unrolled: 1-line block ×4, first 2 shown]
	v_sub_co_u32_e32 v4, vcc, v3, v6
	v_subb_co_u32_e32 v5, vcc, v7, v5, vcc
.LBB28_5:                               ;   in Loop: Header=BB28_3 Depth=1
	s_andn2_saveexec_b64 s[0:1], s[24:25]
	s_cbranch_execz .LBB28_7
; %bb.6:                                ;   in Loop: Header=BB28_3 Depth=1
	s_sub_i32 s16, 0, s33
	v_mul_lo_u32 v3, s16, v26
	v_mul_hi_u32 v3, v26, v3
	v_add_u32_e32 v3, v26, v3
	v_mul_hi_u32 v3, v0, v3
	v_mul_lo_u32 v4, v3, s33
	v_sub_u32_e32 v4, v0, v4
	v_subrev_u32_e32 v5, s33, v4
	v_cmp_le_u32_e32 vcc, s33, v4
	v_cndmask_b32_e32 v4, v4, v5, vcc
	v_add_u32_e32 v5, 1, v3
	v_cndmask_b32_e32 v3, v3, v5, vcc
	v_add_u32_e32 v5, 1, v3
	v_cmp_le_u32_e32 vcc, s33, v4
	v_cndmask_b32_e32 v4, v3, v5, vcc
	v_mov_b32_e32 v5, v2
.LBB28_7:                               ;   in Loop: Header=BB28_3 Depth=1
	s_or_b64 exec, exec, s[0:1]
	v_or_b32_e32 v3, s42, v5
	v_cmp_ne_u64_e32 vcc, 0, v[2:3]
                                        ; implicit-def: $vgpr8_vgpr9
	s_and_saveexec_b64 s[0:1], vcc
	s_xor_b64 s[24:25], exec, s[0:1]
	s_cbranch_execz .LBB28_9
; %bb.8:                                ;   in Loop: Header=BB28_3 Depth=1
	s_add_u32 s0, s41, s42
	s_mov_b32 s26, s42
	s_mov_b32 s27, s42
	s_addc_u32 s1, s42, s42
	s_xor_b64 s[28:29], s[0:1], s[26:27]
	v_cvt_f32_u32_e32 v3, s28
	v_cvt_f32_u32_e32 v6, s29
	s_sub_u32 s0, 0, s28
	s_subb_u32 s1, 0, s29
	v_mac_f32_e32 v3, 0x4f800000, v6
	v_rcp_f32_e32 v3, v3
	v_mul_f32_e32 v3, 0x5f7ffffc, v3
	v_mul_f32_e32 v6, 0x2f800000, v3
	v_trunc_f32_e32 v6, v6
	v_mac_f32_e32 v3, 0xcf800000, v6
	v_cvt_u32_f32_e32 v6, v6
	v_cvt_u32_f32_e32 v3, v3
	v_mul_lo_u32 v7, s0, v6
	v_mul_hi_u32 v9, s0, v3
	v_mul_lo_u32 v8, s1, v3
	v_add_u32_e32 v7, v9, v7
	v_mul_lo_u32 v10, s0, v3
	v_add_u32_e32 v7, v7, v8
	v_mul_lo_u32 v9, v3, v7
	v_mul_hi_u32 v11, v3, v10
	v_mul_hi_u32 v8, v3, v7
	v_add_co_u32_e32 v9, vcc, v11, v9
	v_addc_co_u32_e32 v8, vcc, 0, v8, vcc
	v_mul_hi_u32 v12, v6, v10
	v_mul_lo_u32 v10, v6, v10
	v_add_co_u32_e32 v9, vcc, v9, v10
	v_mul_hi_u32 v11, v6, v7
	v_addc_co_u32_e32 v8, vcc, v8, v12, vcc
	v_addc_co_u32_e32 v9, vcc, 0, v11, vcc
	v_mul_lo_u32 v7, v6, v7
	v_add_co_u32_e32 v7, vcc, v8, v7
	v_addc_co_u32_e32 v8, vcc, 0, v9, vcc
	v_add_co_u32_e32 v3, vcc, v3, v7
	v_addc_co_u32_e32 v6, vcc, v6, v8, vcc
	v_mul_lo_u32 v7, s0, v6
	v_mul_hi_u32 v8, s0, v3
	v_add_u32_e32 v7, v8, v7
	v_mul_lo_u32 v8, s1, v3
	v_add_u32_e32 v7, v7, v8
	v_mul_lo_u32 v9, s0, v3
	v_mul_hi_u32 v10, v6, v9
	v_mul_lo_u32 v11, v6, v9
	v_mul_lo_u32 v13, v3, v7
	v_mul_hi_u32 v9, v3, v9
	v_mul_hi_u32 v12, v3, v7
	v_add_co_u32_e32 v9, vcc, v9, v13
	v_addc_co_u32_e32 v12, vcc, 0, v12, vcc
	v_add_co_u32_e32 v9, vcc, v9, v11
	v_mul_hi_u32 v8, v6, v7
	v_addc_co_u32_e32 v9, vcc, v12, v10, vcc
	v_addc_co_u32_e32 v8, vcc, 0, v8, vcc
	v_mul_lo_u32 v7, v6, v7
	v_add_co_u32_e32 v7, vcc, v9, v7
	v_addc_co_u32_e32 v8, vcc, 0, v8, vcc
	v_add_co_u32_e32 v3, vcc, v3, v7
	v_addc_co_u32_e32 v8, vcc, v6, v8, vcc
	v_ashrrev_i32_e32 v10, 31, v5
	v_add_co_u32_e32 v6, vcc, v4, v10
	v_xor_b32_e32 v11, v6, v10
	v_addc_co_u32_e32 v5, vcc, v5, v10, vcc
	v_mad_u64_u32 v[6:7], s[0:1], v11, v8, 0
	v_mul_hi_u32 v9, v11, v3
	v_xor_b32_e32 v5, v5, v10
	v_add_co_u32_e32 v12, vcc, v9, v6
	v_addc_co_u32_e32 v13, vcc, 0, v7, vcc
	v_mad_u64_u32 v[6:7], s[0:1], v5, v8, 0
	v_mad_u64_u32 v[8:9], s[0:1], v5, v3, 0
	v_add_co_u32_e32 v3, vcc, v12, v8
	v_addc_co_u32_e32 v3, vcc, v13, v9, vcc
	v_addc_co_u32_e32 v7, vcc, 0, v7, vcc
	v_add_co_u32_e32 v3, vcc, v3, v6
	v_addc_co_u32_e32 v8, vcc, 0, v7, vcc
	v_mul_lo_u32 v9, s29, v3
	v_mul_lo_u32 v12, s28, v8
	v_mad_u64_u32 v[6:7], s[0:1], s28, v3, 0
	v_add3_u32 v7, v7, v12, v9
	v_sub_u32_e32 v9, v5, v7
	v_mov_b32_e32 v12, s29
	v_sub_co_u32_e32 v6, vcc, v11, v6
	v_subb_co_u32_e64 v9, s[0:1], v9, v12, vcc
	v_subrev_co_u32_e64 v11, s[0:1], s28, v6
	v_subbrev_co_u32_e64 v9, s[0:1], 0, v9, s[0:1]
	v_cmp_le_u32_e64 s[0:1], s29, v9
	v_cndmask_b32_e64 v12, 0, -1, s[0:1]
	v_cmp_le_u32_e64 s[0:1], s28, v11
	v_cndmask_b32_e64 v11, 0, -1, s[0:1]
	v_cmp_eq_u32_e64 s[0:1], s29, v9
	v_cndmask_b32_e64 v9, v12, v11, s[0:1]
	v_add_co_u32_e64 v11, s[0:1], 2, v3
	v_subb_co_u32_e32 v5, vcc, v5, v7, vcc
	v_addc_co_u32_e64 v12, s[0:1], 0, v8, s[0:1]
	v_cmp_le_u32_e32 vcc, s29, v5
	v_add_co_u32_e64 v13, s[0:1], 1, v3
	v_cndmask_b32_e64 v7, 0, -1, vcc
	v_cmp_le_u32_e32 vcc, s28, v6
	v_addc_co_u32_e64 v14, s[0:1], 0, v8, s[0:1]
	v_cndmask_b32_e64 v6, 0, -1, vcc
	v_cmp_eq_u32_e32 vcc, s29, v5
	v_cmp_ne_u32_e64 s[0:1], 0, v9
	v_cndmask_b32_e32 v5, v7, v6, vcc
	v_cmp_ne_u32_e32 vcc, 0, v5
	v_cndmask_b32_e64 v6, v13, v11, s[0:1]
	v_cndmask_b32_e64 v9, v14, v12, s[0:1]
	v_cndmask_b32_e32 v3, v3, v6, vcc
	v_xor_b32_e32 v7, s26, v10
	v_cndmask_b32_e32 v5, v8, v9, vcc
	v_xor_b32_e32 v6, s27, v10
	v_xor_b32_e32 v3, v3, v7
	;; [unrolled: 1-line block ×3, first 2 shown]
	v_sub_co_u32_e32 v8, vcc, v3, v7
	v_subb_co_u32_e32 v9, vcc, v5, v6, vcc
.LBB28_9:                               ;   in Loop: Header=BB28_3 Depth=1
	s_andn2_saveexec_b64 s[0:1], s[24:25]
	s_cbranch_execz .LBB28_11
; %bb.10:                               ;   in Loop: Header=BB28_3 Depth=1
	v_cvt_f32_u32_e32 v3, s41
	s_sub_i32 s16, 0, s41
	v_mov_b32_e32 v9, v2
	v_rcp_iflag_f32_e32 v3, v3
	v_mul_f32_e32 v3, 0x4f7ffffe, v3
	v_cvt_u32_f32_e32 v3, v3
	v_mul_lo_u32 v5, s16, v3
	v_mul_hi_u32 v5, v3, v5
	v_add_u32_e32 v3, v3, v5
	v_mul_hi_u32 v3, v4, v3
	v_mul_lo_u32 v5, v3, s41
	v_sub_u32_e32 v5, v4, v5
	v_add_u32_e32 v6, 1, v3
	v_subrev_u32_e32 v7, s41, v5
	v_cmp_le_u32_e32 vcc, s41, v5
	v_cndmask_b32_e32 v5, v5, v7, vcc
	v_cndmask_b32_e32 v3, v3, v6, vcc
	v_add_u32_e32 v6, 1, v3
	v_cmp_le_u32_e32 vcc, s41, v5
	v_cndmask_b32_e32 v8, v3, v6, vcc
.LBB28_11:                              ;   in Loop: Header=BB28_3 Depth=1
	s_or_b64 exec, exec, s[0:1]
	v_mad_u64_u32 v[6:7], s[0:1], v4, s33, 0
	v_sub_co_u32_e32 v5, vcc, v0, v6
	v_mad_u64_u32 v[6:7], s[0:1], v8, s41, 0
	v_sub_co_u32_e32 v3, vcc, v4, v6
	v_sub_u32_e32 v4, v5, v3
	v_add_u32_e32 v6, 1, v4
	v_ashrrev_i32_e32 v7, 31, v6
	v_cmp_lt_i64_e32 vcc, s[8:9], v[6:7]
	s_and_saveexec_b64 s[24:25], vcc
	s_cbranch_execz .LBB28_2
; %bb.12:                               ;   in Loop: Header=BB28_3 Depth=1
	s_load_dword s0, s[4:5], 0x0
	s_load_dword s1, s[12:13], 0x0
	s_andn2_b64 vcc, exec, s[6:7]
	s_waitcnt lgkmcnt(0)
	v_mul_lo_u32 v6, s0, v5
	v_mad_u64_u32 v[6:7], s[0:1], s1, v3, v[6:7]
	s_cbranch_vccnz .LBB28_57
; %bb.13:                               ;   in Loop: Header=BB28_3 Depth=1
	s_andn2_b64 vcc, exec, s[18:19]
	s_cbranch_vccnz .LBB28_20
; %bb.14:                               ;   in Loop: Header=BB28_3 Depth=1
	s_mov_b32 s36, s48
	s_mov_b32 s16, s45
	s_branch .LBB28_16
.LBB28_15:                              ;   in Loop: Header=BB28_16 Depth=2
	s_or_b64 exec, exec, s[0:1]
	s_add_u32 s0, s43, s26
	s_addc_u32 s1, s44, s27
	s_load_dword s0, s[0:1], 0x0
	v_mul_lo_u32 v3, v8, s37
	v_sub_u32_e32 v3, v10, v3
	s_add_i32 s16, s16, -1
	s_add_i32 s36, s36, -1
	s_cmp_lg_u32 s36, 0
	s_waitcnt lgkmcnt(0)
	v_mad_u64_u32 v[6:7], s[0:1], s0, v3, v[6:7]
	s_cbranch_scc0 .LBB28_21
.LBB28_16:                              ;   Parent Loop BB28_3 Depth=1
                                        ; =>  This Inner Loop Header: Depth=2
	s_lshl_b64 s[26:27], s[16:17], 2
	s_add_u32 s0, s39, s26
	s_addc_u32 s1, s40, s27
	s_load_dword s37, s[0:1], 0x0
	v_pk_mov_b32 v[10:11], v[8:9], v[8:9] op_sel:[0,1]
                                        ; implicit-def: $vgpr8_vgpr9
	s_waitcnt lgkmcnt(0)
	s_ashr_i32 s0, s37, 31
	v_or_b32_e32 v3, s0, v11
	v_cmp_ne_u64_e32 vcc, 0, v[2:3]
	s_and_saveexec_b64 s[28:29], vcc
	s_xor_b64 s[28:29], exec, s[28:29]
	s_cbranch_execz .LBB28_18
; %bb.17:                               ;   in Loop: Header=BB28_16 Depth=2
	s_add_u32 s34, s37, s0
	s_mov_b32 s30, s0
	s_mov_b32 s31, s0
	s_addc_u32 s35, s0, s0
	s_xor_b64 s[34:35], s[34:35], s[30:31]
	v_cvt_f32_u32_e32 v3, s34
	v_cvt_f32_u32_e32 v7, s35
	s_sub_u32 s0, 0, s34
	s_subb_u32 s1, 0, s35
	v_mac_f32_e32 v3, 0x4f800000, v7
	v_rcp_f32_e32 v3, v3
	v_mul_f32_e32 v3, 0x5f7ffffc, v3
	v_mul_f32_e32 v7, 0x2f800000, v3
	v_trunc_f32_e32 v7, v7
	v_mac_f32_e32 v3, 0xcf800000, v7
	v_cvt_u32_f32_e32 v7, v7
	v_cvt_u32_f32_e32 v3, v3
	v_mul_lo_u32 v8, s0, v7
	v_mul_hi_u32 v12, s0, v3
	v_mul_lo_u32 v9, s1, v3
	v_add_u32_e32 v8, v12, v8
	v_mul_lo_u32 v13, s0, v3
	v_add_u32_e32 v8, v8, v9
	v_mul_lo_u32 v12, v3, v8
	v_mul_hi_u32 v14, v3, v13
	v_mul_hi_u32 v9, v3, v8
	v_add_co_u32_e32 v12, vcc, v14, v12
	v_addc_co_u32_e32 v9, vcc, 0, v9, vcc
	v_mul_hi_u32 v15, v7, v13
	v_mul_lo_u32 v13, v7, v13
	v_add_co_u32_e32 v12, vcc, v12, v13
	v_mul_hi_u32 v14, v7, v8
	v_addc_co_u32_e32 v9, vcc, v9, v15, vcc
	v_addc_co_u32_e32 v12, vcc, 0, v14, vcc
	v_mul_lo_u32 v8, v7, v8
	v_add_co_u32_e32 v8, vcc, v9, v8
	v_addc_co_u32_e32 v9, vcc, 0, v12, vcc
	v_add_co_u32_e32 v3, vcc, v3, v8
	v_addc_co_u32_e32 v7, vcc, v7, v9, vcc
	v_mul_lo_u32 v8, s0, v7
	v_mul_hi_u32 v9, s0, v3
	v_add_u32_e32 v8, v9, v8
	v_mul_lo_u32 v9, s1, v3
	v_add_u32_e32 v8, v8, v9
	v_mul_lo_u32 v12, s0, v3
	v_mul_hi_u32 v13, v7, v12
	v_mul_lo_u32 v14, v7, v12
	v_mul_lo_u32 v16, v3, v8
	v_mul_hi_u32 v12, v3, v12
	v_mul_hi_u32 v15, v3, v8
	v_add_co_u32_e32 v12, vcc, v12, v16
	v_addc_co_u32_e32 v15, vcc, 0, v15, vcc
	v_add_co_u32_e32 v12, vcc, v12, v14
	v_mul_hi_u32 v9, v7, v8
	v_addc_co_u32_e32 v12, vcc, v15, v13, vcc
	v_addc_co_u32_e32 v9, vcc, 0, v9, vcc
	v_mul_lo_u32 v8, v7, v8
	v_add_co_u32_e32 v8, vcc, v12, v8
	v_addc_co_u32_e32 v9, vcc, 0, v9, vcc
	v_add_co_u32_e32 v3, vcc, v3, v8
	v_addc_co_u32_e32 v7, vcc, v7, v9, vcc
	v_ashrrev_i32_e32 v14, 31, v11
	v_add_co_u32_e32 v8, vcc, v10, v14
	v_addc_co_u32_e32 v9, vcc, v11, v14, vcc
	v_xor_b32_e32 v15, v8, v14
	v_xor_b32_e32 v11, v9, v14
	v_mad_u64_u32 v[8:9], s[0:1], v15, v7, 0
	v_mul_hi_u32 v12, v15, v3
	v_add_co_u32_e32 v16, vcc, v12, v8
	v_addc_co_u32_e32 v17, vcc, 0, v9, vcc
	v_mad_u64_u32 v[12:13], s[0:1], v11, v3, 0
	v_add_co_u32_e32 v3, vcc, v16, v12
	v_mad_u64_u32 v[8:9], s[0:1], v11, v7, 0
	v_addc_co_u32_e32 v3, vcc, v17, v13, vcc
	v_addc_co_u32_e32 v7, vcc, 0, v9, vcc
	v_add_co_u32_e32 v3, vcc, v3, v8
	v_addc_co_u32_e32 v7, vcc, 0, v7, vcc
	v_mul_lo_u32 v12, s35, v3
	v_mul_lo_u32 v13, s34, v7
	v_mad_u64_u32 v[8:9], s[0:1], s34, v3, 0
	v_add3_u32 v9, v9, v13, v12
	v_sub_u32_e32 v12, v11, v9
	v_mov_b32_e32 v13, s35
	v_sub_co_u32_e32 v8, vcc, v15, v8
	v_subb_co_u32_e64 v12, s[0:1], v12, v13, vcc
	v_subrev_co_u32_e64 v13, s[0:1], s34, v8
	v_subbrev_co_u32_e64 v12, s[0:1], 0, v12, s[0:1]
	v_cmp_le_u32_e64 s[0:1], s35, v12
	v_cndmask_b32_e64 v15, 0, -1, s[0:1]
	v_cmp_le_u32_e64 s[0:1], s34, v13
	v_cndmask_b32_e64 v13, 0, -1, s[0:1]
	v_cmp_eq_u32_e64 s[0:1], s35, v12
	v_cndmask_b32_e64 v12, v15, v13, s[0:1]
	v_add_co_u32_e64 v13, s[0:1], 2, v3
	v_subb_co_u32_e32 v9, vcc, v11, v9, vcc
	v_addc_co_u32_e64 v15, s[0:1], 0, v7, s[0:1]
	v_cmp_le_u32_e32 vcc, s35, v9
	v_add_co_u32_e64 v16, s[0:1], 1, v3
	v_cndmask_b32_e64 v11, 0, -1, vcc
	v_cmp_le_u32_e32 vcc, s34, v8
	v_addc_co_u32_e64 v17, s[0:1], 0, v7, s[0:1]
	v_cndmask_b32_e64 v8, 0, -1, vcc
	v_cmp_eq_u32_e32 vcc, s35, v9
	v_cmp_ne_u32_e64 s[0:1], 0, v12
	v_cndmask_b32_e32 v8, v11, v8, vcc
	v_cmp_ne_u32_e32 vcc, 0, v8
	v_cndmask_b32_e64 v8, v16, v13, s[0:1]
	v_cndmask_b32_e64 v12, v17, v15, s[0:1]
	v_cndmask_b32_e32 v3, v3, v8, vcc
	v_xor_b32_e32 v8, s30, v14
	v_cndmask_b32_e32 v7, v7, v12, vcc
	v_xor_b32_e32 v9, s31, v14
	v_xor_b32_e32 v3, v3, v8
	v_xor_b32_e32 v7, v7, v9
	v_sub_co_u32_e32 v8, vcc, v3, v8
	v_subb_co_u32_e32 v9, vcc, v7, v9, vcc
.LBB28_18:                              ;   in Loop: Header=BB28_16 Depth=2
	s_andn2_saveexec_b64 s[0:1], s[28:29]
	s_cbranch_execz .LBB28_15
; %bb.19:                               ;   in Loop: Header=BB28_16 Depth=2
	v_cvt_f32_u32_e32 v3, s37
	s_sub_i32 s28, 0, s37
	v_rcp_iflag_f32_e32 v3, v3
	v_mul_f32_e32 v3, 0x4f7ffffe, v3
	v_cvt_u32_f32_e32 v3, v3
	v_mul_lo_u32 v7, s28, v3
	v_mul_hi_u32 v7, v3, v7
	v_add_u32_e32 v3, v3, v7
	v_mul_hi_u32 v3, v10, v3
	v_mul_lo_u32 v7, v3, s37
	v_sub_u32_e32 v7, v10, v7
	v_add_u32_e32 v8, 1, v3
	v_subrev_u32_e32 v9, s37, v7
	v_cmp_le_u32_e32 vcc, s37, v7
	v_cndmask_b32_e32 v7, v7, v9, vcc
	v_cndmask_b32_e32 v3, v3, v8, vcc
	v_add_u32_e32 v8, 1, v3
	v_cmp_le_u32_e32 vcc, s37, v7
	v_cndmask_b32_e32 v8, v3, v8, vcc
	v_mov_b32_e32 v9, v2
	s_branch .LBB28_15
.LBB28_20:                              ;   in Loop: Header=BB28_3 Depth=1
	s_mov_b32 s16, s45
.LBB28_21:                              ;   in Loop: Header=BB28_3 Depth=1
	s_andn2_b64 vcc, exec, s[20:21]
	s_cbranch_vccnz .LBB28_57
; %bb.22:                               ;   in Loop: Header=BB28_3 Depth=1
	s_add_i32 s26, s16, -7
.LBB28_23:                              ;   Parent Loop BB28_3 Depth=1
                                        ; =>  This Inner Loop Header: Depth=2
	s_add_i32 s16, s26, 7
	s_lshl_b64 s[28:29], s[16:17], 2
	s_add_u32 s0, s39, s28
	s_addc_u32 s1, s40, s29
	s_load_dword s49, s[0:1], 0x0
                                        ; implicit-def: $vgpr10_vgpr11
	s_waitcnt lgkmcnt(0)
	s_ashr_i32 s0, s49, 31
	v_or_b32_e32 v3, s0, v9
	v_cmp_ne_u64_e32 vcc, 0, v[2:3]
	s_and_saveexec_b64 s[30:31], vcc
	s_xor_b64 s[30:31], exec, s[30:31]
	s_cbranch_execz .LBB28_25
; %bb.24:                               ;   in Loop: Header=BB28_23 Depth=2
	s_add_u32 s36, s49, s0
	s_mov_b32 s34, s0
	s_mov_b32 s35, s0
	s_addc_u32 s37, s0, s0
	s_xor_b64 s[36:37], s[36:37], s[34:35]
	v_cvt_f32_u32_e32 v3, s36
	v_cvt_f32_u32_e32 v7, s37
	s_sub_u32 s0, 0, s36
	s_subb_u32 s1, 0, s37
	v_mac_f32_e32 v3, 0x4f800000, v7
	v_rcp_f32_e32 v3, v3
	v_mul_f32_e32 v3, 0x5f7ffffc, v3
	v_mul_f32_e32 v7, 0x2f800000, v3
	v_trunc_f32_e32 v7, v7
	v_mac_f32_e32 v3, 0xcf800000, v7
	v_cvt_u32_f32_e32 v7, v7
	v_cvt_u32_f32_e32 v3, v3
	v_mul_lo_u32 v10, s0, v7
	v_mul_hi_u32 v12, s0, v3
	v_mul_lo_u32 v11, s1, v3
	v_add_u32_e32 v10, v12, v10
	v_mul_lo_u32 v13, s0, v3
	v_add_u32_e32 v10, v10, v11
	v_mul_lo_u32 v12, v3, v10
	v_mul_hi_u32 v14, v3, v13
	v_mul_hi_u32 v11, v3, v10
	v_add_co_u32_e32 v12, vcc, v14, v12
	v_addc_co_u32_e32 v11, vcc, 0, v11, vcc
	v_mul_hi_u32 v15, v7, v13
	v_mul_lo_u32 v13, v7, v13
	v_add_co_u32_e32 v12, vcc, v12, v13
	v_mul_hi_u32 v14, v7, v10
	v_addc_co_u32_e32 v11, vcc, v11, v15, vcc
	v_addc_co_u32_e32 v12, vcc, 0, v14, vcc
	v_mul_lo_u32 v10, v7, v10
	v_add_co_u32_e32 v10, vcc, v11, v10
	v_addc_co_u32_e32 v11, vcc, 0, v12, vcc
	v_add_co_u32_e32 v3, vcc, v3, v10
	v_addc_co_u32_e32 v7, vcc, v7, v11, vcc
	v_mul_lo_u32 v10, s0, v7
	v_mul_hi_u32 v11, s0, v3
	v_add_u32_e32 v10, v11, v10
	v_mul_lo_u32 v11, s1, v3
	v_add_u32_e32 v10, v10, v11
	v_mul_lo_u32 v12, s0, v3
	v_mul_hi_u32 v13, v7, v12
	v_mul_lo_u32 v14, v7, v12
	v_mul_lo_u32 v16, v3, v10
	v_mul_hi_u32 v12, v3, v12
	v_mul_hi_u32 v15, v3, v10
	v_add_co_u32_e32 v12, vcc, v12, v16
	v_addc_co_u32_e32 v15, vcc, 0, v15, vcc
	v_add_co_u32_e32 v12, vcc, v12, v14
	v_mul_hi_u32 v11, v7, v10
	v_addc_co_u32_e32 v12, vcc, v15, v13, vcc
	v_addc_co_u32_e32 v11, vcc, 0, v11, vcc
	v_mul_lo_u32 v10, v7, v10
	v_add_co_u32_e32 v10, vcc, v12, v10
	v_addc_co_u32_e32 v11, vcc, 0, v11, vcc
	v_add_co_u32_e32 v3, vcc, v3, v10
	v_addc_co_u32_e32 v7, vcc, v7, v11, vcc
	v_ashrrev_i32_e32 v14, 31, v9
	v_add_co_u32_e32 v10, vcc, v8, v14
	v_xor_b32_e32 v15, v10, v14
	v_addc_co_u32_e32 v9, vcc, v9, v14, vcc
	v_mad_u64_u32 v[10:11], s[0:1], v15, v7, 0
	v_mul_hi_u32 v12, v15, v3
	v_xor_b32_e32 v9, v9, v14
	v_add_co_u32_e32 v16, vcc, v12, v10
	v_addc_co_u32_e32 v17, vcc, 0, v11, vcc
	v_mad_u64_u32 v[12:13], s[0:1], v9, v3, 0
	v_add_co_u32_e32 v3, vcc, v16, v12
	v_mad_u64_u32 v[10:11], s[0:1], v9, v7, 0
	v_addc_co_u32_e32 v3, vcc, v17, v13, vcc
	v_addc_co_u32_e32 v7, vcc, 0, v11, vcc
	v_add_co_u32_e32 v3, vcc, v3, v10
	v_addc_co_u32_e32 v7, vcc, 0, v7, vcc
	v_mul_lo_u32 v12, s37, v3
	v_mul_lo_u32 v13, s36, v7
	v_mad_u64_u32 v[10:11], s[0:1], s36, v3, 0
	v_add3_u32 v11, v11, v13, v12
	v_sub_u32_e32 v12, v9, v11
	v_mov_b32_e32 v13, s37
	v_sub_co_u32_e32 v10, vcc, v15, v10
	v_subb_co_u32_e64 v12, s[0:1], v12, v13, vcc
	v_subrev_co_u32_e64 v13, s[0:1], s36, v10
	v_subbrev_co_u32_e64 v12, s[0:1], 0, v12, s[0:1]
	v_cmp_le_u32_e64 s[0:1], s37, v12
	v_cndmask_b32_e64 v15, 0, -1, s[0:1]
	v_cmp_le_u32_e64 s[0:1], s36, v13
	v_cndmask_b32_e64 v13, 0, -1, s[0:1]
	v_cmp_eq_u32_e64 s[0:1], s37, v12
	v_cndmask_b32_e64 v12, v15, v13, s[0:1]
	v_add_co_u32_e64 v13, s[0:1], 2, v3
	v_subb_co_u32_e32 v9, vcc, v9, v11, vcc
	v_addc_co_u32_e64 v15, s[0:1], 0, v7, s[0:1]
	v_cmp_le_u32_e32 vcc, s37, v9
	v_add_co_u32_e64 v16, s[0:1], 1, v3
	v_cndmask_b32_e64 v11, 0, -1, vcc
	v_cmp_le_u32_e32 vcc, s36, v10
	v_addc_co_u32_e64 v17, s[0:1], 0, v7, s[0:1]
	v_cndmask_b32_e64 v10, 0, -1, vcc
	v_cmp_eq_u32_e32 vcc, s37, v9
	v_cmp_ne_u32_e64 s[0:1], 0, v12
	v_cndmask_b32_e32 v9, v11, v10, vcc
	v_cmp_ne_u32_e32 vcc, 0, v9
	v_cndmask_b32_e64 v9, v16, v13, s[0:1]
	v_cndmask_b32_e64 v12, v17, v15, s[0:1]
	v_cndmask_b32_e32 v3, v3, v9, vcc
	v_xor_b32_e32 v10, s34, v14
	v_cndmask_b32_e32 v7, v7, v12, vcc
	v_xor_b32_e32 v9, s35, v14
	v_xor_b32_e32 v3, v3, v10
	;; [unrolled: 1-line block ×3, first 2 shown]
	v_sub_co_u32_e32 v10, vcc, v3, v10
	v_subb_co_u32_e32 v11, vcc, v7, v9, vcc
.LBB28_25:                              ;   in Loop: Header=BB28_23 Depth=2
	s_andn2_saveexec_b64 s[0:1], s[30:31]
	s_cbranch_execz .LBB28_27
; %bb.26:                               ;   in Loop: Header=BB28_23 Depth=2
	v_cvt_f32_u32_e32 v3, s49
	s_sub_i32 s16, 0, s49
	v_mov_b32_e32 v11, v2
	v_rcp_iflag_f32_e32 v3, v3
	v_mul_f32_e32 v3, 0x4f7ffffe, v3
	v_cvt_u32_f32_e32 v3, v3
	v_mul_lo_u32 v7, s16, v3
	v_mul_hi_u32 v7, v3, v7
	v_add_u32_e32 v3, v3, v7
	v_mul_hi_u32 v3, v8, v3
	v_mul_lo_u32 v7, v3, s49
	v_sub_u32_e32 v7, v8, v7
	v_add_u32_e32 v9, 1, v3
	v_subrev_u32_e32 v10, s49, v7
	v_cmp_le_u32_e32 vcc, s49, v7
	v_cndmask_b32_e32 v7, v7, v10, vcc
	v_cndmask_b32_e32 v3, v3, v9, vcc
	v_add_u32_e32 v9, 1, v3
	v_cmp_le_u32_e32 vcc, s49, v7
	v_cndmask_b32_e32 v10, v3, v9, vcc
.LBB28_27:                              ;   in Loop: Header=BB28_23 Depth=2
	s_or_b64 exec, exec, s[0:1]
	s_add_u32 s0, s43, s28
	s_addc_u32 s1, s44, s29
	s_add_i32 s16, s26, 6
	s_lshl_b64 s[28:29], s[16:17], 2
	s_add_u32 s30, s39, s28
	s_addc_u32 s31, s40, s29
	s_load_dword s50, s[30:31], 0x0
	s_load_dword s51, s[0:1], 0x0
                                        ; implicit-def: $vgpr12_vgpr13
	s_waitcnt lgkmcnt(0)
	s_ashr_i32 s0, s50, 31
	v_or_b32_e32 v3, s0, v11
	v_cmp_ne_u64_e32 vcc, 0, v[2:3]
	s_and_saveexec_b64 s[30:31], vcc
	s_xor_b64 s[30:31], exec, s[30:31]
	s_cbranch_execz .LBB28_29
; %bb.28:                               ;   in Loop: Header=BB28_23 Depth=2
	s_add_u32 s36, s50, s0
	s_mov_b32 s34, s0
	s_mov_b32 s35, s0
	s_addc_u32 s37, s0, s0
	s_xor_b64 s[36:37], s[36:37], s[34:35]
	v_cvt_f32_u32_e32 v3, s36
	v_cvt_f32_u32_e32 v7, s37
	s_sub_u32 s0, 0, s36
	s_subb_u32 s1, 0, s37
	v_mac_f32_e32 v3, 0x4f800000, v7
	v_rcp_f32_e32 v3, v3
	v_mul_f32_e32 v3, 0x5f7ffffc, v3
	v_mul_f32_e32 v7, 0x2f800000, v3
	v_trunc_f32_e32 v7, v7
	v_mac_f32_e32 v3, 0xcf800000, v7
	v_cvt_u32_f32_e32 v7, v7
	v_cvt_u32_f32_e32 v3, v3
	v_mul_lo_u32 v9, s0, v7
	v_mul_hi_u32 v13, s0, v3
	v_mul_lo_u32 v12, s1, v3
	v_add_u32_e32 v9, v13, v9
	v_mul_lo_u32 v14, s0, v3
	v_add_u32_e32 v9, v9, v12
	v_mul_lo_u32 v13, v3, v9
	v_mul_hi_u32 v15, v3, v14
	v_mul_hi_u32 v12, v3, v9
	v_add_co_u32_e32 v13, vcc, v15, v13
	v_addc_co_u32_e32 v12, vcc, 0, v12, vcc
	v_mul_hi_u32 v16, v7, v14
	v_mul_lo_u32 v14, v7, v14
	v_add_co_u32_e32 v13, vcc, v13, v14
	v_mul_hi_u32 v15, v7, v9
	v_addc_co_u32_e32 v12, vcc, v12, v16, vcc
	v_addc_co_u32_e32 v13, vcc, 0, v15, vcc
	v_mul_lo_u32 v9, v7, v9
	v_add_co_u32_e32 v9, vcc, v12, v9
	v_addc_co_u32_e32 v12, vcc, 0, v13, vcc
	v_add_co_u32_e32 v3, vcc, v3, v9
	v_addc_co_u32_e32 v7, vcc, v7, v12, vcc
	v_mul_lo_u32 v9, s0, v7
	v_mul_hi_u32 v12, s0, v3
	v_add_u32_e32 v9, v12, v9
	v_mul_lo_u32 v12, s1, v3
	v_add_u32_e32 v9, v9, v12
	v_mul_lo_u32 v13, s0, v3
	v_mul_hi_u32 v14, v7, v13
	v_mul_lo_u32 v15, v7, v13
	v_mul_lo_u32 v17, v3, v9
	v_mul_hi_u32 v13, v3, v13
	v_mul_hi_u32 v16, v3, v9
	v_add_co_u32_e32 v13, vcc, v13, v17
	v_addc_co_u32_e32 v16, vcc, 0, v16, vcc
	v_add_co_u32_e32 v13, vcc, v13, v15
	v_mul_hi_u32 v12, v7, v9
	v_addc_co_u32_e32 v13, vcc, v16, v14, vcc
	v_addc_co_u32_e32 v12, vcc, 0, v12, vcc
	v_mul_lo_u32 v9, v7, v9
	v_add_co_u32_e32 v9, vcc, v13, v9
	v_addc_co_u32_e32 v12, vcc, 0, v12, vcc
	v_add_co_u32_e32 v3, vcc, v3, v9
	v_addc_co_u32_e32 v7, vcc, v7, v12, vcc
	v_ashrrev_i32_e32 v9, 31, v11
	v_add_co_u32_e32 v12, vcc, v10, v9
	v_xor_b32_e32 v16, v12, v9
	v_addc_co_u32_e32 v11, vcc, v11, v9, vcc
	v_mad_u64_u32 v[12:13], s[0:1], v16, v7, 0
	v_mul_hi_u32 v14, v16, v3
	v_xor_b32_e32 v11, v11, v9
	v_add_co_u32_e32 v17, vcc, v14, v12
	v_addc_co_u32_e32 v18, vcc, 0, v13, vcc
	v_mad_u64_u32 v[14:15], s[0:1], v11, v3, 0
	v_add_co_u32_e32 v3, vcc, v17, v14
	v_mad_u64_u32 v[12:13], s[0:1], v11, v7, 0
	v_addc_co_u32_e32 v3, vcc, v18, v15, vcc
	v_addc_co_u32_e32 v7, vcc, 0, v13, vcc
	v_add_co_u32_e32 v3, vcc, v3, v12
	v_addc_co_u32_e32 v7, vcc, 0, v7, vcc
	v_mul_lo_u32 v14, s37, v3
	v_mul_lo_u32 v15, s36, v7
	v_mad_u64_u32 v[12:13], s[0:1], s36, v3, 0
	v_add3_u32 v13, v13, v15, v14
	v_sub_u32_e32 v14, v11, v13
	v_mov_b32_e32 v15, s37
	v_sub_co_u32_e32 v12, vcc, v16, v12
	v_subb_co_u32_e64 v14, s[0:1], v14, v15, vcc
	v_subrev_co_u32_e64 v15, s[0:1], s36, v12
	v_subbrev_co_u32_e64 v14, s[0:1], 0, v14, s[0:1]
	v_cmp_le_u32_e64 s[0:1], s37, v14
	v_cndmask_b32_e64 v16, 0, -1, s[0:1]
	v_cmp_le_u32_e64 s[0:1], s36, v15
	v_cndmask_b32_e64 v15, 0, -1, s[0:1]
	v_cmp_eq_u32_e64 s[0:1], s37, v14
	v_cndmask_b32_e64 v14, v16, v15, s[0:1]
	v_add_co_u32_e64 v15, s[0:1], 2, v3
	v_subb_co_u32_e32 v11, vcc, v11, v13, vcc
	v_addc_co_u32_e64 v16, s[0:1], 0, v7, s[0:1]
	v_cmp_le_u32_e32 vcc, s37, v11
	v_add_co_u32_e64 v17, s[0:1], 1, v3
	v_cndmask_b32_e64 v13, 0, -1, vcc
	v_cmp_le_u32_e32 vcc, s36, v12
	v_addc_co_u32_e64 v18, s[0:1], 0, v7, s[0:1]
	v_cndmask_b32_e64 v12, 0, -1, vcc
	v_cmp_eq_u32_e32 vcc, s37, v11
	v_cmp_ne_u32_e64 s[0:1], 0, v14
	v_cndmask_b32_e32 v11, v13, v12, vcc
	v_cmp_ne_u32_e32 vcc, 0, v11
	v_cndmask_b32_e64 v11, v17, v15, s[0:1]
	v_cndmask_b32_e64 v14, v18, v16, s[0:1]
	v_cndmask_b32_e32 v3, v3, v11, vcc
	v_xor_b32_e32 v11, s35, v9
	v_xor_b32_e32 v9, s34, v9
	v_cndmask_b32_e32 v7, v7, v14, vcc
	v_xor_b32_e32 v3, v3, v9
	v_xor_b32_e32 v7, v7, v11
	v_sub_co_u32_e32 v12, vcc, v3, v9
	v_subb_co_u32_e32 v13, vcc, v7, v11, vcc
.LBB28_29:                              ;   in Loop: Header=BB28_23 Depth=2
	s_andn2_saveexec_b64 s[0:1], s[30:31]
	s_cbranch_execz .LBB28_31
; %bb.30:                               ;   in Loop: Header=BB28_23 Depth=2
	v_cvt_f32_u32_e32 v3, s50
	s_sub_i32 s16, 0, s50
	v_mov_b32_e32 v13, v2
	v_rcp_iflag_f32_e32 v3, v3
	v_mul_f32_e32 v3, 0x4f7ffffe, v3
	v_cvt_u32_f32_e32 v3, v3
	v_mul_lo_u32 v7, s16, v3
	v_mul_hi_u32 v7, v3, v7
	v_add_u32_e32 v3, v3, v7
	v_mul_hi_u32 v3, v10, v3
	v_mul_lo_u32 v7, v3, s50
	v_sub_u32_e32 v7, v10, v7
	v_add_u32_e32 v9, 1, v3
	v_subrev_u32_e32 v11, s50, v7
	v_cmp_le_u32_e32 vcc, s50, v7
	v_cndmask_b32_e32 v7, v7, v11, vcc
	v_cndmask_b32_e32 v3, v3, v9, vcc
	v_add_u32_e32 v9, 1, v3
	v_cmp_le_u32_e32 vcc, s50, v7
	v_cndmask_b32_e32 v12, v3, v9, vcc
.LBB28_31:                              ;   in Loop: Header=BB28_23 Depth=2
	s_or_b64 exec, exec, s[0:1]
	s_add_u32 s0, s43, s28
	s_addc_u32 s1, s44, s29
	s_add_i32 s16, s26, 5
	s_lshl_b64 s[28:29], s[16:17], 2
	s_add_u32 s30, s39, s28
	s_addc_u32 s31, s40, s29
	s_load_dword s52, s[30:31], 0x0
	s_load_dword s53, s[0:1], 0x0
                                        ; implicit-def: $vgpr14_vgpr15
	s_waitcnt lgkmcnt(0)
	s_ashr_i32 s0, s52, 31
	v_or_b32_e32 v3, s0, v13
	v_cmp_ne_u64_e32 vcc, 0, v[2:3]
	s_and_saveexec_b64 s[30:31], vcc
	s_xor_b64 s[30:31], exec, s[30:31]
	s_cbranch_execz .LBB28_33
; %bb.32:                               ;   in Loop: Header=BB28_23 Depth=2
	s_add_u32 s36, s52, s0
	s_mov_b32 s34, s0
	s_mov_b32 s35, s0
	s_addc_u32 s37, s0, s0
	s_xor_b64 s[36:37], s[36:37], s[34:35]
	v_cvt_f32_u32_e32 v3, s36
	v_cvt_f32_u32_e32 v7, s37
	s_sub_u32 s0, 0, s36
	s_subb_u32 s1, 0, s37
	v_mac_f32_e32 v3, 0x4f800000, v7
	v_rcp_f32_e32 v3, v3
	v_mul_f32_e32 v3, 0x5f7ffffc, v3
	v_mul_f32_e32 v7, 0x2f800000, v3
	v_trunc_f32_e32 v7, v7
	v_mac_f32_e32 v3, 0xcf800000, v7
	v_cvt_u32_f32_e32 v7, v7
	v_cvt_u32_f32_e32 v3, v3
	v_mul_lo_u32 v9, s0, v7
	v_mul_hi_u32 v14, s0, v3
	v_mul_lo_u32 v11, s1, v3
	v_add_u32_e32 v9, v14, v9
	v_mul_lo_u32 v15, s0, v3
	v_add_u32_e32 v9, v9, v11
	v_mul_lo_u32 v14, v3, v9
	v_mul_hi_u32 v16, v3, v15
	v_mul_hi_u32 v11, v3, v9
	v_add_co_u32_e32 v14, vcc, v16, v14
	v_addc_co_u32_e32 v11, vcc, 0, v11, vcc
	v_mul_hi_u32 v17, v7, v15
	v_mul_lo_u32 v15, v7, v15
	v_add_co_u32_e32 v14, vcc, v14, v15
	v_mul_hi_u32 v16, v7, v9
	v_addc_co_u32_e32 v11, vcc, v11, v17, vcc
	v_addc_co_u32_e32 v14, vcc, 0, v16, vcc
	v_mul_lo_u32 v9, v7, v9
	v_add_co_u32_e32 v9, vcc, v11, v9
	v_addc_co_u32_e32 v11, vcc, 0, v14, vcc
	v_add_co_u32_e32 v3, vcc, v3, v9
	v_addc_co_u32_e32 v7, vcc, v7, v11, vcc
	v_mul_lo_u32 v9, s0, v7
	v_mul_hi_u32 v11, s0, v3
	v_add_u32_e32 v9, v11, v9
	v_mul_lo_u32 v11, s1, v3
	v_add_u32_e32 v9, v9, v11
	v_mul_lo_u32 v14, s0, v3
	v_mul_hi_u32 v15, v7, v14
	v_mul_lo_u32 v16, v7, v14
	v_mul_lo_u32 v18, v3, v9
	v_mul_hi_u32 v14, v3, v14
	v_mul_hi_u32 v17, v3, v9
	v_add_co_u32_e32 v14, vcc, v14, v18
	v_addc_co_u32_e32 v17, vcc, 0, v17, vcc
	v_add_co_u32_e32 v14, vcc, v14, v16
	v_mul_hi_u32 v11, v7, v9
	v_addc_co_u32_e32 v14, vcc, v17, v15, vcc
	v_addc_co_u32_e32 v11, vcc, 0, v11, vcc
	v_mul_lo_u32 v9, v7, v9
	v_add_co_u32_e32 v9, vcc, v14, v9
	v_addc_co_u32_e32 v11, vcc, 0, v11, vcc
	v_add_co_u32_e32 v3, vcc, v3, v9
	v_addc_co_u32_e32 v7, vcc, v7, v11, vcc
	v_ashrrev_i32_e32 v9, 31, v13
	v_add_co_u32_e32 v11, vcc, v12, v9
	v_xor_b32_e32 v11, v11, v9
	v_addc_co_u32_e32 v13, vcc, v13, v9, vcc
	v_mad_u64_u32 v[14:15], s[0:1], v11, v7, 0
	v_mul_hi_u32 v16, v11, v3
	v_xor_b32_e32 v13, v13, v9
	v_add_co_u32_e32 v18, vcc, v16, v14
	v_addc_co_u32_e32 v19, vcc, 0, v15, vcc
	v_mad_u64_u32 v[16:17], s[0:1], v13, v3, 0
	v_add_co_u32_e32 v3, vcc, v18, v16
	v_mad_u64_u32 v[14:15], s[0:1], v13, v7, 0
	v_addc_co_u32_e32 v3, vcc, v19, v17, vcc
	v_addc_co_u32_e32 v7, vcc, 0, v15, vcc
	v_add_co_u32_e32 v3, vcc, v3, v14
	v_addc_co_u32_e32 v7, vcc, 0, v7, vcc
	v_mul_lo_u32 v16, s37, v3
	v_mul_lo_u32 v17, s36, v7
	v_mad_u64_u32 v[14:15], s[0:1], s36, v3, 0
	v_add3_u32 v15, v15, v17, v16
	v_sub_u32_e32 v16, v13, v15
	v_mov_b32_e32 v17, s37
	v_sub_co_u32_e32 v11, vcc, v11, v14
	v_subb_co_u32_e64 v14, s[0:1], v16, v17, vcc
	v_subrev_co_u32_e64 v16, s[0:1], s36, v11
	v_subbrev_co_u32_e64 v14, s[0:1], 0, v14, s[0:1]
	v_cmp_le_u32_e64 s[0:1], s37, v14
	v_cndmask_b32_e64 v17, 0, -1, s[0:1]
	v_cmp_le_u32_e64 s[0:1], s36, v16
	v_cndmask_b32_e64 v16, 0, -1, s[0:1]
	v_cmp_eq_u32_e64 s[0:1], s37, v14
	v_cndmask_b32_e64 v14, v17, v16, s[0:1]
	v_add_co_u32_e64 v16, s[0:1], 2, v3
	v_subb_co_u32_e32 v13, vcc, v13, v15, vcc
	v_addc_co_u32_e64 v17, s[0:1], 0, v7, s[0:1]
	v_cmp_le_u32_e32 vcc, s37, v13
	v_add_co_u32_e64 v18, s[0:1], 1, v3
	v_cndmask_b32_e64 v15, 0, -1, vcc
	v_cmp_le_u32_e32 vcc, s36, v11
	v_addc_co_u32_e64 v19, s[0:1], 0, v7, s[0:1]
	v_cndmask_b32_e64 v11, 0, -1, vcc
	v_cmp_eq_u32_e32 vcc, s37, v13
	v_cmp_ne_u32_e64 s[0:1], 0, v14
	v_cndmask_b32_e32 v11, v15, v11, vcc
	v_cmp_ne_u32_e32 vcc, 0, v11
	v_cndmask_b32_e64 v11, v18, v16, s[0:1]
	v_cndmask_b32_e64 v14, v19, v17, s[0:1]
	v_cndmask_b32_e32 v3, v3, v11, vcc
	v_xor_b32_e32 v11, s35, v9
	v_xor_b32_e32 v9, s34, v9
	v_cndmask_b32_e32 v7, v7, v14, vcc
	v_xor_b32_e32 v3, v3, v9
	v_xor_b32_e32 v7, v7, v11
	v_sub_co_u32_e32 v14, vcc, v3, v9
	v_subb_co_u32_e32 v15, vcc, v7, v11, vcc
.LBB28_33:                              ;   in Loop: Header=BB28_23 Depth=2
	s_andn2_saveexec_b64 s[0:1], s[30:31]
	s_cbranch_execz .LBB28_35
; %bb.34:                               ;   in Loop: Header=BB28_23 Depth=2
	v_cvt_f32_u32_e32 v3, s52
	s_sub_i32 s16, 0, s52
	v_mov_b32_e32 v15, v2
	v_rcp_iflag_f32_e32 v3, v3
	v_mul_f32_e32 v3, 0x4f7ffffe, v3
	v_cvt_u32_f32_e32 v3, v3
	v_mul_lo_u32 v7, s16, v3
	v_mul_hi_u32 v7, v3, v7
	v_add_u32_e32 v3, v3, v7
	v_mul_hi_u32 v3, v12, v3
	v_mul_lo_u32 v7, v3, s52
	v_sub_u32_e32 v7, v12, v7
	v_add_u32_e32 v9, 1, v3
	v_subrev_u32_e32 v11, s52, v7
	v_cmp_le_u32_e32 vcc, s52, v7
	v_cndmask_b32_e32 v7, v7, v11, vcc
	v_cndmask_b32_e32 v3, v3, v9, vcc
	v_add_u32_e32 v9, 1, v3
	v_cmp_le_u32_e32 vcc, s52, v7
	v_cndmask_b32_e32 v14, v3, v9, vcc
.LBB28_35:                              ;   in Loop: Header=BB28_23 Depth=2
	s_or_b64 exec, exec, s[0:1]
	s_add_u32 s0, s43, s28
	s_addc_u32 s1, s44, s29
	s_add_i32 s16, s26, 4
	s_lshl_b64 s[28:29], s[16:17], 2
	s_add_u32 s30, s39, s28
	s_addc_u32 s31, s40, s29
	s_load_dword s54, s[30:31], 0x0
	s_load_dword s55, s[0:1], 0x0
                                        ; implicit-def: $vgpr16_vgpr17
	s_waitcnt lgkmcnt(0)
	s_ashr_i32 s0, s54, 31
	v_or_b32_e32 v3, s0, v15
	v_cmp_ne_u64_e32 vcc, 0, v[2:3]
	s_and_saveexec_b64 s[30:31], vcc
	s_xor_b64 s[30:31], exec, s[30:31]
	s_cbranch_execz .LBB28_37
; %bb.36:                               ;   in Loop: Header=BB28_23 Depth=2
	s_add_u32 s36, s54, s0
	s_mov_b32 s34, s0
	s_mov_b32 s35, s0
	s_addc_u32 s37, s0, s0
	s_xor_b64 s[36:37], s[36:37], s[34:35]
	v_cvt_f32_u32_e32 v3, s36
	v_cvt_f32_u32_e32 v7, s37
	s_sub_u32 s0, 0, s36
	s_subb_u32 s1, 0, s37
	v_mac_f32_e32 v3, 0x4f800000, v7
	v_rcp_f32_e32 v3, v3
	v_mul_f32_e32 v3, 0x5f7ffffc, v3
	v_mul_f32_e32 v7, 0x2f800000, v3
	v_trunc_f32_e32 v7, v7
	v_mac_f32_e32 v3, 0xcf800000, v7
	v_cvt_u32_f32_e32 v7, v7
	v_cvt_u32_f32_e32 v3, v3
	v_mul_lo_u32 v9, s0, v7
	v_mul_hi_u32 v13, s0, v3
	v_mul_lo_u32 v11, s1, v3
	v_add_u32_e32 v9, v13, v9
	v_mul_lo_u32 v16, s0, v3
	v_add_u32_e32 v9, v9, v11
	v_mul_lo_u32 v13, v3, v9
	v_mul_hi_u32 v17, v3, v16
	v_mul_hi_u32 v11, v3, v9
	v_add_co_u32_e32 v13, vcc, v17, v13
	v_addc_co_u32_e32 v11, vcc, 0, v11, vcc
	v_mul_hi_u32 v18, v7, v16
	v_mul_lo_u32 v16, v7, v16
	v_add_co_u32_e32 v13, vcc, v13, v16
	v_mul_hi_u32 v17, v7, v9
	v_addc_co_u32_e32 v11, vcc, v11, v18, vcc
	v_addc_co_u32_e32 v13, vcc, 0, v17, vcc
	v_mul_lo_u32 v9, v7, v9
	v_add_co_u32_e32 v9, vcc, v11, v9
	v_addc_co_u32_e32 v11, vcc, 0, v13, vcc
	v_add_co_u32_e32 v3, vcc, v3, v9
	v_addc_co_u32_e32 v7, vcc, v7, v11, vcc
	v_mul_lo_u32 v9, s0, v7
	v_mul_hi_u32 v11, s0, v3
	v_add_u32_e32 v9, v11, v9
	v_mul_lo_u32 v11, s1, v3
	v_add_u32_e32 v9, v9, v11
	v_mul_lo_u32 v13, s0, v3
	v_mul_hi_u32 v16, v7, v13
	v_mul_lo_u32 v17, v7, v13
	v_mul_lo_u32 v19, v3, v9
	v_mul_hi_u32 v13, v3, v13
	v_mul_hi_u32 v18, v3, v9
	v_add_co_u32_e32 v13, vcc, v13, v19
	v_addc_co_u32_e32 v18, vcc, 0, v18, vcc
	v_add_co_u32_e32 v13, vcc, v13, v17
	v_mul_hi_u32 v11, v7, v9
	v_addc_co_u32_e32 v13, vcc, v18, v16, vcc
	v_addc_co_u32_e32 v11, vcc, 0, v11, vcc
	v_mul_lo_u32 v9, v7, v9
	v_add_co_u32_e32 v9, vcc, v13, v9
	v_addc_co_u32_e32 v11, vcc, 0, v11, vcc
	v_add_co_u32_e32 v3, vcc, v3, v9
	v_addc_co_u32_e32 v7, vcc, v7, v11, vcc
	v_ashrrev_i32_e32 v9, 31, v15
	v_add_co_u32_e32 v11, vcc, v14, v9
	v_xor_b32_e32 v11, v11, v9
	v_addc_co_u32_e32 v13, vcc, v15, v9, vcc
	v_mad_u64_u32 v[16:17], s[0:1], v11, v7, 0
	v_mul_hi_u32 v15, v11, v3
	v_xor_b32_e32 v13, v13, v9
	v_add_co_u32_e32 v15, vcc, v15, v16
	v_addc_co_u32_e32 v20, vcc, 0, v17, vcc
	v_mad_u64_u32 v[18:19], s[0:1], v13, v3, 0
	v_add_co_u32_e32 v3, vcc, v15, v18
	v_mad_u64_u32 v[16:17], s[0:1], v13, v7, 0
	v_addc_co_u32_e32 v3, vcc, v20, v19, vcc
	v_addc_co_u32_e32 v7, vcc, 0, v17, vcc
	v_add_co_u32_e32 v3, vcc, v3, v16
	v_addc_co_u32_e32 v7, vcc, 0, v7, vcc
	v_mul_lo_u32 v15, s37, v3
	v_mul_lo_u32 v18, s36, v7
	v_mad_u64_u32 v[16:17], s[0:1], s36, v3, 0
	v_add3_u32 v15, v17, v18, v15
	v_sub_u32_e32 v17, v13, v15
	v_mov_b32_e32 v18, s37
	v_sub_co_u32_e32 v11, vcc, v11, v16
	v_subb_co_u32_e64 v16, s[0:1], v17, v18, vcc
	v_subrev_co_u32_e64 v17, s[0:1], s36, v11
	v_subbrev_co_u32_e64 v16, s[0:1], 0, v16, s[0:1]
	v_cmp_le_u32_e64 s[0:1], s37, v16
	v_cndmask_b32_e64 v18, 0, -1, s[0:1]
	v_cmp_le_u32_e64 s[0:1], s36, v17
	v_cndmask_b32_e64 v17, 0, -1, s[0:1]
	v_cmp_eq_u32_e64 s[0:1], s37, v16
	v_cndmask_b32_e64 v16, v18, v17, s[0:1]
	v_add_co_u32_e64 v17, s[0:1], 2, v3
	v_subb_co_u32_e32 v13, vcc, v13, v15, vcc
	v_addc_co_u32_e64 v18, s[0:1], 0, v7, s[0:1]
	v_cmp_le_u32_e32 vcc, s37, v13
	v_add_co_u32_e64 v19, s[0:1], 1, v3
	v_cndmask_b32_e64 v15, 0, -1, vcc
	v_cmp_le_u32_e32 vcc, s36, v11
	v_addc_co_u32_e64 v20, s[0:1], 0, v7, s[0:1]
	v_cndmask_b32_e64 v11, 0, -1, vcc
	v_cmp_eq_u32_e32 vcc, s37, v13
	v_cmp_ne_u32_e64 s[0:1], 0, v16
	v_cndmask_b32_e32 v11, v15, v11, vcc
	v_cmp_ne_u32_e32 vcc, 0, v11
	v_cndmask_b32_e64 v11, v19, v17, s[0:1]
	v_cndmask_b32_e64 v16, v20, v18, s[0:1]
	v_cndmask_b32_e32 v3, v3, v11, vcc
	v_xor_b32_e32 v11, s35, v9
	v_xor_b32_e32 v9, s34, v9
	v_cndmask_b32_e32 v7, v7, v16, vcc
	v_xor_b32_e32 v3, v3, v9
	v_xor_b32_e32 v7, v7, v11
	v_sub_co_u32_e32 v16, vcc, v3, v9
	v_subb_co_u32_e32 v17, vcc, v7, v11, vcc
.LBB28_37:                              ;   in Loop: Header=BB28_23 Depth=2
	s_andn2_saveexec_b64 s[0:1], s[30:31]
	s_cbranch_execz .LBB28_39
; %bb.38:                               ;   in Loop: Header=BB28_23 Depth=2
	v_cvt_f32_u32_e32 v3, s54
	s_sub_i32 s16, 0, s54
	v_mov_b32_e32 v17, v2
	v_rcp_iflag_f32_e32 v3, v3
	v_mul_f32_e32 v3, 0x4f7ffffe, v3
	v_cvt_u32_f32_e32 v3, v3
	v_mul_lo_u32 v7, s16, v3
	v_mul_hi_u32 v7, v3, v7
	v_add_u32_e32 v3, v3, v7
	v_mul_hi_u32 v3, v14, v3
	v_mul_lo_u32 v7, v3, s54
	v_sub_u32_e32 v7, v14, v7
	v_add_u32_e32 v9, 1, v3
	v_subrev_u32_e32 v11, s54, v7
	v_cmp_le_u32_e32 vcc, s54, v7
	v_cndmask_b32_e32 v7, v7, v11, vcc
	v_cndmask_b32_e32 v3, v3, v9, vcc
	v_add_u32_e32 v9, 1, v3
	v_cmp_le_u32_e32 vcc, s54, v7
	v_cndmask_b32_e32 v16, v3, v9, vcc
.LBB28_39:                              ;   in Loop: Header=BB28_23 Depth=2
	s_or_b64 exec, exec, s[0:1]
	s_add_u32 s0, s43, s28
	s_addc_u32 s1, s44, s29
	s_add_i32 s16, s26, 3
	s_lshl_b64 s[28:29], s[16:17], 2
	s_add_u32 s30, s39, s28
	s_addc_u32 s31, s40, s29
	s_load_dword s56, s[30:31], 0x0
	s_load_dword s57, s[0:1], 0x0
                                        ; implicit-def: $vgpr18_vgpr19
	s_waitcnt lgkmcnt(0)
	s_ashr_i32 s0, s56, 31
	v_or_b32_e32 v3, s0, v17
	v_cmp_ne_u64_e32 vcc, 0, v[2:3]
	s_and_saveexec_b64 s[30:31], vcc
	s_xor_b64 s[30:31], exec, s[30:31]
	s_cbranch_execz .LBB28_41
; %bb.40:                               ;   in Loop: Header=BB28_23 Depth=2
	s_add_u32 s36, s56, s0
	s_mov_b32 s34, s0
	s_mov_b32 s35, s0
	s_addc_u32 s37, s0, s0
	s_xor_b64 s[36:37], s[36:37], s[34:35]
	v_cvt_f32_u32_e32 v3, s36
	v_cvt_f32_u32_e32 v7, s37
	s_sub_u32 s0, 0, s36
	s_subb_u32 s1, 0, s37
	v_mac_f32_e32 v3, 0x4f800000, v7
	v_rcp_f32_e32 v3, v3
	v_mul_f32_e32 v3, 0x5f7ffffc, v3
	v_mul_f32_e32 v7, 0x2f800000, v3
	v_trunc_f32_e32 v7, v7
	v_mac_f32_e32 v3, 0xcf800000, v7
	v_cvt_u32_f32_e32 v7, v7
	v_cvt_u32_f32_e32 v3, v3
	v_mul_lo_u32 v9, s0, v7
	v_mul_hi_u32 v13, s0, v3
	v_mul_lo_u32 v11, s1, v3
	v_add_u32_e32 v9, v13, v9
	v_mul_lo_u32 v15, s0, v3
	v_add_u32_e32 v9, v9, v11
	v_mul_lo_u32 v13, v3, v9
	v_mul_hi_u32 v18, v3, v15
	v_mul_hi_u32 v11, v3, v9
	v_add_co_u32_e32 v13, vcc, v18, v13
	v_addc_co_u32_e32 v11, vcc, 0, v11, vcc
	v_mul_hi_u32 v19, v7, v15
	v_mul_lo_u32 v15, v7, v15
	v_add_co_u32_e32 v13, vcc, v13, v15
	v_mul_hi_u32 v18, v7, v9
	v_addc_co_u32_e32 v11, vcc, v11, v19, vcc
	v_addc_co_u32_e32 v13, vcc, 0, v18, vcc
	v_mul_lo_u32 v9, v7, v9
	v_add_co_u32_e32 v9, vcc, v11, v9
	v_addc_co_u32_e32 v11, vcc, 0, v13, vcc
	v_add_co_u32_e32 v3, vcc, v3, v9
	v_addc_co_u32_e32 v7, vcc, v7, v11, vcc
	v_mul_lo_u32 v9, s0, v7
	v_mul_hi_u32 v11, s0, v3
	v_add_u32_e32 v9, v11, v9
	v_mul_lo_u32 v11, s1, v3
	v_add_u32_e32 v9, v9, v11
	v_mul_lo_u32 v13, s0, v3
	v_mul_hi_u32 v15, v7, v13
	v_mul_lo_u32 v18, v7, v13
	v_mul_lo_u32 v20, v3, v9
	v_mul_hi_u32 v13, v3, v13
	v_mul_hi_u32 v19, v3, v9
	v_add_co_u32_e32 v13, vcc, v13, v20
	v_addc_co_u32_e32 v19, vcc, 0, v19, vcc
	v_add_co_u32_e32 v13, vcc, v13, v18
	v_mul_hi_u32 v11, v7, v9
	v_addc_co_u32_e32 v13, vcc, v19, v15, vcc
	v_addc_co_u32_e32 v11, vcc, 0, v11, vcc
	v_mul_lo_u32 v9, v7, v9
	v_add_co_u32_e32 v9, vcc, v13, v9
	v_addc_co_u32_e32 v11, vcc, 0, v11, vcc
	v_add_co_u32_e32 v3, vcc, v3, v9
	v_addc_co_u32_e32 v7, vcc, v7, v11, vcc
	v_ashrrev_i32_e32 v9, 31, v17
	v_add_co_u32_e32 v11, vcc, v16, v9
	v_xor_b32_e32 v11, v11, v9
	v_addc_co_u32_e32 v13, vcc, v17, v9, vcc
	v_mad_u64_u32 v[18:19], s[0:1], v11, v7, 0
	v_mul_hi_u32 v15, v11, v3
	v_xor_b32_e32 v13, v13, v9
	v_add_co_u32_e32 v15, vcc, v15, v18
	v_addc_co_u32_e32 v17, vcc, 0, v19, vcc
	v_mad_u64_u32 v[20:21], s[0:1], v13, v3, 0
	v_add_co_u32_e32 v3, vcc, v15, v20
	v_mad_u64_u32 v[18:19], s[0:1], v13, v7, 0
	v_addc_co_u32_e32 v3, vcc, v17, v21, vcc
	v_addc_co_u32_e32 v7, vcc, 0, v19, vcc
	v_add_co_u32_e32 v3, vcc, v3, v18
	v_addc_co_u32_e32 v7, vcc, 0, v7, vcc
	v_mul_lo_u32 v15, s37, v3
	v_mul_lo_u32 v17, s36, v7
	v_mad_u64_u32 v[18:19], s[0:1], s36, v3, 0
	v_add3_u32 v15, v19, v17, v15
	v_sub_u32_e32 v17, v13, v15
	v_mov_b32_e32 v19, s37
	v_sub_co_u32_e32 v11, vcc, v11, v18
	v_subb_co_u32_e64 v17, s[0:1], v17, v19, vcc
	v_subrev_co_u32_e64 v18, s[0:1], s36, v11
	v_subbrev_co_u32_e64 v17, s[0:1], 0, v17, s[0:1]
	v_cmp_le_u32_e64 s[0:1], s37, v17
	v_cndmask_b32_e64 v19, 0, -1, s[0:1]
	v_cmp_le_u32_e64 s[0:1], s36, v18
	v_cndmask_b32_e64 v18, 0, -1, s[0:1]
	v_cmp_eq_u32_e64 s[0:1], s37, v17
	v_cndmask_b32_e64 v17, v19, v18, s[0:1]
	v_add_co_u32_e64 v18, s[0:1], 2, v3
	v_subb_co_u32_e32 v13, vcc, v13, v15, vcc
	v_addc_co_u32_e64 v19, s[0:1], 0, v7, s[0:1]
	v_cmp_le_u32_e32 vcc, s37, v13
	v_add_co_u32_e64 v20, s[0:1], 1, v3
	v_cndmask_b32_e64 v15, 0, -1, vcc
	v_cmp_le_u32_e32 vcc, s36, v11
	v_addc_co_u32_e64 v21, s[0:1], 0, v7, s[0:1]
	v_cndmask_b32_e64 v11, 0, -1, vcc
	v_cmp_eq_u32_e32 vcc, s37, v13
	v_cmp_ne_u32_e64 s[0:1], 0, v17
	v_cndmask_b32_e32 v11, v15, v11, vcc
	v_cmp_ne_u32_e32 vcc, 0, v11
	v_cndmask_b32_e64 v11, v20, v18, s[0:1]
	v_cndmask_b32_e64 v17, v21, v19, s[0:1]
	v_cndmask_b32_e32 v3, v3, v11, vcc
	v_xor_b32_e32 v11, s35, v9
	v_xor_b32_e32 v9, s34, v9
	v_cndmask_b32_e32 v7, v7, v17, vcc
	v_xor_b32_e32 v3, v3, v9
	v_xor_b32_e32 v7, v7, v11
	v_sub_co_u32_e32 v18, vcc, v3, v9
	v_subb_co_u32_e32 v19, vcc, v7, v11, vcc
.LBB28_41:                              ;   in Loop: Header=BB28_23 Depth=2
	s_andn2_saveexec_b64 s[0:1], s[30:31]
	s_cbranch_execz .LBB28_43
; %bb.42:                               ;   in Loop: Header=BB28_23 Depth=2
	v_cvt_f32_u32_e32 v3, s56
	s_sub_i32 s16, 0, s56
	v_mov_b32_e32 v19, v2
	v_rcp_iflag_f32_e32 v3, v3
	v_mul_f32_e32 v3, 0x4f7ffffe, v3
	v_cvt_u32_f32_e32 v3, v3
	v_mul_lo_u32 v7, s16, v3
	v_mul_hi_u32 v7, v3, v7
	v_add_u32_e32 v3, v3, v7
	v_mul_hi_u32 v3, v16, v3
	v_mul_lo_u32 v7, v3, s56
	v_sub_u32_e32 v7, v16, v7
	v_add_u32_e32 v9, 1, v3
	v_subrev_u32_e32 v11, s56, v7
	v_cmp_le_u32_e32 vcc, s56, v7
	v_cndmask_b32_e32 v7, v7, v11, vcc
	v_cndmask_b32_e32 v3, v3, v9, vcc
	v_add_u32_e32 v9, 1, v3
	v_cmp_le_u32_e32 vcc, s56, v7
	v_cndmask_b32_e32 v18, v3, v9, vcc
.LBB28_43:                              ;   in Loop: Header=BB28_23 Depth=2
	s_or_b64 exec, exec, s[0:1]
	s_add_u32 s0, s43, s28
	s_addc_u32 s1, s44, s29
	s_add_i32 s16, s26, 2
	s_lshl_b64 s[28:29], s[16:17], 2
	s_add_u32 s30, s39, s28
	s_addc_u32 s31, s40, s29
	s_load_dword s58, s[30:31], 0x0
	s_load_dword s59, s[0:1], 0x0
                                        ; implicit-def: $vgpr20_vgpr21
	s_waitcnt lgkmcnt(0)
	s_ashr_i32 s0, s58, 31
	v_or_b32_e32 v3, s0, v19
	v_cmp_ne_u64_e32 vcc, 0, v[2:3]
	s_and_saveexec_b64 s[30:31], vcc
	s_xor_b64 s[30:31], exec, s[30:31]
	s_cbranch_execz .LBB28_45
; %bb.44:                               ;   in Loop: Header=BB28_23 Depth=2
	s_add_u32 s36, s58, s0
	s_mov_b32 s34, s0
	s_mov_b32 s35, s0
	s_addc_u32 s37, s0, s0
	s_xor_b64 s[36:37], s[36:37], s[34:35]
	v_cvt_f32_u32_e32 v3, s36
	v_cvt_f32_u32_e32 v7, s37
	s_sub_u32 s0, 0, s36
	s_subb_u32 s1, 0, s37
	v_mac_f32_e32 v3, 0x4f800000, v7
	v_rcp_f32_e32 v3, v3
	v_mul_f32_e32 v3, 0x5f7ffffc, v3
	v_mul_f32_e32 v7, 0x2f800000, v3
	v_trunc_f32_e32 v7, v7
	v_mac_f32_e32 v3, 0xcf800000, v7
	v_cvt_u32_f32_e32 v7, v7
	v_cvt_u32_f32_e32 v3, v3
	v_mul_lo_u32 v9, s0, v7
	v_mul_hi_u32 v13, s0, v3
	v_mul_lo_u32 v11, s1, v3
	v_add_u32_e32 v9, v13, v9
	v_mul_lo_u32 v15, s0, v3
	v_add_u32_e32 v9, v9, v11
	v_mul_lo_u32 v13, v3, v9
	v_mul_hi_u32 v17, v3, v15
	v_mul_hi_u32 v11, v3, v9
	v_add_co_u32_e32 v13, vcc, v17, v13
	v_addc_co_u32_e32 v11, vcc, 0, v11, vcc
	v_mul_hi_u32 v20, v7, v15
	v_mul_lo_u32 v15, v7, v15
	v_add_co_u32_e32 v13, vcc, v13, v15
	v_mul_hi_u32 v17, v7, v9
	v_addc_co_u32_e32 v11, vcc, v11, v20, vcc
	v_addc_co_u32_e32 v13, vcc, 0, v17, vcc
	v_mul_lo_u32 v9, v7, v9
	v_add_co_u32_e32 v9, vcc, v11, v9
	v_addc_co_u32_e32 v11, vcc, 0, v13, vcc
	v_add_co_u32_e32 v3, vcc, v3, v9
	v_addc_co_u32_e32 v7, vcc, v7, v11, vcc
	v_mul_lo_u32 v9, s0, v7
	v_mul_hi_u32 v11, s0, v3
	v_add_u32_e32 v9, v11, v9
	v_mul_lo_u32 v11, s1, v3
	v_add_u32_e32 v9, v9, v11
	v_mul_lo_u32 v13, s0, v3
	v_mul_hi_u32 v15, v7, v13
	v_mul_lo_u32 v17, v7, v13
	v_mul_lo_u32 v21, v3, v9
	v_mul_hi_u32 v13, v3, v13
	v_mul_hi_u32 v20, v3, v9
	v_add_co_u32_e32 v13, vcc, v13, v21
	v_addc_co_u32_e32 v20, vcc, 0, v20, vcc
	v_add_co_u32_e32 v13, vcc, v13, v17
	v_mul_hi_u32 v11, v7, v9
	v_addc_co_u32_e32 v13, vcc, v20, v15, vcc
	v_addc_co_u32_e32 v11, vcc, 0, v11, vcc
	v_mul_lo_u32 v9, v7, v9
	v_add_co_u32_e32 v9, vcc, v13, v9
	v_addc_co_u32_e32 v11, vcc, 0, v11, vcc
	v_add_co_u32_e32 v3, vcc, v3, v9
	v_addc_co_u32_e32 v7, vcc, v7, v11, vcc
	v_ashrrev_i32_e32 v9, 31, v19
	v_add_co_u32_e32 v11, vcc, v18, v9
	v_xor_b32_e32 v11, v11, v9
	v_addc_co_u32_e32 v13, vcc, v19, v9, vcc
	v_mad_u64_u32 v[20:21], s[0:1], v11, v7, 0
	v_mul_hi_u32 v15, v11, v3
	v_xor_b32_e32 v13, v13, v9
	v_add_co_u32_e32 v15, vcc, v15, v20
	v_addc_co_u32_e32 v17, vcc, 0, v21, vcc
	v_mad_u64_u32 v[22:23], s[0:1], v13, v3, 0
	v_add_co_u32_e32 v3, vcc, v15, v22
	v_mad_u64_u32 v[20:21], s[0:1], v13, v7, 0
	v_addc_co_u32_e32 v3, vcc, v17, v23, vcc
	v_addc_co_u32_e32 v7, vcc, 0, v21, vcc
	v_add_co_u32_e32 v3, vcc, v3, v20
	v_addc_co_u32_e32 v7, vcc, 0, v7, vcc
	v_mul_lo_u32 v15, s37, v3
	v_mul_lo_u32 v17, s36, v7
	v_mad_u64_u32 v[20:21], s[0:1], s36, v3, 0
	v_add3_u32 v15, v21, v17, v15
	v_sub_u32_e32 v17, v13, v15
	v_mov_b32_e32 v19, s37
	v_sub_co_u32_e32 v11, vcc, v11, v20
	v_subb_co_u32_e64 v17, s[0:1], v17, v19, vcc
	v_subrev_co_u32_e64 v19, s[0:1], s36, v11
	v_subbrev_co_u32_e64 v17, s[0:1], 0, v17, s[0:1]
	v_cmp_le_u32_e64 s[0:1], s37, v17
	v_cndmask_b32_e64 v20, 0, -1, s[0:1]
	v_cmp_le_u32_e64 s[0:1], s36, v19
	v_cndmask_b32_e64 v19, 0, -1, s[0:1]
	v_cmp_eq_u32_e64 s[0:1], s37, v17
	v_cndmask_b32_e64 v17, v20, v19, s[0:1]
	v_add_co_u32_e64 v19, s[0:1], 2, v3
	v_subb_co_u32_e32 v13, vcc, v13, v15, vcc
	v_addc_co_u32_e64 v20, s[0:1], 0, v7, s[0:1]
	v_cmp_le_u32_e32 vcc, s37, v13
	v_add_co_u32_e64 v21, s[0:1], 1, v3
	v_cndmask_b32_e64 v15, 0, -1, vcc
	v_cmp_le_u32_e32 vcc, s36, v11
	v_addc_co_u32_e64 v22, s[0:1], 0, v7, s[0:1]
	v_cndmask_b32_e64 v11, 0, -1, vcc
	v_cmp_eq_u32_e32 vcc, s37, v13
	v_cmp_ne_u32_e64 s[0:1], 0, v17
	v_cndmask_b32_e32 v11, v15, v11, vcc
	v_cmp_ne_u32_e32 vcc, 0, v11
	v_cndmask_b32_e64 v11, v21, v19, s[0:1]
	v_cndmask_b32_e64 v17, v22, v20, s[0:1]
	v_cndmask_b32_e32 v3, v3, v11, vcc
	v_xor_b32_e32 v11, s35, v9
	v_xor_b32_e32 v9, s34, v9
	v_cndmask_b32_e32 v7, v7, v17, vcc
	v_xor_b32_e32 v3, v3, v9
	v_xor_b32_e32 v7, v7, v11
	v_sub_co_u32_e32 v20, vcc, v3, v9
	v_subb_co_u32_e32 v21, vcc, v7, v11, vcc
.LBB28_45:                              ;   in Loop: Header=BB28_23 Depth=2
	s_andn2_saveexec_b64 s[0:1], s[30:31]
	s_cbranch_execz .LBB28_47
; %bb.46:                               ;   in Loop: Header=BB28_23 Depth=2
	v_cvt_f32_u32_e32 v3, s58
	s_sub_i32 s16, 0, s58
	v_mov_b32_e32 v21, v2
	v_rcp_iflag_f32_e32 v3, v3
	v_mul_f32_e32 v3, 0x4f7ffffe, v3
	v_cvt_u32_f32_e32 v3, v3
	v_mul_lo_u32 v7, s16, v3
	v_mul_hi_u32 v7, v3, v7
	v_add_u32_e32 v3, v3, v7
	v_mul_hi_u32 v3, v18, v3
	v_mul_lo_u32 v7, v3, s58
	v_sub_u32_e32 v7, v18, v7
	v_add_u32_e32 v9, 1, v3
	v_subrev_u32_e32 v11, s58, v7
	v_cmp_le_u32_e32 vcc, s58, v7
	v_cndmask_b32_e32 v7, v7, v11, vcc
	v_cndmask_b32_e32 v3, v3, v9, vcc
	v_add_u32_e32 v9, 1, v3
	v_cmp_le_u32_e32 vcc, s58, v7
	v_cndmask_b32_e32 v20, v3, v9, vcc
.LBB28_47:                              ;   in Loop: Header=BB28_23 Depth=2
	s_or_b64 exec, exec, s[0:1]
	s_add_u32 s0, s43, s28
	s_addc_u32 s1, s44, s29
	s_add_i32 s16, s26, 1
	s_lshl_b64 s[28:29], s[16:17], 2
	s_add_u32 s30, s39, s28
	s_addc_u32 s31, s40, s29
	s_load_dword s16, s[30:31], 0x0
	s_load_dword s60, s[0:1], 0x0
                                        ; implicit-def: $vgpr22_vgpr23
	s_waitcnt lgkmcnt(0)
	s_ashr_i32 s0, s16, 31
	v_or_b32_e32 v3, s0, v21
	v_cmp_ne_u64_e32 vcc, 0, v[2:3]
	s_and_saveexec_b64 s[30:31], vcc
	s_xor_b64 s[30:31], exec, s[30:31]
	s_cbranch_execz .LBB28_49
; %bb.48:                               ;   in Loop: Header=BB28_23 Depth=2
	s_add_u32 s36, s16, s0
	s_mov_b32 s34, s0
	s_mov_b32 s35, s0
	s_addc_u32 s37, s0, s0
	s_xor_b64 s[36:37], s[36:37], s[34:35]
	v_cvt_f32_u32_e32 v3, s36
	v_cvt_f32_u32_e32 v7, s37
	s_sub_u32 s0, 0, s36
	s_subb_u32 s1, 0, s37
	v_mac_f32_e32 v3, 0x4f800000, v7
	v_rcp_f32_e32 v3, v3
	v_mul_f32_e32 v3, 0x5f7ffffc, v3
	v_mul_f32_e32 v7, 0x2f800000, v3
	v_trunc_f32_e32 v7, v7
	v_mac_f32_e32 v3, 0xcf800000, v7
	v_cvt_u32_f32_e32 v7, v7
	v_cvt_u32_f32_e32 v3, v3
	v_mul_lo_u32 v9, s0, v7
	v_mul_hi_u32 v13, s0, v3
	v_mul_lo_u32 v11, s1, v3
	v_add_u32_e32 v9, v13, v9
	v_mul_lo_u32 v15, s0, v3
	v_add_u32_e32 v9, v9, v11
	v_mul_lo_u32 v13, v3, v9
	v_mul_hi_u32 v17, v3, v15
	v_mul_hi_u32 v11, v3, v9
	v_add_co_u32_e32 v13, vcc, v17, v13
	v_addc_co_u32_e32 v11, vcc, 0, v11, vcc
	v_mul_hi_u32 v19, v7, v15
	v_mul_lo_u32 v15, v7, v15
	v_add_co_u32_e32 v13, vcc, v13, v15
	v_mul_hi_u32 v17, v7, v9
	v_addc_co_u32_e32 v11, vcc, v11, v19, vcc
	v_addc_co_u32_e32 v13, vcc, 0, v17, vcc
	v_mul_lo_u32 v9, v7, v9
	v_add_co_u32_e32 v9, vcc, v11, v9
	v_addc_co_u32_e32 v11, vcc, 0, v13, vcc
	v_add_co_u32_e32 v3, vcc, v3, v9
	v_addc_co_u32_e32 v7, vcc, v7, v11, vcc
	v_mul_lo_u32 v9, s0, v7
	v_mul_hi_u32 v11, s0, v3
	v_add_u32_e32 v9, v11, v9
	v_mul_lo_u32 v11, s1, v3
	v_add_u32_e32 v9, v9, v11
	v_mul_lo_u32 v13, s0, v3
	v_mul_hi_u32 v15, v7, v13
	v_mul_lo_u32 v17, v7, v13
	v_mul_lo_u32 v22, v3, v9
	v_mul_hi_u32 v13, v3, v13
	v_mul_hi_u32 v19, v3, v9
	v_add_co_u32_e32 v13, vcc, v13, v22
	v_addc_co_u32_e32 v19, vcc, 0, v19, vcc
	v_add_co_u32_e32 v13, vcc, v13, v17
	v_mul_hi_u32 v11, v7, v9
	v_addc_co_u32_e32 v13, vcc, v19, v15, vcc
	v_addc_co_u32_e32 v11, vcc, 0, v11, vcc
	v_mul_lo_u32 v9, v7, v9
	v_add_co_u32_e32 v9, vcc, v13, v9
	v_addc_co_u32_e32 v11, vcc, 0, v11, vcc
	v_add_co_u32_e32 v3, vcc, v3, v9
	v_addc_co_u32_e32 v7, vcc, v7, v11, vcc
	v_ashrrev_i32_e32 v9, 31, v21
	v_add_co_u32_e32 v11, vcc, v20, v9
	v_xor_b32_e32 v11, v11, v9
	v_addc_co_u32_e32 v13, vcc, v21, v9, vcc
	v_mad_u64_u32 v[22:23], s[0:1], v11, v7, 0
	v_mul_hi_u32 v15, v11, v3
	v_xor_b32_e32 v13, v13, v9
	v_add_co_u32_e32 v15, vcc, v15, v22
	v_addc_co_u32_e32 v17, vcc, 0, v23, vcc
	v_mad_u64_u32 v[24:25], s[0:1], v13, v3, 0
	v_add_co_u32_e32 v3, vcc, v15, v24
	v_mad_u64_u32 v[22:23], s[0:1], v13, v7, 0
	v_addc_co_u32_e32 v3, vcc, v17, v25, vcc
	v_addc_co_u32_e32 v7, vcc, 0, v23, vcc
	v_add_co_u32_e32 v3, vcc, v3, v22
	v_addc_co_u32_e32 v7, vcc, 0, v7, vcc
	v_mul_lo_u32 v15, s37, v3
	v_mul_lo_u32 v17, s36, v7
	v_mad_u64_u32 v[22:23], s[0:1], s36, v3, 0
	v_add3_u32 v15, v23, v17, v15
	v_sub_u32_e32 v17, v13, v15
	v_mov_b32_e32 v19, s37
	v_sub_co_u32_e32 v11, vcc, v11, v22
	v_subb_co_u32_e64 v17, s[0:1], v17, v19, vcc
	v_subrev_co_u32_e64 v19, s[0:1], s36, v11
	v_subbrev_co_u32_e64 v17, s[0:1], 0, v17, s[0:1]
	v_cmp_le_u32_e64 s[0:1], s37, v17
	v_cndmask_b32_e64 v21, 0, -1, s[0:1]
	v_cmp_le_u32_e64 s[0:1], s36, v19
	v_cndmask_b32_e64 v19, 0, -1, s[0:1]
	v_cmp_eq_u32_e64 s[0:1], s37, v17
	v_cndmask_b32_e64 v17, v21, v19, s[0:1]
	v_add_co_u32_e64 v19, s[0:1], 2, v3
	v_subb_co_u32_e32 v13, vcc, v13, v15, vcc
	v_addc_co_u32_e64 v21, s[0:1], 0, v7, s[0:1]
	v_cmp_le_u32_e32 vcc, s37, v13
	v_add_co_u32_e64 v22, s[0:1], 1, v3
	v_cndmask_b32_e64 v15, 0, -1, vcc
	v_cmp_le_u32_e32 vcc, s36, v11
	v_addc_co_u32_e64 v23, s[0:1], 0, v7, s[0:1]
	v_cndmask_b32_e64 v11, 0, -1, vcc
	v_cmp_eq_u32_e32 vcc, s37, v13
	v_cmp_ne_u32_e64 s[0:1], 0, v17
	v_cndmask_b32_e32 v11, v15, v11, vcc
	v_cmp_ne_u32_e32 vcc, 0, v11
	v_cndmask_b32_e64 v11, v22, v19, s[0:1]
	v_cndmask_b32_e64 v17, v23, v21, s[0:1]
	v_cndmask_b32_e32 v3, v3, v11, vcc
	v_xor_b32_e32 v11, s35, v9
	v_xor_b32_e32 v9, s34, v9
	v_cndmask_b32_e32 v7, v7, v17, vcc
	v_xor_b32_e32 v3, v3, v9
	v_xor_b32_e32 v7, v7, v11
	v_sub_co_u32_e32 v22, vcc, v3, v9
	v_subb_co_u32_e32 v23, vcc, v7, v11, vcc
.LBB28_49:                              ;   in Loop: Header=BB28_23 Depth=2
	s_andn2_saveexec_b64 s[0:1], s[30:31]
	s_cbranch_execz .LBB28_51
; %bb.50:                               ;   in Loop: Header=BB28_23 Depth=2
	v_cvt_f32_u32_e32 v3, s16
	s_sub_i32 s27, 0, s16
	v_mov_b32_e32 v23, v2
	v_rcp_iflag_f32_e32 v3, v3
	v_mul_f32_e32 v3, 0x4f7ffffe, v3
	v_cvt_u32_f32_e32 v3, v3
	v_mul_lo_u32 v7, s27, v3
	v_mul_hi_u32 v7, v3, v7
	v_add_u32_e32 v3, v3, v7
	v_mul_hi_u32 v3, v20, v3
	v_mul_lo_u32 v7, v3, s16
	v_sub_u32_e32 v7, v20, v7
	v_add_u32_e32 v9, 1, v3
	v_subrev_u32_e32 v11, s16, v7
	v_cmp_le_u32_e32 vcc, s16, v7
	v_cndmask_b32_e32 v7, v7, v11, vcc
	v_cndmask_b32_e32 v3, v3, v9, vcc
	v_add_u32_e32 v9, 1, v3
	v_cmp_le_u32_e32 vcc, s16, v7
	v_cndmask_b32_e32 v22, v3, v9, vcc
.LBB28_51:                              ;   in Loop: Header=BB28_23 Depth=2
	s_or_b64 exec, exec, s[0:1]
	s_add_u32 s0, s43, s28
	s_mov_b32 s27, s17
	s_addc_u32 s1, s44, s29
	s_lshl_b64 s[28:29], s[26:27], 2
	s_add_u32 s30, s39, s28
	s_addc_u32 s31, s40, s29
	s_load_dword s27, s[30:31], 0x0
	s_load_dword s61, s[0:1], 0x0
                                        ; implicit-def: $vgpr24_vgpr25
	s_waitcnt lgkmcnt(0)
	s_ashr_i32 s0, s27, 31
	v_or_b32_e32 v3, s0, v23
	v_cmp_ne_u64_e32 vcc, 0, v[2:3]
	s_and_saveexec_b64 s[30:31], vcc
	s_xor_b64 s[30:31], exec, s[30:31]
	s_cbranch_execz .LBB28_53
; %bb.52:                               ;   in Loop: Header=BB28_23 Depth=2
	s_add_u32 s36, s27, s0
	s_mov_b32 s34, s0
	s_mov_b32 s35, s0
	s_addc_u32 s37, s0, s0
	s_xor_b64 s[36:37], s[36:37], s[34:35]
	v_cvt_f32_u32_e32 v3, s36
	v_cvt_f32_u32_e32 v7, s37
	s_sub_u32 s0, 0, s36
	s_subb_u32 s1, 0, s37
	v_mac_f32_e32 v3, 0x4f800000, v7
	v_rcp_f32_e32 v3, v3
	v_mul_f32_e32 v3, 0x5f7ffffc, v3
	v_mul_f32_e32 v7, 0x2f800000, v3
	v_trunc_f32_e32 v7, v7
	v_mac_f32_e32 v3, 0xcf800000, v7
	v_cvt_u32_f32_e32 v7, v7
	v_cvt_u32_f32_e32 v3, v3
	v_mul_lo_u32 v9, s0, v7
	v_mul_hi_u32 v13, s0, v3
	v_mul_lo_u32 v11, s1, v3
	v_add_u32_e32 v9, v13, v9
	v_mul_lo_u32 v15, s0, v3
	v_add_u32_e32 v9, v9, v11
	v_mul_lo_u32 v13, v3, v9
	v_mul_hi_u32 v17, v3, v15
	v_mul_hi_u32 v11, v3, v9
	v_add_co_u32_e32 v13, vcc, v17, v13
	v_addc_co_u32_e32 v11, vcc, 0, v11, vcc
	v_mul_hi_u32 v19, v7, v15
	v_mul_lo_u32 v15, v7, v15
	v_add_co_u32_e32 v13, vcc, v13, v15
	v_mul_hi_u32 v17, v7, v9
	v_addc_co_u32_e32 v11, vcc, v11, v19, vcc
	v_addc_co_u32_e32 v13, vcc, 0, v17, vcc
	v_mul_lo_u32 v9, v7, v9
	v_add_co_u32_e32 v9, vcc, v11, v9
	v_addc_co_u32_e32 v11, vcc, 0, v13, vcc
	v_add_co_u32_e32 v3, vcc, v3, v9
	v_addc_co_u32_e32 v7, vcc, v7, v11, vcc
	v_mul_lo_u32 v9, s0, v7
	v_mul_hi_u32 v11, s0, v3
	v_add_u32_e32 v9, v11, v9
	v_mul_lo_u32 v11, s1, v3
	v_add_u32_e32 v9, v9, v11
	v_mul_lo_u32 v13, s0, v3
	v_mul_hi_u32 v15, v7, v13
	v_mul_lo_u32 v17, v7, v13
	v_mul_lo_u32 v21, v3, v9
	v_mul_hi_u32 v13, v3, v13
	v_mul_hi_u32 v19, v3, v9
	v_add_co_u32_e32 v13, vcc, v13, v21
	v_addc_co_u32_e32 v19, vcc, 0, v19, vcc
	v_add_co_u32_e32 v13, vcc, v13, v17
	v_mul_hi_u32 v11, v7, v9
	v_addc_co_u32_e32 v13, vcc, v19, v15, vcc
	v_addc_co_u32_e32 v11, vcc, 0, v11, vcc
	v_mul_lo_u32 v9, v7, v9
	v_add_co_u32_e32 v9, vcc, v13, v9
	v_addc_co_u32_e32 v11, vcc, 0, v11, vcc
	v_add_co_u32_e32 v3, vcc, v3, v9
	v_addc_co_u32_e32 v7, vcc, v7, v11, vcc
	v_ashrrev_i32_e32 v9, 31, v23
	v_add_co_u32_e32 v11, vcc, v22, v9
	v_xor_b32_e32 v11, v11, v9
	v_addc_co_u32_e32 v13, vcc, v23, v9, vcc
	v_mad_u64_u32 v[24:25], s[0:1], v11, v7, 0
	v_mul_hi_u32 v15, v11, v3
	v_xor_b32_e32 v13, v13, v9
	v_add_co_u32_e32 v15, vcc, v15, v24
	v_addc_co_u32_e32 v17, vcc, 0, v25, vcc
	v_mad_u64_u32 v[28:29], s[0:1], v13, v3, 0
	v_add_co_u32_e32 v3, vcc, v15, v28
	v_mad_u64_u32 v[24:25], s[0:1], v13, v7, 0
	v_addc_co_u32_e32 v3, vcc, v17, v29, vcc
	v_addc_co_u32_e32 v7, vcc, 0, v25, vcc
	v_add_co_u32_e32 v3, vcc, v3, v24
	v_addc_co_u32_e32 v7, vcc, 0, v7, vcc
	v_mul_lo_u32 v15, s37, v3
	v_mul_lo_u32 v17, s36, v7
	v_mad_u64_u32 v[24:25], s[0:1], s36, v3, 0
	v_add3_u32 v15, v25, v17, v15
	v_sub_u32_e32 v17, v13, v15
	v_mov_b32_e32 v19, s37
	v_sub_co_u32_e32 v11, vcc, v11, v24
	v_subb_co_u32_e64 v17, s[0:1], v17, v19, vcc
	v_subrev_co_u32_e64 v19, s[0:1], s36, v11
	v_subbrev_co_u32_e64 v17, s[0:1], 0, v17, s[0:1]
	v_cmp_le_u32_e64 s[0:1], s37, v17
	v_cndmask_b32_e64 v21, 0, -1, s[0:1]
	v_cmp_le_u32_e64 s[0:1], s36, v19
	v_cndmask_b32_e64 v19, 0, -1, s[0:1]
	v_cmp_eq_u32_e64 s[0:1], s37, v17
	v_cndmask_b32_e64 v17, v21, v19, s[0:1]
	v_add_co_u32_e64 v19, s[0:1], 2, v3
	v_subb_co_u32_e32 v13, vcc, v13, v15, vcc
	v_addc_co_u32_e64 v21, s[0:1], 0, v7, s[0:1]
	v_cmp_le_u32_e32 vcc, s37, v13
	v_add_co_u32_e64 v23, s[0:1], 1, v3
	v_cndmask_b32_e64 v15, 0, -1, vcc
	v_cmp_le_u32_e32 vcc, s36, v11
	v_addc_co_u32_e64 v24, s[0:1], 0, v7, s[0:1]
	v_cndmask_b32_e64 v11, 0, -1, vcc
	v_cmp_eq_u32_e32 vcc, s37, v13
	v_cmp_ne_u32_e64 s[0:1], 0, v17
	v_cndmask_b32_e32 v11, v15, v11, vcc
	v_cmp_ne_u32_e32 vcc, 0, v11
	v_cndmask_b32_e64 v11, v23, v19, s[0:1]
	v_cndmask_b32_e64 v17, v24, v21, s[0:1]
	v_cndmask_b32_e32 v3, v3, v11, vcc
	v_xor_b32_e32 v11, s35, v9
	v_xor_b32_e32 v9, s34, v9
	v_cndmask_b32_e32 v7, v7, v17, vcc
	v_xor_b32_e32 v3, v3, v9
	v_xor_b32_e32 v7, v7, v11
	v_sub_co_u32_e32 v24, vcc, v3, v9
	v_subb_co_u32_e32 v25, vcc, v7, v11, vcc
.LBB28_53:                              ;   in Loop: Header=BB28_23 Depth=2
	s_andn2_saveexec_b64 s[0:1], s[30:31]
	s_cbranch_execz .LBB28_55
; %bb.54:                               ;   in Loop: Header=BB28_23 Depth=2
	v_cvt_f32_u32_e32 v3, s27
	s_sub_i32 s30, 0, s27
	v_mov_b32_e32 v25, v2
	v_rcp_iflag_f32_e32 v3, v3
	v_mul_f32_e32 v3, 0x4f7ffffe, v3
	v_cvt_u32_f32_e32 v3, v3
	v_mul_lo_u32 v7, s30, v3
	v_mul_hi_u32 v7, v3, v7
	v_add_u32_e32 v3, v3, v7
	v_mul_hi_u32 v3, v22, v3
	v_mul_lo_u32 v7, v3, s27
	v_sub_u32_e32 v7, v22, v7
	v_add_u32_e32 v9, 1, v3
	v_subrev_u32_e32 v11, s27, v7
	v_cmp_le_u32_e32 vcc, s27, v7
	v_cndmask_b32_e32 v7, v7, v11, vcc
	v_cndmask_b32_e32 v3, v3, v9, vcc
	v_add_u32_e32 v9, 1, v3
	v_cmp_le_u32_e32 vcc, s27, v7
	v_cndmask_b32_e32 v24, v3, v9, vcc
.LBB28_55:                              ;   in Loop: Header=BB28_23 Depth=2
	s_or_b64 exec, exec, s[0:1]
	v_mul_lo_u32 v3, v10, s49
	v_mul_lo_u32 v7, v12, s50
	v_sub_u32_e32 v3, v8, v3
	v_sub_u32_e32 v7, v10, v7
	v_mul_lo_u32 v3, s51, v3
	v_mul_lo_u32 v7, s53, v7
	v_add3_u32 v3, v3, v6, v7
	v_mul_lo_u32 v6, v14, s52
	v_mul_lo_u32 v7, v16, s54
	v_sub_u32_e32 v6, v12, v6
	v_sub_u32_e32 v7, v14, v7
	s_add_u32 s0, s43, s28
	v_mul_lo_u32 v6, s55, v6
	v_mul_lo_u32 v7, s57, v7
	s_addc_u32 s1, s44, s29
	v_add3_u32 v3, v6, v3, v7
	v_mul_lo_u32 v6, v18, s56
	v_mul_lo_u32 v7, v20, s58
	s_load_dword s0, s[0:1], 0x0
	v_sub_u32_e32 v6, v16, v6
	v_sub_u32_e32 v7, v18, v7
	v_mul_lo_u32 v6, s59, v6
	v_mul_lo_u32 v7, s60, v7
	v_add3_u32 v3, v6, v3, v7
	v_mul_lo_u32 v6, v22, s16
	v_mul_lo_u32 v7, v24, s27
	v_sub_u32_e32 v6, v20, v6
	v_sub_u32_e32 v7, v22, v7
	v_mul_lo_u32 v6, s61, v6
	s_waitcnt lgkmcnt(0)
	v_mul_lo_u32 v7, s0, v7
	s_add_i32 s26, s26, -8
	s_cmp_lg_u32 s26, -8
	v_add3_u32 v6, v6, v3, v7
	s_cbranch_scc0 .LBB28_57
; %bb.56:                               ;   in Loop: Header=BB28_23 Depth=2
	v_pk_mov_b32 v[8:9], v[24:25], v[24:25] op_sel:[0,1]
	s_branch .LBB28_23
.LBB28_57:                              ;   in Loop: Header=BB28_3 Depth=1
	s_load_dword s0, s[14:15], 0x0
	s_waitcnt lgkmcnt(0)
	v_cmp_gt_i32_e32 vcc, s0, v5
	s_and_b64 exec, exec, vcc
	s_cbranch_execz .LBB28_2
; %bb.58:                               ;   in Loop: Header=BB28_3 Depth=1
	v_ashrrev_i32_e32 v5, 31, v4
	v_cmp_lt_i64_e32 vcc, s[8:9], v[4:5]
	s_and_b64 exec, exec, vcc
	s_cbranch_execz .LBB28_2
; %bb.59:                               ;   in Loop: Header=BB28_3 Depth=1
	v_ashrrev_i32_e32 v7, 31, v6
	v_lshlrev_b64 v[4:5], 4, v[6:7]
	v_mov_b32_e32 v3, s3
	v_add_co_u32_e32 v6, vcc, s2, v4
	v_addc_co_u32_e32 v7, vcc, v3, v5, vcc
	v_mov_b32_e32 v3, v2
	v_mov_b32_e32 v4, v2
	;; [unrolled: 1-line block ×3, first 2 shown]
	global_store_dwordx4 v[6:7], v[2:5], off
	s_branch .LBB28_2
.LBB28_60:
	s_endpgm
	.section	.rodata,"a",@progbits
	.p2align	6, 0x0
	.amdhsa_kernel _ZN2at6native16triu_tril_kernelIN3c107complexIdEEiLb0ELi1ELb1EEEvNS_4cuda6detail10TensorInfoIT_T0_EENS7_IKS8_S9_EEllS9_
		.amdhsa_group_segment_fixed_size 0
		.amdhsa_private_segment_fixed_size 0
		.amdhsa_kernarg_size 712
		.amdhsa_user_sgpr_count 6
		.amdhsa_user_sgpr_private_segment_buffer 1
		.amdhsa_user_sgpr_dispatch_ptr 0
		.amdhsa_user_sgpr_queue_ptr 0
		.amdhsa_user_sgpr_kernarg_segment_ptr 1
		.amdhsa_user_sgpr_dispatch_id 0
		.amdhsa_user_sgpr_flat_scratch_init 0
		.amdhsa_user_sgpr_kernarg_preload_length 0
		.amdhsa_user_sgpr_kernarg_preload_offset 0
		.amdhsa_user_sgpr_private_segment_size 0
		.amdhsa_uses_dynamic_stack 0
		.amdhsa_system_sgpr_private_segment_wavefront_offset 0
		.amdhsa_system_sgpr_workgroup_id_x 1
		.amdhsa_system_sgpr_workgroup_id_y 0
		.amdhsa_system_sgpr_workgroup_id_z 0
		.amdhsa_system_sgpr_workgroup_info 0
		.amdhsa_system_vgpr_workitem_id 0
		.amdhsa_next_free_vgpr 30
		.amdhsa_next_free_sgpr 62
		.amdhsa_accum_offset 32
		.amdhsa_reserve_vcc 1
		.amdhsa_reserve_flat_scratch 0
		.amdhsa_float_round_mode_32 0
		.amdhsa_float_round_mode_16_64 0
		.amdhsa_float_denorm_mode_32 3
		.amdhsa_float_denorm_mode_16_64 3
		.amdhsa_dx10_clamp 1
		.amdhsa_ieee_mode 1
		.amdhsa_fp16_overflow 0
		.amdhsa_tg_split 0
		.amdhsa_exception_fp_ieee_invalid_op 0
		.amdhsa_exception_fp_denorm_src 0
		.amdhsa_exception_fp_ieee_div_zero 0
		.amdhsa_exception_fp_ieee_overflow 0
		.amdhsa_exception_fp_ieee_underflow 0
		.amdhsa_exception_fp_ieee_inexact 0
		.amdhsa_exception_int_div_zero 0
	.end_amdhsa_kernel
	.section	.text._ZN2at6native16triu_tril_kernelIN3c107complexIdEEiLb0ELi1ELb1EEEvNS_4cuda6detail10TensorInfoIT_T0_EENS7_IKS8_S9_EEllS9_,"axG",@progbits,_ZN2at6native16triu_tril_kernelIN3c107complexIdEEiLb0ELi1ELb1EEEvNS_4cuda6detail10TensorInfoIT_T0_EENS7_IKS8_S9_EEllS9_,comdat
.Lfunc_end28:
	.size	_ZN2at6native16triu_tril_kernelIN3c107complexIdEEiLb0ELi1ELb1EEEvNS_4cuda6detail10TensorInfoIT_T0_EENS7_IKS8_S9_EEllS9_, .Lfunc_end28-_ZN2at6native16triu_tril_kernelIN3c107complexIdEEiLb0ELi1ELb1EEEvNS_4cuda6detail10TensorInfoIT_T0_EENS7_IKS8_S9_EEllS9_
                                        ; -- End function
	.section	.AMDGPU.csdata,"",@progbits
; Kernel info:
; codeLenInByte = 10060
; NumSgprs: 66
; NumVgprs: 30
; NumAgprs: 0
; TotalNumVgprs: 30
; ScratchSize: 0
; MemoryBound: 0
; FloatMode: 240
; IeeeMode: 1
; LDSByteSize: 0 bytes/workgroup (compile time only)
; SGPRBlocks: 8
; VGPRBlocks: 3
; NumSGPRsForWavesPerEU: 66
; NumVGPRsForWavesPerEU: 30
; AccumOffset: 32
; Occupancy: 8
; WaveLimiterHint : 0
; COMPUTE_PGM_RSRC2:SCRATCH_EN: 0
; COMPUTE_PGM_RSRC2:USER_SGPR: 6
; COMPUTE_PGM_RSRC2:TRAP_HANDLER: 0
; COMPUTE_PGM_RSRC2:TGID_X_EN: 1
; COMPUTE_PGM_RSRC2:TGID_Y_EN: 0
; COMPUTE_PGM_RSRC2:TGID_Z_EN: 0
; COMPUTE_PGM_RSRC2:TIDIG_COMP_CNT: 0
; COMPUTE_PGM_RSRC3_GFX90A:ACCUM_OFFSET: 7
; COMPUTE_PGM_RSRC3_GFX90A:TG_SPLIT: 0
	.section	.text._ZN2at6native16triu_tril_kernelIN3c107complexIdEEiLb0ELi1ELb0EEEvNS_4cuda6detail10TensorInfoIT_T0_EENS7_IKS8_S9_EEllS9_,"axG",@progbits,_ZN2at6native16triu_tril_kernelIN3c107complexIdEEiLb0ELi1ELb0EEEvNS_4cuda6detail10TensorInfoIT_T0_EENS7_IKS8_S9_EEllS9_,comdat
	.protected	_ZN2at6native16triu_tril_kernelIN3c107complexIdEEiLb0ELi1ELb0EEEvNS_4cuda6detail10TensorInfoIT_T0_EENS7_IKS8_S9_EEllS9_ ; -- Begin function _ZN2at6native16triu_tril_kernelIN3c107complexIdEEiLb0ELi1ELb0EEEvNS_4cuda6detail10TensorInfoIT_T0_EENS7_IKS8_S9_EEllS9_
	.globl	_ZN2at6native16triu_tril_kernelIN3c107complexIdEEiLb0ELi1ELb0EEEvNS_4cuda6detail10TensorInfoIT_T0_EENS7_IKS8_S9_EEllS9_
	.p2align	8
	.type	_ZN2at6native16triu_tril_kernelIN3c107complexIdEEiLb0ELi1ELb0EEEvNS_4cuda6detail10TensorInfoIT_T0_EENS7_IKS8_S9_EEllS9_,@function
_ZN2at6native16triu_tril_kernelIN3c107complexIdEEiLb0ELi1ELb0EEEvNS_4cuda6detail10TensorInfoIT_T0_EENS7_IKS8_S9_EEllS9_: ; @_ZN2at6native16triu_tril_kernelIN3c107complexIdEEiLb0ELi1ELb0EEEvNS_4cuda6detail10TensorInfoIT_T0_EENS7_IKS8_S9_EEllS9_
; %bb.0:
	s_load_dword s2, s[4:5], 0x1d4
	s_load_dwordx4 s[8:11], s[4:5], 0x1b0
	s_add_u32 s0, s4, 0x1c8
	v_mov_b32_e32 v4, 0
	s_addc_u32 s1, s5, 0
	s_waitcnt lgkmcnt(0)
	s_and_b32 s2, s2, 0xffff
	v_mov_b32_e32 v1, v4
	v_mov_b32_e32 v2, s6
	v_mad_u64_u32 v[6:7], s[6:7], s2, v2, v[0:1]
	v_cmp_gt_i64_e32 vcc, s[10:11], v[6:7]
	s_and_saveexec_b64 s[6:7], vcc
	s_cbranch_execz .LBB29_45
; %bb.1:
	s_load_dword s20, s[4:5], 0x1a8
	s_load_dwordx2 s[6:7], s[4:5], 0xd8
	s_add_u32 s33, s4, 0xd8
	s_addc_u32 s38, s5, 0
	s_mov_b64 s[24:25], 0
	s_waitcnt lgkmcnt(0)
	s_ashr_i32 s21, s20, 31
	s_lshl_b64 s[12:13], s[20:21], 2
	s_add_u32 s3, s12, -8
	s_addc_u32 s18, s13, -1
	s_add_u32 s16, s33, s3
	s_addc_u32 s17, s38, s18
	s_load_dwordx2 s[12:13], s[16:17], 0x8
	s_load_dword s39, s[4:5], 0x1c0
	s_load_dword s22, s[0:1], 0x0
	v_cmp_gt_i64_e64 s[14:15], s[20:21], 2
	s_load_dwordx2 s[16:17], s[16:17], 0x6c
	s_waitcnt lgkmcnt(0)
	s_ashr_i32 s40, s12, 31
	v_cvt_f32_u32_e32 v0, s39
	s_ashr_i32 s41, s39, 31
	s_add_u32 s42, s4, 0x6c
	s_addc_u32 s43, s5, 0
	s_load_dwordx2 s[4:5], s[4:5], 0x0
	v_rcp_iflag_f32_e32 v0, v0
	s_add_u32 s0, s42, s3
	s_addc_u32 s1, s43, s18
	s_load_dwordx2 s[18:19], s[0:1], 0x0
	v_mul_f32_e32 v0, 0x4f7ffffe, v0
	s_add_i32 s44, s20, -3
	s_and_b32 s47, s20, 3
	v_cvt_u32_f32_e32 v22, v0
	s_cmp_lg_u32 s47, 2
	s_mul_i32 s45, s22, s2
	s_mov_b32 s21, 0
	s_cselect_b64 s[22:23], -1, 0
	s_cmp_gt_u32 s44, 2
	s_mov_b32 s46, s21
	s_cselect_b64 s[26:27], -1, 0
	s_branch .LBB29_3
.LBB29_2:                               ;   in Loop: Header=BB29_3 Depth=1
	s_or_b64 exec, exec, s[0:1]
	s_waitcnt vmcnt(0)
	v_mov_b32_e32 v0, s46
	v_add_co_u32_e32 v6, vcc, s45, v6
	v_addc_co_u32_e32 v7, vcc, v7, v0, vcc
	v_cmp_le_i64_e32 vcc, s[10:11], v[6:7]
	s_or_b64 s[24:25], vcc, s[24:25]
	s_andn2_b64 exec, exec, s[24:25]
	s_cbranch_execz .LBB29_45
.LBB29_3:                               ; =>This Loop Header: Depth=1
                                        ;     Child Loop BB29_37 Depth 2
                                        ;     Child Loop BB29_18 Depth 2
	v_or_b32_e32 v5, s41, v7
	v_cmp_ne_u64_e32 vcc, 0, v[4:5]
                                        ; implicit-def: $vgpr0_vgpr1
                                        ; implicit-def: $vgpr14_vgpr15
	s_and_saveexec_b64 s[0:1], vcc
	s_xor_b64 s[28:29], exec, s[0:1]
	s_cbranch_execz .LBB29_5
; %bb.4:                                ;   in Loop: Header=BB29_3 Depth=1
	s_add_u32 s0, s39, s41
	s_mov_b32 s2, s41
	s_mov_b32 s3, s41
	s_addc_u32 s1, s41, s41
	s_xor_b64 s[30:31], s[0:1], s[2:3]
	v_cvt_f32_u32_e32 v0, s30
	v_cvt_f32_u32_e32 v1, s31
	s_sub_u32 s0, 0, s30
	s_subb_u32 s1, 0, s31
	v_mac_f32_e32 v0, 0x4f800000, v1
	v_rcp_f32_e32 v0, v0
	v_mul_f32_e32 v0, 0x5f7ffffc, v0
	v_mul_f32_e32 v1, 0x2f800000, v0
	v_trunc_f32_e32 v1, v1
	v_mac_f32_e32 v0, 0xcf800000, v1
	v_cvt_u32_f32_e32 v1, v1
	v_cvt_u32_f32_e32 v0, v0
	v_mul_lo_u32 v2, s0, v1
	v_mul_hi_u32 v5, s0, v0
	v_mul_lo_u32 v3, s1, v0
	v_add_u32_e32 v2, v5, v2
	v_mul_lo_u32 v8, s0, v0
	v_add_u32_e32 v2, v2, v3
	v_mul_lo_u32 v5, v0, v2
	v_mul_hi_u32 v9, v0, v8
	v_mul_hi_u32 v3, v0, v2
	v_add_co_u32_e32 v5, vcc, v9, v5
	v_addc_co_u32_e32 v3, vcc, 0, v3, vcc
	v_mul_hi_u32 v10, v1, v8
	v_mul_lo_u32 v8, v1, v8
	v_add_co_u32_e32 v5, vcc, v5, v8
	v_mul_hi_u32 v9, v1, v2
	v_addc_co_u32_e32 v3, vcc, v3, v10, vcc
	v_addc_co_u32_e32 v5, vcc, 0, v9, vcc
	v_mul_lo_u32 v2, v1, v2
	v_add_co_u32_e32 v2, vcc, v3, v2
	v_addc_co_u32_e32 v3, vcc, 0, v5, vcc
	v_add_co_u32_e32 v0, vcc, v0, v2
	v_addc_co_u32_e32 v1, vcc, v1, v3, vcc
	v_mul_lo_u32 v2, s0, v1
	v_mul_hi_u32 v3, s0, v0
	v_add_u32_e32 v2, v3, v2
	v_mul_lo_u32 v3, s1, v0
	v_add_u32_e32 v2, v2, v3
	v_mul_lo_u32 v5, s0, v0
	v_mul_hi_u32 v8, v1, v5
	v_mul_lo_u32 v9, v1, v5
	v_mul_lo_u32 v11, v0, v2
	v_mul_hi_u32 v5, v0, v5
	v_mul_hi_u32 v10, v0, v2
	v_add_co_u32_e32 v5, vcc, v5, v11
	v_addc_co_u32_e32 v10, vcc, 0, v10, vcc
	v_add_co_u32_e32 v5, vcc, v5, v9
	v_mul_hi_u32 v3, v1, v2
	v_addc_co_u32_e32 v5, vcc, v10, v8, vcc
	v_addc_co_u32_e32 v3, vcc, 0, v3, vcc
	v_mul_lo_u32 v2, v1, v2
	v_add_co_u32_e32 v2, vcc, v5, v2
	v_addc_co_u32_e32 v3, vcc, 0, v3, vcc
	v_add_co_u32_e32 v2, vcc, v0, v2
	v_addc_co_u32_e32 v3, vcc, v1, v3, vcc
	v_ashrrev_i32_e32 v5, 31, v7
	v_add_co_u32_e32 v0, vcc, v6, v5
	v_addc_co_u32_e32 v1, vcc, v7, v5, vcc
	v_xor_b32_e32 v9, v0, v5
	v_xor_b32_e32 v8, v1, v5
	v_mad_u64_u32 v[0:1], s[0:1], v9, v3, 0
	v_mul_hi_u32 v10, v9, v2
	v_add_co_u32_e32 v10, vcc, v10, v0
	v_addc_co_u32_e32 v11, vcc, 0, v1, vcc
	v_mad_u64_u32 v[0:1], s[0:1], v8, v3, 0
	v_mad_u64_u32 v[2:3], s[0:1], v8, v2, 0
	v_add_co_u32_e32 v2, vcc, v10, v2
	v_addc_co_u32_e32 v2, vcc, v11, v3, vcc
	v_addc_co_u32_e32 v1, vcc, 0, v1, vcc
	v_add_co_u32_e32 v2, vcc, v2, v0
	v_addc_co_u32_e32 v3, vcc, 0, v1, vcc
	v_mul_lo_u32 v10, s31, v2
	v_mul_lo_u32 v11, s30, v3
	v_mad_u64_u32 v[0:1], s[0:1], s30, v2, 0
	v_add3_u32 v1, v1, v11, v10
	v_sub_u32_e32 v10, v8, v1
	v_mov_b32_e32 v11, s31
	v_sub_co_u32_e32 v0, vcc, v9, v0
	v_subb_co_u32_e64 v9, s[0:1], v10, v11, vcc
	v_subrev_co_u32_e64 v10, s[0:1], s30, v0
	v_subbrev_co_u32_e64 v9, s[0:1], 0, v9, s[0:1]
	v_cmp_le_u32_e64 s[0:1], s31, v9
	v_cndmask_b32_e64 v11, 0, -1, s[0:1]
	v_cmp_le_u32_e64 s[0:1], s30, v10
	v_cndmask_b32_e64 v12, 0, -1, s[0:1]
	v_cmp_eq_u32_e64 s[0:1], s31, v9
	v_cndmask_b32_e64 v9, v11, v12, s[0:1]
	v_add_co_u32_e64 v11, s[0:1], 2, v2
	v_addc_co_u32_e64 v12, s[0:1], 0, v3, s[0:1]
	v_add_co_u32_e64 v13, s[0:1], 1, v2
	v_subb_co_u32_e32 v1, vcc, v8, v1, vcc
	v_addc_co_u32_e64 v14, s[0:1], 0, v3, s[0:1]
	v_cmp_le_u32_e32 vcc, s31, v1
	v_cmp_ne_u32_e64 s[0:1], 0, v9
	v_cndmask_b32_e64 v8, 0, -1, vcc
	v_cmp_le_u32_e32 vcc, s30, v0
	v_cndmask_b32_e64 v9, v14, v12, s[0:1]
	v_cndmask_b32_e64 v12, 0, -1, vcc
	v_cmp_eq_u32_e32 vcc, s31, v1
	v_cndmask_b32_e32 v1, v8, v12, vcc
	v_cmp_ne_u32_e32 vcc, 0, v1
	v_cndmask_b32_e32 v1, v3, v9, vcc
	v_cndmask_b32_e64 v3, v13, v11, s[0:1]
	v_cndmask_b32_e32 v2, v2, v3, vcc
	v_xor_b32_e32 v8, s2, v5
	v_xor_b32_e32 v3, s3, v5
	;; [unrolled: 1-line block ×4, first 2 shown]
	v_sub_co_u32_e64 v14, s[2:3], v2, v8
	v_subb_co_u32_e64 v15, s[2:3], v1, v3, s[2:3]
	v_subrev_co_u32_e64 v1, s[2:3], s30, v10
	v_cndmask_b32_e64 v1, v10, v1, s[0:1]
	v_cndmask_b32_e32 v0, v0, v1, vcc
	v_xor_b32_e32 v0, v0, v5
	v_sub_co_u32_e32 v0, vcc, v0, v5
.LBB29_5:                               ;   in Loop: Header=BB29_3 Depth=1
	s_andn2_saveexec_b64 s[2:3], s[28:29]
	s_cbranch_execz .LBB29_7
; %bb.6:                                ;   in Loop: Header=BB29_3 Depth=1
	s_sub_i32 s0, 0, s39
	v_mul_lo_u32 v0, s0, v22
	v_mul_hi_u32 v0, v22, v0
	v_add_u32_e32 v0, v22, v0
	v_mul_hi_u32 v1, v6, v0
	v_mul_lo_u32 v0, v1, s39
	v_sub_u32_e32 v0, v6, v0
	v_subrev_u32_e32 v2, s39, v0
	v_cmp_le_u32_e32 vcc, s39, v0
	v_cndmask_b32_e32 v0, v0, v2, vcc
	v_subrev_u32_e32 v2, s39, v0
	v_cmp_le_u32_e64 s[0:1], s39, v0
	v_cndmask_b32_e64 v0, v0, v2, s[0:1]
	v_add_u32_e32 v2, 1, v1
	v_cndmask_b32_e32 v1, v1, v2, vcc
	v_add_u32_e32 v2, 1, v1
	v_cndmask_b32_e64 v14, v1, v2, s[0:1]
	v_mov_b32_e32 v15, v4
.LBB29_7:                               ;   in Loop: Header=BB29_3 Depth=1
	s_or_b64 exec, exec, s[2:3]
	v_or_b32_e32 v5, s40, v15
	v_cmp_ne_u64_e32 vcc, 0, v[4:5]
                                        ; implicit-def: $vgpr2_vgpr3
	s_and_saveexec_b64 s[0:1], vcc
	s_xor_b64 s[2:3], exec, s[0:1]
	s_cbranch_execz .LBB29_9
; %bb.8:                                ;   in Loop: Header=BB29_3 Depth=1
	s_add_u32 s28, s12, s40
	s_mov_b32 s0, s40
	s_mov_b32 s1, s40
	s_addc_u32 s29, s40, s40
	s_xor_b64 s[28:29], s[28:29], s[0:1]
	v_cvt_f32_u32_e32 v1, s28
	v_cvt_f32_u32_e32 v2, s29
	s_sub_u32 s0, 0, s28
	s_subb_u32 s1, 0, s29
	v_mac_f32_e32 v1, 0x4f800000, v2
	v_rcp_f32_e32 v1, v1
	v_mul_f32_e32 v1, 0x5f7ffffc, v1
	v_mul_f32_e32 v2, 0x2f800000, v1
	v_trunc_f32_e32 v2, v2
	v_mac_f32_e32 v1, 0xcf800000, v2
	v_cvt_u32_f32_e32 v2, v2
	v_cvt_u32_f32_e32 v1, v1
	v_mul_lo_u32 v3, s0, v2
	v_mul_hi_u32 v9, s0, v1
	v_mul_lo_u32 v8, s1, v1
	v_add_u32_e32 v3, v9, v3
	v_mul_lo_u32 v10, s0, v1
	v_add_u32_e32 v3, v3, v8
	v_mul_lo_u32 v9, v1, v3
	v_mul_hi_u32 v11, v1, v10
	v_mul_hi_u32 v8, v1, v3
	v_add_co_u32_e32 v9, vcc, v11, v9
	v_addc_co_u32_e32 v8, vcc, 0, v8, vcc
	v_mul_hi_u32 v12, v2, v10
	v_mul_lo_u32 v10, v2, v10
	v_add_co_u32_e32 v9, vcc, v9, v10
	v_mul_hi_u32 v11, v2, v3
	v_addc_co_u32_e32 v8, vcc, v8, v12, vcc
	v_addc_co_u32_e32 v9, vcc, 0, v11, vcc
	v_mul_lo_u32 v3, v2, v3
	v_add_co_u32_e32 v3, vcc, v8, v3
	v_addc_co_u32_e32 v8, vcc, 0, v9, vcc
	v_add_co_u32_e32 v1, vcc, v1, v3
	v_addc_co_u32_e32 v2, vcc, v2, v8, vcc
	v_mul_lo_u32 v3, s0, v2
	v_mul_hi_u32 v8, s0, v1
	v_add_u32_e32 v3, v8, v3
	v_mul_lo_u32 v8, s1, v1
	v_add_u32_e32 v3, v3, v8
	v_mul_lo_u32 v9, s0, v1
	v_mul_hi_u32 v10, v2, v9
	v_mul_lo_u32 v11, v2, v9
	v_mul_lo_u32 v13, v1, v3
	v_mul_hi_u32 v9, v1, v9
	v_mul_hi_u32 v12, v1, v3
	v_add_co_u32_e32 v9, vcc, v9, v13
	v_addc_co_u32_e32 v12, vcc, 0, v12, vcc
	v_add_co_u32_e32 v9, vcc, v9, v11
	v_mul_hi_u32 v8, v2, v3
	v_addc_co_u32_e32 v9, vcc, v12, v10, vcc
	v_addc_co_u32_e32 v8, vcc, 0, v8, vcc
	v_mul_lo_u32 v3, v2, v3
	v_add_co_u32_e32 v3, vcc, v9, v3
	v_addc_co_u32_e32 v8, vcc, 0, v8, vcc
	v_add_co_u32_e32 v1, vcc, v1, v3
	v_addc_co_u32_e32 v8, vcc, v2, v8, vcc
	v_ashrrev_i32_e32 v10, 31, v15
	v_add_co_u32_e32 v2, vcc, v14, v10
	v_addc_co_u32_e32 v3, vcc, v15, v10, vcc
	v_xor_b32_e32 v12, v2, v10
	v_xor_b32_e32 v11, v3, v10
	v_mad_u64_u32 v[2:3], s[0:1], v12, v8, 0
	v_mul_hi_u32 v9, v12, v1
	v_add_co_u32_e32 v13, vcc, v9, v2
	v_addc_co_u32_e32 v16, vcc, 0, v3, vcc
	v_mad_u64_u32 v[2:3], s[0:1], v11, v8, 0
	v_mad_u64_u32 v[8:9], s[0:1], v11, v1, 0
	v_add_co_u32_e32 v1, vcc, v13, v8
	v_addc_co_u32_e32 v1, vcc, v16, v9, vcc
	v_addc_co_u32_e32 v3, vcc, 0, v3, vcc
	v_add_co_u32_e32 v1, vcc, v1, v2
	v_addc_co_u32_e32 v2, vcc, 0, v3, vcc
	v_mul_lo_u32 v8, s29, v1
	v_mul_lo_u32 v9, s28, v2
	v_mad_u64_u32 v[2:3], s[0:1], s28, v1, 0
	v_add3_u32 v1, v3, v9, v8
	v_sub_u32_e32 v3, v11, v1
	v_mov_b32_e32 v8, s29
	v_sub_co_u32_e32 v2, vcc, v12, v2
	v_subb_co_u32_e64 v3, s[0:1], v3, v8, vcc
	v_subrev_co_u32_e64 v8, s[0:1], s28, v2
	v_subbrev_co_u32_e64 v3, s[0:1], 0, v3, s[0:1]
	v_cmp_le_u32_e64 s[0:1], s29, v3
	v_subb_co_u32_e32 v1, vcc, v11, v1, vcc
	v_cndmask_b32_e64 v9, 0, -1, s[0:1]
	v_cmp_le_u32_e64 s[0:1], s28, v8
	v_cmp_le_u32_e32 vcc, s29, v1
	v_cndmask_b32_e64 v12, 0, -1, s[0:1]
	v_cmp_eq_u32_e64 s[0:1], s29, v3
	v_cndmask_b32_e64 v11, 0, -1, vcc
	v_cmp_le_u32_e32 vcc, s28, v2
	v_cndmask_b32_e64 v3, v9, v12, s[0:1]
	v_cndmask_b32_e64 v12, 0, -1, vcc
	v_cmp_eq_u32_e32 vcc, s29, v1
	v_subrev_co_u32_e64 v9, s[0:1], s28, v8
	v_cndmask_b32_e32 v1, v11, v12, vcc
	v_cmp_ne_u32_e32 vcc, 0, v3
	v_cndmask_b32_e32 v3, v8, v9, vcc
	v_cmp_ne_u32_e32 vcc, 0, v1
	v_cndmask_b32_e32 v1, v2, v3, vcc
	v_xor_b32_e32 v1, v1, v10
	v_sub_co_u32_e32 v2, vcc, v1, v10
.LBB29_9:                               ;   in Loop: Header=BB29_3 Depth=1
	s_andn2_saveexec_b64 s[0:1], s[2:3]
	s_cbranch_execz .LBB29_11
; %bb.10:                               ;   in Loop: Header=BB29_3 Depth=1
	v_cvt_f32_u32_e32 v1, s12
	s_sub_i32 s2, 0, s12
	v_rcp_iflag_f32_e32 v1, v1
	v_mul_f32_e32 v1, 0x4f7ffffe, v1
	v_cvt_u32_f32_e32 v1, v1
	v_mul_lo_u32 v2, s2, v1
	v_mul_hi_u32 v2, v1, v2
	v_add_u32_e32 v1, v1, v2
	v_mul_hi_u32 v1, v14, v1
	v_mul_lo_u32 v1, v1, s12
	v_sub_u32_e32 v1, v14, v1
	v_subrev_u32_e32 v2, s12, v1
	v_cmp_le_u32_e32 vcc, s12, v1
	v_cndmask_b32_e32 v1, v1, v2, vcc
	v_subrev_u32_e32 v2, s12, v1
	v_cmp_le_u32_e32 vcc, s12, v1
	v_cndmask_b32_e32 v2, v1, v2, vcc
.LBB29_11:                              ;   in Loop: Header=BB29_3 Depth=1
	s_or_b64 exec, exec, s[0:1]
	v_mul_lo_u32 v8, s17, v0
	v_mad_u64_u32 v[10:11], s[0:1], s16, v2, v[8:9]
	s_waitcnt lgkmcnt(0)
	v_mul_lo_u32 v8, s19, v0
	s_andn2_b64 vcc, exec, s[14:15]
	v_mad_u64_u32 v[8:9], s[0:1], s18, v2, v[8:9]
	s_cbranch_vccnz .LBB29_41
; %bb.12:                               ;   in Loop: Header=BB29_3 Depth=1
	v_cmp_ne_u64_e32 vcc, 0, v[4:5]
                                        ; implicit-def: $vgpr12_vgpr13
	s_and_saveexec_b64 s[0:1], vcc
	s_xor_b64 s[2:3], exec, s[0:1]
	s_cbranch_execz .LBB29_14
; %bb.13:                               ;   in Loop: Header=BB29_3 Depth=1
	s_add_u32 s0, s12, s40
	s_mov_b32 s28, s40
	s_mov_b32 s29, s40
	s_addc_u32 s1, s40, s40
	s_xor_b64 s[30:31], s[0:1], s[28:29]
	v_cvt_f32_u32_e32 v1, s30
	v_cvt_f32_u32_e32 v3, s31
	s_sub_u32 s0, 0, s30
	s_subb_u32 s1, 0, s31
	v_mac_f32_e32 v1, 0x4f800000, v3
	v_rcp_f32_e32 v1, v1
	v_mul_f32_e32 v1, 0x5f7ffffc, v1
	v_mul_f32_e32 v3, 0x2f800000, v1
	v_trunc_f32_e32 v3, v3
	v_mac_f32_e32 v1, 0xcf800000, v3
	v_cvt_u32_f32_e32 v3, v3
	v_cvt_u32_f32_e32 v1, v1
	v_mul_lo_u32 v5, s0, v3
	v_mul_hi_u32 v11, s0, v1
	v_mul_lo_u32 v9, s1, v1
	v_add_u32_e32 v5, v11, v5
	v_mul_lo_u32 v12, s0, v1
	v_add_u32_e32 v5, v5, v9
	v_mul_lo_u32 v11, v1, v5
	v_mul_hi_u32 v13, v1, v12
	v_mul_hi_u32 v9, v1, v5
	v_add_co_u32_e32 v11, vcc, v13, v11
	v_addc_co_u32_e32 v9, vcc, 0, v9, vcc
	v_mul_hi_u32 v16, v3, v12
	v_mul_lo_u32 v12, v3, v12
	v_add_co_u32_e32 v11, vcc, v11, v12
	v_mul_hi_u32 v13, v3, v5
	v_addc_co_u32_e32 v9, vcc, v9, v16, vcc
	v_addc_co_u32_e32 v11, vcc, 0, v13, vcc
	v_mul_lo_u32 v5, v3, v5
	v_add_co_u32_e32 v5, vcc, v9, v5
	v_addc_co_u32_e32 v9, vcc, 0, v11, vcc
	v_add_co_u32_e32 v1, vcc, v1, v5
	v_addc_co_u32_e32 v3, vcc, v3, v9, vcc
	v_mul_lo_u32 v5, s0, v3
	v_mul_hi_u32 v9, s0, v1
	v_add_u32_e32 v5, v9, v5
	v_mul_lo_u32 v9, s1, v1
	v_add_u32_e32 v5, v5, v9
	v_mul_lo_u32 v11, s0, v1
	v_mul_hi_u32 v12, v3, v11
	v_mul_lo_u32 v13, v3, v11
	v_mul_lo_u32 v17, v1, v5
	v_mul_hi_u32 v11, v1, v11
	v_mul_hi_u32 v16, v1, v5
	v_add_co_u32_e32 v11, vcc, v11, v17
	v_addc_co_u32_e32 v16, vcc, 0, v16, vcc
	v_add_co_u32_e32 v11, vcc, v11, v13
	v_mul_hi_u32 v9, v3, v5
	v_addc_co_u32_e32 v11, vcc, v16, v12, vcc
	v_addc_co_u32_e32 v9, vcc, 0, v9, vcc
	v_mul_lo_u32 v5, v3, v5
	v_add_co_u32_e32 v5, vcc, v11, v5
	v_addc_co_u32_e32 v9, vcc, 0, v9, vcc
	v_add_co_u32_e32 v1, vcc, v1, v5
	v_addc_co_u32_e32 v3, vcc, v3, v9, vcc
	v_ashrrev_i32_e32 v5, 31, v15
	v_add_co_u32_e32 v9, vcc, v14, v5
	v_xor_b32_e32 v9, v9, v5
	v_addc_co_u32_e32 v11, vcc, v15, v5, vcc
	v_mad_u64_u32 v[12:13], s[0:1], v9, v3, 0
	v_mul_hi_u32 v14, v9, v1
	v_xor_b32_e32 v11, v11, v5
	v_add_co_u32_e32 v16, vcc, v14, v12
	v_addc_co_u32_e32 v17, vcc, 0, v13, vcc
	v_mad_u64_u32 v[14:15], s[0:1], v11, v1, 0
	v_add_co_u32_e32 v1, vcc, v16, v14
	v_mad_u64_u32 v[12:13], s[0:1], v11, v3, 0
	v_addc_co_u32_e32 v1, vcc, v17, v15, vcc
	v_addc_co_u32_e32 v3, vcc, 0, v13, vcc
	v_add_co_u32_e32 v1, vcc, v1, v12
	v_addc_co_u32_e32 v3, vcc, 0, v3, vcc
	v_mul_lo_u32 v14, s31, v1
	v_mul_lo_u32 v15, s30, v3
	v_mad_u64_u32 v[12:13], s[0:1], s30, v1, 0
	v_add3_u32 v13, v13, v15, v14
	v_sub_u32_e32 v14, v11, v13
	v_mov_b32_e32 v15, s31
	v_sub_co_u32_e32 v9, vcc, v9, v12
	v_subb_co_u32_e64 v12, s[0:1], v14, v15, vcc
	v_subrev_co_u32_e64 v14, s[0:1], s30, v9
	v_subbrev_co_u32_e64 v12, s[0:1], 0, v12, s[0:1]
	v_cmp_le_u32_e64 s[0:1], s31, v12
	v_cndmask_b32_e64 v15, 0, -1, s[0:1]
	v_cmp_le_u32_e64 s[0:1], s30, v14
	v_cndmask_b32_e64 v14, 0, -1, s[0:1]
	v_cmp_eq_u32_e64 s[0:1], s31, v12
	v_cndmask_b32_e64 v12, v15, v14, s[0:1]
	v_add_co_u32_e64 v14, s[0:1], 2, v1
	v_subb_co_u32_e32 v11, vcc, v11, v13, vcc
	v_addc_co_u32_e64 v15, s[0:1], 0, v3, s[0:1]
	v_cmp_le_u32_e32 vcc, s31, v11
	v_add_co_u32_e64 v16, s[0:1], 1, v1
	v_cndmask_b32_e64 v13, 0, -1, vcc
	v_cmp_le_u32_e32 vcc, s30, v9
	v_addc_co_u32_e64 v17, s[0:1], 0, v3, s[0:1]
	v_cndmask_b32_e64 v9, 0, -1, vcc
	v_cmp_eq_u32_e32 vcc, s31, v11
	v_cmp_ne_u32_e64 s[0:1], 0, v12
	v_cndmask_b32_e32 v9, v13, v9, vcc
	v_cmp_ne_u32_e32 vcc, 0, v9
	v_cndmask_b32_e64 v9, v16, v14, s[0:1]
	v_cndmask_b32_e64 v12, v17, v15, s[0:1]
	v_cndmask_b32_e32 v1, v1, v9, vcc
	v_xor_b32_e32 v9, s29, v5
	v_xor_b32_e32 v5, s28, v5
	v_cndmask_b32_e32 v3, v3, v12, vcc
	v_xor_b32_e32 v1, v1, v5
	v_xor_b32_e32 v3, v3, v9
	v_sub_co_u32_e32 v12, vcc, v1, v5
	v_subb_co_u32_e32 v13, vcc, v3, v9, vcc
                                        ; implicit-def: $vgpr14_vgpr15
.LBB29_14:                              ;   in Loop: Header=BB29_3 Depth=1
	s_andn2_saveexec_b64 s[0:1], s[2:3]
	s_cbranch_execz .LBB29_16
; %bb.15:                               ;   in Loop: Header=BB29_3 Depth=1
	v_cvt_f32_u32_e32 v1, s12
	s_sub_i32 s2, 0, s12
	v_mov_b32_e32 v13, v4
	v_rcp_iflag_f32_e32 v1, v1
	v_mul_f32_e32 v1, 0x4f7ffffe, v1
	v_cvt_u32_f32_e32 v1, v1
	v_mul_lo_u32 v3, s2, v1
	v_mul_hi_u32 v3, v1, v3
	v_add_u32_e32 v1, v1, v3
	v_mul_hi_u32 v1, v14, v1
	v_mul_lo_u32 v3, v1, s12
	v_sub_u32_e32 v3, v14, v3
	v_add_u32_e32 v5, 1, v1
	v_subrev_u32_e32 v9, s12, v3
	v_cmp_le_u32_e32 vcc, s12, v3
	v_cndmask_b32_e32 v3, v3, v9, vcc
	v_cndmask_b32_e32 v1, v1, v5, vcc
	v_add_u32_e32 v5, 1, v1
	v_cmp_le_u32_e32 vcc, s12, v3
	v_cndmask_b32_e32 v12, v1, v5, vcc
.LBB29_16:                              ;   in Loop: Header=BB29_3 Depth=1
	s_or_b64 exec, exec, s[0:1]
	s_andn2_b64 vcc, exec, s[22:23]
	s_mov_b32 s48, 1
	s_mov_b32 s20, s44
	s_cbranch_vccz .LBB29_37
.LBB29_17:                              ;   in Loop: Header=BB29_3 Depth=1
	s_and_b64 vcc, exec, s[26:27]
	s_cbranch_vccz .LBB29_41
.LBB29_18:                              ;   Parent Loop BB29_3 Depth=1
                                        ; =>  This Inner Loop Header: Depth=2
	s_lshl_b64 s[2:3], s[20:21], 2
	s_add_u32 s28, s33, s2
	s_addc_u32 s29, s38, s3
	s_load_dword s48, s[28:29], 0x8
                                        ; implicit-def: $vgpr14_vgpr15
	s_waitcnt lgkmcnt(0)
	s_ashr_i32 s0, s48, 31
	v_or_b32_e32 v5, s0, v13
	v_cmp_ne_u64_e32 vcc, 0, v[4:5]
	s_and_saveexec_b64 s[30:31], vcc
	s_xor_b64 s[30:31], exec, s[30:31]
	s_cbranch_execz .LBB29_20
; %bb.19:                               ;   in Loop: Header=BB29_18 Depth=2
	s_add_u32 s36, s48, s0
	s_mov_b32 s34, s0
	s_mov_b32 s35, s0
	s_addc_u32 s37, s0, s0
	s_xor_b64 s[36:37], s[36:37], s[34:35]
	v_cvt_f32_u32_e32 v1, s36
	v_cvt_f32_u32_e32 v3, s37
	s_sub_u32 s0, 0, s36
	s_subb_u32 s1, 0, s37
	v_mac_f32_e32 v1, 0x4f800000, v3
	v_rcp_f32_e32 v1, v1
	v_mul_f32_e32 v1, 0x5f7ffffc, v1
	v_mul_f32_e32 v3, 0x2f800000, v1
	v_trunc_f32_e32 v3, v3
	v_mac_f32_e32 v1, 0xcf800000, v3
	v_cvt_u32_f32_e32 v3, v3
	v_cvt_u32_f32_e32 v1, v1
	v_mul_lo_u32 v5, s0, v3
	v_mul_hi_u32 v11, s0, v1
	v_mul_lo_u32 v9, s1, v1
	v_add_u32_e32 v5, v11, v5
	v_mul_lo_u32 v14, s0, v1
	v_add_u32_e32 v5, v5, v9
	v_mul_lo_u32 v11, v1, v5
	v_mul_hi_u32 v15, v1, v14
	v_mul_hi_u32 v9, v1, v5
	v_add_co_u32_e32 v11, vcc, v15, v11
	v_addc_co_u32_e32 v9, vcc, 0, v9, vcc
	v_mul_hi_u32 v16, v3, v14
	v_mul_lo_u32 v14, v3, v14
	v_add_co_u32_e32 v11, vcc, v11, v14
	v_mul_hi_u32 v15, v3, v5
	v_addc_co_u32_e32 v9, vcc, v9, v16, vcc
	v_addc_co_u32_e32 v11, vcc, 0, v15, vcc
	v_mul_lo_u32 v5, v3, v5
	v_add_co_u32_e32 v5, vcc, v9, v5
	v_addc_co_u32_e32 v9, vcc, 0, v11, vcc
	v_add_co_u32_e32 v1, vcc, v1, v5
	v_addc_co_u32_e32 v3, vcc, v3, v9, vcc
	v_mul_lo_u32 v5, s0, v3
	v_mul_hi_u32 v9, s0, v1
	v_add_u32_e32 v5, v9, v5
	v_mul_lo_u32 v9, s1, v1
	v_add_u32_e32 v5, v5, v9
	v_mul_lo_u32 v11, s0, v1
	v_mul_hi_u32 v14, v3, v11
	v_mul_lo_u32 v15, v3, v11
	v_mul_lo_u32 v17, v1, v5
	v_mul_hi_u32 v11, v1, v11
	v_mul_hi_u32 v16, v1, v5
	v_add_co_u32_e32 v11, vcc, v11, v17
	v_addc_co_u32_e32 v16, vcc, 0, v16, vcc
	v_add_co_u32_e32 v11, vcc, v11, v15
	v_mul_hi_u32 v9, v3, v5
	v_addc_co_u32_e32 v11, vcc, v16, v14, vcc
	v_addc_co_u32_e32 v9, vcc, 0, v9, vcc
	v_mul_lo_u32 v5, v3, v5
	v_add_co_u32_e32 v5, vcc, v11, v5
	v_addc_co_u32_e32 v9, vcc, 0, v9, vcc
	v_add_co_u32_e32 v1, vcc, v1, v5
	v_addc_co_u32_e32 v3, vcc, v3, v9, vcc
	v_ashrrev_i32_e32 v5, 31, v13
	v_add_co_u32_e32 v9, vcc, v12, v5
	v_xor_b32_e32 v9, v9, v5
	v_addc_co_u32_e32 v11, vcc, v13, v5, vcc
	v_mad_u64_u32 v[14:15], s[0:1], v9, v3, 0
	v_mul_hi_u32 v13, v9, v1
	v_xor_b32_e32 v11, v11, v5
	v_add_co_u32_e32 v13, vcc, v13, v14
	v_addc_co_u32_e32 v18, vcc, 0, v15, vcc
	v_mad_u64_u32 v[16:17], s[0:1], v11, v1, 0
	v_add_co_u32_e32 v1, vcc, v13, v16
	v_mad_u64_u32 v[14:15], s[0:1], v11, v3, 0
	v_addc_co_u32_e32 v1, vcc, v18, v17, vcc
	v_addc_co_u32_e32 v3, vcc, 0, v15, vcc
	v_add_co_u32_e32 v1, vcc, v1, v14
	v_addc_co_u32_e32 v3, vcc, 0, v3, vcc
	v_mul_lo_u32 v13, s37, v1
	v_mul_lo_u32 v16, s36, v3
	v_mad_u64_u32 v[14:15], s[0:1], s36, v1, 0
	v_add3_u32 v13, v15, v16, v13
	v_sub_u32_e32 v15, v11, v13
	v_mov_b32_e32 v16, s37
	v_sub_co_u32_e32 v9, vcc, v9, v14
	v_subb_co_u32_e64 v14, s[0:1], v15, v16, vcc
	v_subrev_co_u32_e64 v15, s[0:1], s36, v9
	v_subbrev_co_u32_e64 v14, s[0:1], 0, v14, s[0:1]
	v_cmp_le_u32_e64 s[0:1], s37, v14
	v_cndmask_b32_e64 v16, 0, -1, s[0:1]
	v_cmp_le_u32_e64 s[0:1], s36, v15
	v_cndmask_b32_e64 v15, 0, -1, s[0:1]
	v_cmp_eq_u32_e64 s[0:1], s37, v14
	v_cndmask_b32_e64 v14, v16, v15, s[0:1]
	v_add_co_u32_e64 v15, s[0:1], 2, v1
	v_subb_co_u32_e32 v11, vcc, v11, v13, vcc
	v_addc_co_u32_e64 v16, s[0:1], 0, v3, s[0:1]
	v_cmp_le_u32_e32 vcc, s37, v11
	v_add_co_u32_e64 v17, s[0:1], 1, v1
	v_cndmask_b32_e64 v13, 0, -1, vcc
	v_cmp_le_u32_e32 vcc, s36, v9
	v_addc_co_u32_e64 v18, s[0:1], 0, v3, s[0:1]
	v_cndmask_b32_e64 v9, 0, -1, vcc
	v_cmp_eq_u32_e32 vcc, s37, v11
	v_cmp_ne_u32_e64 s[0:1], 0, v14
	v_cndmask_b32_e32 v9, v13, v9, vcc
	v_cmp_ne_u32_e32 vcc, 0, v9
	v_cndmask_b32_e64 v9, v17, v15, s[0:1]
	v_cndmask_b32_e64 v14, v18, v16, s[0:1]
	v_cndmask_b32_e32 v1, v1, v9, vcc
	v_xor_b32_e32 v9, s35, v5
	v_xor_b32_e32 v5, s34, v5
	v_cndmask_b32_e32 v3, v3, v14, vcc
	v_xor_b32_e32 v1, v1, v5
	v_xor_b32_e32 v3, v3, v9
	v_sub_co_u32_e32 v14, vcc, v1, v5
	v_subb_co_u32_e32 v15, vcc, v3, v9, vcc
.LBB29_20:                              ;   in Loop: Header=BB29_18 Depth=2
	s_andn2_saveexec_b64 s[0:1], s[30:31]
	s_cbranch_execz .LBB29_22
; %bb.21:                               ;   in Loop: Header=BB29_18 Depth=2
	v_cvt_f32_u32_e32 v1, s48
	s_sub_i32 s30, 0, s48
	v_mov_b32_e32 v15, v4
	v_rcp_iflag_f32_e32 v1, v1
	v_mul_f32_e32 v1, 0x4f7ffffe, v1
	v_cvt_u32_f32_e32 v1, v1
	v_mul_lo_u32 v3, s30, v1
	v_mul_hi_u32 v3, v1, v3
	v_add_u32_e32 v1, v1, v3
	v_mul_hi_u32 v1, v12, v1
	v_mul_lo_u32 v3, v1, s48
	v_sub_u32_e32 v3, v12, v3
	v_add_u32_e32 v5, 1, v1
	v_subrev_u32_e32 v9, s48, v3
	v_cmp_le_u32_e32 vcc, s48, v3
	v_cndmask_b32_e32 v3, v3, v9, vcc
	v_cndmask_b32_e32 v1, v1, v5, vcc
	v_add_u32_e32 v5, 1, v1
	v_cmp_le_u32_e32 vcc, s48, v3
	v_cndmask_b32_e32 v14, v1, v5, vcc
.LBB29_22:                              ;   in Loop: Header=BB29_18 Depth=2
	s_or_b64 exec, exec, s[0:1]
	s_add_u32 s0, s42, s2
	s_addc_u32 s1, s43, s3
	s_add_i32 s2, s20, -1
	s_mov_b32 s3, s21
	s_lshl_b64 s[30:31], s[2:3], 2
	s_add_u32 s2, s33, s30
	s_addc_u32 s3, s38, s31
	s_load_dword s49, s[2:3], 0x8
	s_load_dword s50, s[28:29], 0x6c
	;; [unrolled: 1-line block ×3, first 2 shown]
                                        ; implicit-def: $vgpr16_vgpr17
	s_waitcnt lgkmcnt(0)
	s_ashr_i32 s0, s49, 31
	v_or_b32_e32 v5, s0, v15
	v_cmp_ne_u64_e32 vcc, 0, v[4:5]
	s_and_saveexec_b64 s[28:29], vcc
	s_xor_b64 s[28:29], exec, s[28:29]
	s_cbranch_execz .LBB29_24
; %bb.23:                               ;   in Loop: Header=BB29_18 Depth=2
	s_add_u32 s36, s49, s0
	s_mov_b32 s34, s0
	s_mov_b32 s35, s0
	s_addc_u32 s37, s0, s0
	s_xor_b64 s[36:37], s[36:37], s[34:35]
	v_cvt_f32_u32_e32 v1, s36
	v_cvt_f32_u32_e32 v3, s37
	s_sub_u32 s0, 0, s36
	s_subb_u32 s1, 0, s37
	v_mac_f32_e32 v1, 0x4f800000, v3
	v_rcp_f32_e32 v1, v1
	v_mul_f32_e32 v1, 0x5f7ffffc, v1
	v_mul_f32_e32 v3, 0x2f800000, v1
	v_trunc_f32_e32 v3, v3
	v_mac_f32_e32 v1, 0xcf800000, v3
	v_cvt_u32_f32_e32 v3, v3
	v_cvt_u32_f32_e32 v1, v1
	v_mul_lo_u32 v5, s0, v3
	v_mul_hi_u32 v11, s0, v1
	v_mul_lo_u32 v9, s1, v1
	v_add_u32_e32 v5, v11, v5
	v_mul_lo_u32 v13, s0, v1
	v_add_u32_e32 v5, v5, v9
	v_mul_lo_u32 v11, v1, v5
	v_mul_hi_u32 v16, v1, v13
	v_mul_hi_u32 v9, v1, v5
	v_add_co_u32_e32 v11, vcc, v16, v11
	v_addc_co_u32_e32 v9, vcc, 0, v9, vcc
	v_mul_hi_u32 v17, v3, v13
	v_mul_lo_u32 v13, v3, v13
	v_add_co_u32_e32 v11, vcc, v11, v13
	v_mul_hi_u32 v16, v3, v5
	v_addc_co_u32_e32 v9, vcc, v9, v17, vcc
	v_addc_co_u32_e32 v11, vcc, 0, v16, vcc
	v_mul_lo_u32 v5, v3, v5
	v_add_co_u32_e32 v5, vcc, v9, v5
	v_addc_co_u32_e32 v9, vcc, 0, v11, vcc
	v_add_co_u32_e32 v1, vcc, v1, v5
	v_addc_co_u32_e32 v3, vcc, v3, v9, vcc
	v_mul_lo_u32 v5, s0, v3
	v_mul_hi_u32 v9, s0, v1
	v_add_u32_e32 v5, v9, v5
	v_mul_lo_u32 v9, s1, v1
	v_add_u32_e32 v5, v5, v9
	v_mul_lo_u32 v11, s0, v1
	v_mul_hi_u32 v13, v3, v11
	v_mul_lo_u32 v16, v3, v11
	v_mul_lo_u32 v18, v1, v5
	v_mul_hi_u32 v11, v1, v11
	v_mul_hi_u32 v17, v1, v5
	v_add_co_u32_e32 v11, vcc, v11, v18
	v_addc_co_u32_e32 v17, vcc, 0, v17, vcc
	v_add_co_u32_e32 v11, vcc, v11, v16
	v_mul_hi_u32 v9, v3, v5
	v_addc_co_u32_e32 v11, vcc, v17, v13, vcc
	v_addc_co_u32_e32 v9, vcc, 0, v9, vcc
	v_mul_lo_u32 v5, v3, v5
	v_add_co_u32_e32 v5, vcc, v11, v5
	v_addc_co_u32_e32 v9, vcc, 0, v9, vcc
	v_add_co_u32_e32 v1, vcc, v1, v5
	v_addc_co_u32_e32 v3, vcc, v3, v9, vcc
	v_ashrrev_i32_e32 v5, 31, v15
	v_add_co_u32_e32 v9, vcc, v14, v5
	v_xor_b32_e32 v9, v9, v5
	v_addc_co_u32_e32 v11, vcc, v15, v5, vcc
	v_mad_u64_u32 v[16:17], s[0:1], v9, v3, 0
	v_mul_hi_u32 v13, v9, v1
	v_xor_b32_e32 v11, v11, v5
	v_add_co_u32_e32 v13, vcc, v13, v16
	v_addc_co_u32_e32 v15, vcc, 0, v17, vcc
	v_mad_u64_u32 v[18:19], s[0:1], v11, v1, 0
	v_add_co_u32_e32 v1, vcc, v13, v18
	v_mad_u64_u32 v[16:17], s[0:1], v11, v3, 0
	v_addc_co_u32_e32 v1, vcc, v15, v19, vcc
	v_addc_co_u32_e32 v3, vcc, 0, v17, vcc
	v_add_co_u32_e32 v1, vcc, v1, v16
	v_addc_co_u32_e32 v3, vcc, 0, v3, vcc
	v_mul_lo_u32 v13, s37, v1
	v_mul_lo_u32 v15, s36, v3
	v_mad_u64_u32 v[16:17], s[0:1], s36, v1, 0
	v_add3_u32 v13, v17, v15, v13
	v_sub_u32_e32 v15, v11, v13
	v_mov_b32_e32 v17, s37
	v_sub_co_u32_e32 v9, vcc, v9, v16
	v_subb_co_u32_e64 v15, s[0:1], v15, v17, vcc
	v_subrev_co_u32_e64 v16, s[0:1], s36, v9
	v_subbrev_co_u32_e64 v15, s[0:1], 0, v15, s[0:1]
	v_cmp_le_u32_e64 s[0:1], s37, v15
	v_cndmask_b32_e64 v17, 0, -1, s[0:1]
	v_cmp_le_u32_e64 s[0:1], s36, v16
	v_cndmask_b32_e64 v16, 0, -1, s[0:1]
	v_cmp_eq_u32_e64 s[0:1], s37, v15
	v_cndmask_b32_e64 v15, v17, v16, s[0:1]
	v_add_co_u32_e64 v16, s[0:1], 2, v1
	v_subb_co_u32_e32 v11, vcc, v11, v13, vcc
	v_addc_co_u32_e64 v17, s[0:1], 0, v3, s[0:1]
	v_cmp_le_u32_e32 vcc, s37, v11
	v_add_co_u32_e64 v18, s[0:1], 1, v1
	v_cndmask_b32_e64 v13, 0, -1, vcc
	v_cmp_le_u32_e32 vcc, s36, v9
	v_addc_co_u32_e64 v19, s[0:1], 0, v3, s[0:1]
	v_cndmask_b32_e64 v9, 0, -1, vcc
	v_cmp_eq_u32_e32 vcc, s37, v11
	v_cmp_ne_u32_e64 s[0:1], 0, v15
	v_cndmask_b32_e32 v9, v13, v9, vcc
	v_cmp_ne_u32_e32 vcc, 0, v9
	v_cndmask_b32_e64 v9, v18, v16, s[0:1]
	v_cndmask_b32_e64 v15, v19, v17, s[0:1]
	v_cndmask_b32_e32 v1, v1, v9, vcc
	v_xor_b32_e32 v9, s35, v5
	v_xor_b32_e32 v5, s34, v5
	v_cndmask_b32_e32 v3, v3, v15, vcc
	v_xor_b32_e32 v1, v1, v5
	v_xor_b32_e32 v3, v3, v9
	v_sub_co_u32_e32 v16, vcc, v1, v5
	v_subb_co_u32_e32 v17, vcc, v3, v9, vcc
.LBB29_24:                              ;   in Loop: Header=BB29_18 Depth=2
	s_andn2_saveexec_b64 s[0:1], s[28:29]
	s_cbranch_execz .LBB29_26
; %bb.25:                               ;   in Loop: Header=BB29_18 Depth=2
	v_cvt_f32_u32_e32 v1, s49
	s_sub_i32 s28, 0, s49
	v_mov_b32_e32 v17, v4
	v_rcp_iflag_f32_e32 v1, v1
	v_mul_f32_e32 v1, 0x4f7ffffe, v1
	v_cvt_u32_f32_e32 v1, v1
	v_mul_lo_u32 v3, s28, v1
	v_mul_hi_u32 v3, v1, v3
	v_add_u32_e32 v1, v1, v3
	v_mul_hi_u32 v1, v14, v1
	v_mul_lo_u32 v3, v1, s49
	v_sub_u32_e32 v3, v14, v3
	v_add_u32_e32 v5, 1, v1
	v_subrev_u32_e32 v9, s49, v3
	v_cmp_le_u32_e32 vcc, s49, v3
	v_cndmask_b32_e32 v3, v3, v9, vcc
	v_cndmask_b32_e32 v1, v1, v5, vcc
	v_add_u32_e32 v5, 1, v1
	v_cmp_le_u32_e32 vcc, s49, v3
	v_cndmask_b32_e32 v16, v1, v5, vcc
.LBB29_26:                              ;   in Loop: Header=BB29_18 Depth=2
	s_or_b64 exec, exec, s[0:1]
	s_add_u32 s0, s42, s30
	s_addc_u32 s1, s43, s31
	s_add_i32 s28, s20, -2
	s_mov_b32 s29, s21
	s_lshl_b64 s[28:29], s[28:29], 2
	s_add_u32 s30, s33, s28
	s_addc_u32 s31, s38, s29
	s_load_dword s52, s[30:31], 0x8
	s_load_dword s54, s[2:3], 0x6c
	s_load_dword s53, s[0:1], 0x0
                                        ; implicit-def: $vgpr18_vgpr19
	s_waitcnt lgkmcnt(0)
	s_ashr_i32 s0, s52, 31
	v_or_b32_e32 v5, s0, v17
	v_cmp_ne_u64_e32 vcc, 0, v[4:5]
	s_and_saveexec_b64 s[2:3], vcc
	s_xor_b64 s[2:3], exec, s[2:3]
	s_cbranch_execz .LBB29_28
; %bb.27:                               ;   in Loop: Header=BB29_18 Depth=2
	s_add_u32 s36, s52, s0
	s_mov_b32 s34, s0
	s_mov_b32 s35, s0
	s_addc_u32 s37, s0, s0
	s_xor_b64 s[36:37], s[36:37], s[34:35]
	v_cvt_f32_u32_e32 v1, s36
	v_cvt_f32_u32_e32 v3, s37
	s_sub_u32 s0, 0, s36
	s_subb_u32 s1, 0, s37
	v_mac_f32_e32 v1, 0x4f800000, v3
	v_rcp_f32_e32 v1, v1
	v_mul_f32_e32 v1, 0x5f7ffffc, v1
	v_mul_f32_e32 v3, 0x2f800000, v1
	v_trunc_f32_e32 v3, v3
	v_mac_f32_e32 v1, 0xcf800000, v3
	v_cvt_u32_f32_e32 v3, v3
	v_cvt_u32_f32_e32 v1, v1
	v_mul_lo_u32 v5, s0, v3
	v_mul_hi_u32 v11, s0, v1
	v_mul_lo_u32 v9, s1, v1
	v_add_u32_e32 v5, v11, v5
	v_mul_lo_u32 v13, s0, v1
	v_add_u32_e32 v5, v5, v9
	v_mul_lo_u32 v11, v1, v5
	v_mul_hi_u32 v15, v1, v13
	v_mul_hi_u32 v9, v1, v5
	v_add_co_u32_e32 v11, vcc, v15, v11
	v_addc_co_u32_e32 v9, vcc, 0, v9, vcc
	v_mul_hi_u32 v18, v3, v13
	v_mul_lo_u32 v13, v3, v13
	v_add_co_u32_e32 v11, vcc, v11, v13
	v_mul_hi_u32 v15, v3, v5
	v_addc_co_u32_e32 v9, vcc, v9, v18, vcc
	v_addc_co_u32_e32 v11, vcc, 0, v15, vcc
	v_mul_lo_u32 v5, v3, v5
	v_add_co_u32_e32 v5, vcc, v9, v5
	v_addc_co_u32_e32 v9, vcc, 0, v11, vcc
	v_add_co_u32_e32 v1, vcc, v1, v5
	v_addc_co_u32_e32 v3, vcc, v3, v9, vcc
	v_mul_lo_u32 v5, s0, v3
	v_mul_hi_u32 v9, s0, v1
	v_add_u32_e32 v5, v9, v5
	v_mul_lo_u32 v9, s1, v1
	v_add_u32_e32 v5, v5, v9
	v_mul_lo_u32 v11, s0, v1
	v_mul_hi_u32 v13, v3, v11
	v_mul_lo_u32 v15, v3, v11
	v_mul_lo_u32 v19, v1, v5
	v_mul_hi_u32 v11, v1, v11
	v_mul_hi_u32 v18, v1, v5
	v_add_co_u32_e32 v11, vcc, v11, v19
	v_addc_co_u32_e32 v18, vcc, 0, v18, vcc
	v_add_co_u32_e32 v11, vcc, v11, v15
	v_mul_hi_u32 v9, v3, v5
	v_addc_co_u32_e32 v11, vcc, v18, v13, vcc
	v_addc_co_u32_e32 v9, vcc, 0, v9, vcc
	v_mul_lo_u32 v5, v3, v5
	v_add_co_u32_e32 v5, vcc, v11, v5
	v_addc_co_u32_e32 v9, vcc, 0, v9, vcc
	v_add_co_u32_e32 v1, vcc, v1, v5
	v_addc_co_u32_e32 v3, vcc, v3, v9, vcc
	v_ashrrev_i32_e32 v5, 31, v17
	v_add_co_u32_e32 v9, vcc, v16, v5
	v_xor_b32_e32 v9, v9, v5
	v_addc_co_u32_e32 v11, vcc, v17, v5, vcc
	v_mad_u64_u32 v[18:19], s[0:1], v9, v3, 0
	v_mul_hi_u32 v13, v9, v1
	v_xor_b32_e32 v11, v11, v5
	v_add_co_u32_e32 v13, vcc, v13, v18
	v_addc_co_u32_e32 v15, vcc, 0, v19, vcc
	v_mad_u64_u32 v[20:21], s[0:1], v11, v1, 0
	v_add_co_u32_e32 v1, vcc, v13, v20
	v_mad_u64_u32 v[18:19], s[0:1], v11, v3, 0
	v_addc_co_u32_e32 v1, vcc, v15, v21, vcc
	v_addc_co_u32_e32 v3, vcc, 0, v19, vcc
	v_add_co_u32_e32 v1, vcc, v1, v18
	v_addc_co_u32_e32 v3, vcc, 0, v3, vcc
	v_mul_lo_u32 v13, s37, v1
	v_mul_lo_u32 v15, s36, v3
	v_mad_u64_u32 v[18:19], s[0:1], s36, v1, 0
	v_add3_u32 v13, v19, v15, v13
	v_sub_u32_e32 v15, v11, v13
	v_mov_b32_e32 v17, s37
	v_sub_co_u32_e32 v9, vcc, v9, v18
	v_subb_co_u32_e64 v15, s[0:1], v15, v17, vcc
	v_subrev_co_u32_e64 v17, s[0:1], s36, v9
	v_subbrev_co_u32_e64 v15, s[0:1], 0, v15, s[0:1]
	v_cmp_le_u32_e64 s[0:1], s37, v15
	v_cndmask_b32_e64 v18, 0, -1, s[0:1]
	v_cmp_le_u32_e64 s[0:1], s36, v17
	v_cndmask_b32_e64 v17, 0, -1, s[0:1]
	v_cmp_eq_u32_e64 s[0:1], s37, v15
	v_cndmask_b32_e64 v15, v18, v17, s[0:1]
	v_add_co_u32_e64 v17, s[0:1], 2, v1
	v_subb_co_u32_e32 v11, vcc, v11, v13, vcc
	v_addc_co_u32_e64 v18, s[0:1], 0, v3, s[0:1]
	v_cmp_le_u32_e32 vcc, s37, v11
	v_add_co_u32_e64 v19, s[0:1], 1, v1
	v_cndmask_b32_e64 v13, 0, -1, vcc
	v_cmp_le_u32_e32 vcc, s36, v9
	v_addc_co_u32_e64 v20, s[0:1], 0, v3, s[0:1]
	v_cndmask_b32_e64 v9, 0, -1, vcc
	v_cmp_eq_u32_e32 vcc, s37, v11
	v_cmp_ne_u32_e64 s[0:1], 0, v15
	v_cndmask_b32_e32 v9, v13, v9, vcc
	v_cmp_ne_u32_e32 vcc, 0, v9
	v_cndmask_b32_e64 v9, v19, v17, s[0:1]
	v_cndmask_b32_e64 v15, v20, v18, s[0:1]
	v_cndmask_b32_e32 v1, v1, v9, vcc
	v_xor_b32_e32 v9, s35, v5
	v_xor_b32_e32 v5, s34, v5
	v_cndmask_b32_e32 v3, v3, v15, vcc
	v_xor_b32_e32 v1, v1, v5
	v_xor_b32_e32 v3, v3, v9
	v_sub_co_u32_e32 v18, vcc, v1, v5
	v_subb_co_u32_e32 v19, vcc, v3, v9, vcc
.LBB29_28:                              ;   in Loop: Header=BB29_18 Depth=2
	s_andn2_saveexec_b64 s[0:1], s[2:3]
	s_cbranch_execz .LBB29_30
; %bb.29:                               ;   in Loop: Header=BB29_18 Depth=2
	v_cvt_f32_u32_e32 v1, s52
	s_sub_i32 s2, 0, s52
	v_mov_b32_e32 v19, v4
	v_rcp_iflag_f32_e32 v1, v1
	v_mul_f32_e32 v1, 0x4f7ffffe, v1
	v_cvt_u32_f32_e32 v1, v1
	v_mul_lo_u32 v3, s2, v1
	v_mul_hi_u32 v3, v1, v3
	v_add_u32_e32 v1, v1, v3
	v_mul_hi_u32 v1, v16, v1
	v_mul_lo_u32 v3, v1, s52
	v_sub_u32_e32 v3, v16, v3
	v_add_u32_e32 v5, 1, v1
	v_subrev_u32_e32 v9, s52, v3
	v_cmp_le_u32_e32 vcc, s52, v3
	v_cndmask_b32_e32 v3, v3, v9, vcc
	v_cndmask_b32_e32 v1, v1, v5, vcc
	v_add_u32_e32 v5, 1, v1
	v_cmp_le_u32_e32 vcc, s52, v3
	v_cndmask_b32_e32 v18, v1, v5, vcc
.LBB29_30:                              ;   in Loop: Header=BB29_18 Depth=2
	s_or_b64 exec, exec, s[0:1]
	s_add_u32 s0, s42, s28
	s_addc_u32 s1, s43, s29
	s_add_i32 s2, s20, -3
	s_mov_b32 s3, s21
	s_lshl_b64 s[2:3], s[2:3], 2
	s_add_u32 s28, s33, s2
	s_addc_u32 s29, s38, s3
	s_load_dword s55, s[28:29], 0x8
	s_load_dword s56, s[30:31], 0x6c
	;; [unrolled: 1-line block ×3, first 2 shown]
                                        ; implicit-def: $vgpr20_vgpr21
	s_waitcnt lgkmcnt(0)
	s_ashr_i32 s0, s55, 31
	v_or_b32_e32 v5, s0, v19
	v_cmp_ne_u64_e32 vcc, 0, v[4:5]
	s_and_saveexec_b64 s[30:31], vcc
	s_xor_b64 s[30:31], exec, s[30:31]
	s_cbranch_execz .LBB29_32
; %bb.31:                               ;   in Loop: Header=BB29_18 Depth=2
	s_add_u32 s36, s55, s0
	s_mov_b32 s34, s0
	s_mov_b32 s35, s0
	s_addc_u32 s37, s0, s0
	s_xor_b64 s[36:37], s[36:37], s[34:35]
	v_cvt_f32_u32_e32 v1, s36
	v_cvt_f32_u32_e32 v3, s37
	s_sub_u32 s0, 0, s36
	s_subb_u32 s1, 0, s37
	v_mac_f32_e32 v1, 0x4f800000, v3
	v_rcp_f32_e32 v1, v1
	v_mul_f32_e32 v1, 0x5f7ffffc, v1
	v_mul_f32_e32 v3, 0x2f800000, v1
	v_trunc_f32_e32 v3, v3
	v_mac_f32_e32 v1, 0xcf800000, v3
	v_cvt_u32_f32_e32 v3, v3
	v_cvt_u32_f32_e32 v1, v1
	v_mul_lo_u32 v5, s0, v3
	v_mul_hi_u32 v11, s0, v1
	v_mul_lo_u32 v9, s1, v1
	v_add_u32_e32 v5, v11, v5
	v_mul_lo_u32 v13, s0, v1
	v_add_u32_e32 v5, v5, v9
	v_mul_lo_u32 v11, v1, v5
	v_mul_hi_u32 v15, v1, v13
	v_mul_hi_u32 v9, v1, v5
	v_add_co_u32_e32 v11, vcc, v15, v11
	v_addc_co_u32_e32 v9, vcc, 0, v9, vcc
	v_mul_hi_u32 v17, v3, v13
	v_mul_lo_u32 v13, v3, v13
	v_add_co_u32_e32 v11, vcc, v11, v13
	v_mul_hi_u32 v15, v3, v5
	v_addc_co_u32_e32 v9, vcc, v9, v17, vcc
	v_addc_co_u32_e32 v11, vcc, 0, v15, vcc
	v_mul_lo_u32 v5, v3, v5
	v_add_co_u32_e32 v5, vcc, v9, v5
	v_addc_co_u32_e32 v9, vcc, 0, v11, vcc
	v_add_co_u32_e32 v1, vcc, v1, v5
	v_addc_co_u32_e32 v3, vcc, v3, v9, vcc
	v_mul_lo_u32 v5, s0, v3
	v_mul_hi_u32 v9, s0, v1
	v_add_u32_e32 v5, v9, v5
	v_mul_lo_u32 v9, s1, v1
	v_add_u32_e32 v5, v5, v9
	v_mul_lo_u32 v11, s0, v1
	v_mul_hi_u32 v13, v3, v11
	v_mul_lo_u32 v15, v3, v11
	v_mul_lo_u32 v20, v1, v5
	v_mul_hi_u32 v11, v1, v11
	v_mul_hi_u32 v17, v1, v5
	v_add_co_u32_e32 v11, vcc, v11, v20
	v_addc_co_u32_e32 v17, vcc, 0, v17, vcc
	v_add_co_u32_e32 v11, vcc, v11, v15
	v_mul_hi_u32 v9, v3, v5
	v_addc_co_u32_e32 v11, vcc, v17, v13, vcc
	v_addc_co_u32_e32 v9, vcc, 0, v9, vcc
	v_mul_lo_u32 v5, v3, v5
	v_add_co_u32_e32 v5, vcc, v11, v5
	v_addc_co_u32_e32 v9, vcc, 0, v9, vcc
	v_add_co_u32_e32 v1, vcc, v1, v5
	v_addc_co_u32_e32 v3, vcc, v3, v9, vcc
	v_ashrrev_i32_e32 v5, 31, v19
	v_add_co_u32_e32 v9, vcc, v18, v5
	v_xor_b32_e32 v9, v9, v5
	v_addc_co_u32_e32 v11, vcc, v19, v5, vcc
	v_mad_u64_u32 v[20:21], s[0:1], v9, v3, 0
	v_mul_hi_u32 v13, v9, v1
	v_xor_b32_e32 v11, v11, v5
	v_add_co_u32_e32 v13, vcc, v13, v20
	v_addc_co_u32_e32 v15, vcc, 0, v21, vcc
	v_mad_u64_u32 v[24:25], s[0:1], v11, v1, 0
	v_add_co_u32_e32 v1, vcc, v13, v24
	v_mad_u64_u32 v[20:21], s[0:1], v11, v3, 0
	v_addc_co_u32_e32 v1, vcc, v15, v25, vcc
	v_addc_co_u32_e32 v3, vcc, 0, v21, vcc
	v_add_co_u32_e32 v1, vcc, v1, v20
	v_addc_co_u32_e32 v3, vcc, 0, v3, vcc
	v_mul_lo_u32 v13, s37, v1
	v_mul_lo_u32 v15, s36, v3
	v_mad_u64_u32 v[20:21], s[0:1], s36, v1, 0
	v_add3_u32 v13, v21, v15, v13
	v_sub_u32_e32 v15, v11, v13
	v_mov_b32_e32 v17, s37
	v_sub_co_u32_e32 v9, vcc, v9, v20
	v_subb_co_u32_e64 v15, s[0:1], v15, v17, vcc
	v_subrev_co_u32_e64 v17, s[0:1], s36, v9
	v_subbrev_co_u32_e64 v15, s[0:1], 0, v15, s[0:1]
	v_cmp_le_u32_e64 s[0:1], s37, v15
	v_cndmask_b32_e64 v19, 0, -1, s[0:1]
	v_cmp_le_u32_e64 s[0:1], s36, v17
	v_cndmask_b32_e64 v17, 0, -1, s[0:1]
	v_cmp_eq_u32_e64 s[0:1], s37, v15
	v_cndmask_b32_e64 v15, v19, v17, s[0:1]
	v_add_co_u32_e64 v17, s[0:1], 2, v1
	v_subb_co_u32_e32 v11, vcc, v11, v13, vcc
	v_addc_co_u32_e64 v19, s[0:1], 0, v3, s[0:1]
	v_cmp_le_u32_e32 vcc, s37, v11
	v_add_co_u32_e64 v20, s[0:1], 1, v1
	v_cndmask_b32_e64 v13, 0, -1, vcc
	v_cmp_le_u32_e32 vcc, s36, v9
	v_addc_co_u32_e64 v21, s[0:1], 0, v3, s[0:1]
	v_cndmask_b32_e64 v9, 0, -1, vcc
	v_cmp_eq_u32_e32 vcc, s37, v11
	v_cmp_ne_u32_e64 s[0:1], 0, v15
	v_cndmask_b32_e32 v9, v13, v9, vcc
	v_cmp_ne_u32_e32 vcc, 0, v9
	v_cndmask_b32_e64 v9, v20, v17, s[0:1]
	v_cndmask_b32_e64 v15, v21, v19, s[0:1]
	v_cndmask_b32_e32 v1, v1, v9, vcc
	v_xor_b32_e32 v9, s35, v5
	v_xor_b32_e32 v5, s34, v5
	v_cndmask_b32_e32 v3, v3, v15, vcc
	v_xor_b32_e32 v1, v1, v5
	v_xor_b32_e32 v3, v3, v9
	v_sub_co_u32_e32 v20, vcc, v1, v5
	v_subb_co_u32_e32 v21, vcc, v3, v9, vcc
.LBB29_32:                              ;   in Loop: Header=BB29_18 Depth=2
	s_andn2_saveexec_b64 s[0:1], s[30:31]
	s_cbranch_execz .LBB29_34
; %bb.33:                               ;   in Loop: Header=BB29_18 Depth=2
	v_cvt_f32_u32_e32 v1, s55
	s_sub_i32 s30, 0, s55
	v_mov_b32_e32 v21, v4
	v_rcp_iflag_f32_e32 v1, v1
	v_mul_f32_e32 v1, 0x4f7ffffe, v1
	v_cvt_u32_f32_e32 v1, v1
	v_mul_lo_u32 v3, s30, v1
	v_mul_hi_u32 v3, v1, v3
	v_add_u32_e32 v1, v1, v3
	v_mul_hi_u32 v1, v18, v1
	v_mul_lo_u32 v3, v1, s55
	v_sub_u32_e32 v3, v18, v3
	v_add_u32_e32 v5, 1, v1
	v_subrev_u32_e32 v9, s55, v3
	v_cmp_le_u32_e32 vcc, s55, v3
	v_cndmask_b32_e32 v3, v3, v9, vcc
	v_cndmask_b32_e32 v1, v1, v5, vcc
	v_add_u32_e32 v5, 1, v1
	v_cmp_le_u32_e32 vcc, s55, v3
	v_cndmask_b32_e32 v20, v1, v5, vcc
.LBB29_34:                              ;   in Loop: Header=BB29_18 Depth=2
	s_or_b64 exec, exec, s[0:1]
	s_add_u32 s0, s42, s2
	v_mul_lo_u32 v1, v14, s48
	v_mul_lo_u32 v5, v16, s49
	s_load_dword s2, s[28:29], 0x6c
	s_addc_u32 s1, s43, s3
	s_load_dword s0, s[0:1], 0x0
	v_sub_u32_e32 v1, v12, v1
	v_sub_u32_e32 v5, v14, v5
	v_mul_lo_u32 v3, s50, v1
	v_mul_lo_u32 v1, s51, v1
	;; [unrolled: 1-line block ×4, first 2 shown]
	v_add3_u32 v3, v3, v10, v9
	v_add3_u32 v1, v1, v8, v5
	v_mul_lo_u32 v5, v18, s52
	v_mul_lo_u32 v9, v20, s55
	v_sub_u32_e32 v5, v16, v5
	v_sub_u32_e32 v9, v18, v9
	v_mul_lo_u32 v8, s56, v5
	s_waitcnt lgkmcnt(0)
	v_mul_lo_u32 v10, s2, v9
	v_mul_lo_u32 v5, s57, v5
	v_add3_u32 v10, v8, v3, v10
	v_mul_lo_u32 v3, s0, v9
	s_add_i32 s20, s20, -4
	s_cmp_eq_u32 s20, -1
	v_add3_u32 v8, v5, v1, v3
	s_cbranch_scc1 .LBB29_41
; %bb.35:                               ;   in Loop: Header=BB29_18 Depth=2
	v_pk_mov_b32 v[12:13], v[20:21], v[20:21] op_sel:[0,1]
	s_branch .LBB29_18
.LBB29_36:                              ;   in Loop: Header=BB29_37 Depth=2
	s_or_b64 exec, exec, s[0:1]
	s_load_dword s28, s[28:29], 0x6c
	s_add_u32 s0, s42, s2
	s_addc_u32 s1, s43, s3
	s_load_dword s2, s[0:1], 0x0
	v_mul_lo_u32 v1, v12, s49
	v_sub_u32_e32 v1, v14, v1
	s_waitcnt lgkmcnt(0)
	v_mad_u64_u32 v[10:11], s[0:1], s28, v1, v[10:11]
	s_add_i32 s20, s20, -1
	s_xor_b32 s0, s47, s48
	s_add_i32 s48, s48, 1
	s_cmp_lg_u32 s0, 2
	v_mad_u64_u32 v[8:9], s[0:1], s2, v1, v[8:9]
	s_cbranch_scc0 .LBB29_17
.LBB29_37:                              ;   Parent Loop BB29_3 Depth=1
                                        ; =>  This Inner Loop Header: Depth=2
	s_lshl_b64 s[2:3], s[20:21], 2
	s_add_u32 s28, s33, s2
	s_addc_u32 s29, s38, s3
	s_load_dword s49, s[28:29], 0x8
	v_pk_mov_b32 v[14:15], v[12:13], v[12:13] op_sel:[0,1]
                                        ; implicit-def: $vgpr12_vgpr13
	s_waitcnt lgkmcnt(0)
	s_ashr_i32 s0, s49, 31
	v_or_b32_e32 v5, s0, v15
	v_cmp_ne_u64_e32 vcc, 0, v[4:5]
	s_and_saveexec_b64 s[30:31], vcc
	s_xor_b64 s[30:31], exec, s[30:31]
	s_cbranch_execz .LBB29_39
; %bb.38:                               ;   in Loop: Header=BB29_37 Depth=2
	s_add_u32 s36, s49, s0
	s_mov_b32 s34, s0
	s_mov_b32 s35, s0
	s_addc_u32 s37, s0, s0
	s_xor_b64 s[36:37], s[36:37], s[34:35]
	v_cvt_f32_u32_e32 v1, s36
	v_cvt_f32_u32_e32 v3, s37
	s_sub_u32 s0, 0, s36
	s_subb_u32 s1, 0, s37
	v_mac_f32_e32 v1, 0x4f800000, v3
	v_rcp_f32_e32 v1, v1
	v_mul_f32_e32 v1, 0x5f7ffffc, v1
	v_mul_f32_e32 v3, 0x2f800000, v1
	v_trunc_f32_e32 v3, v3
	v_mac_f32_e32 v1, 0xcf800000, v3
	v_cvt_u32_f32_e32 v3, v3
	v_cvt_u32_f32_e32 v1, v1
	v_mul_lo_u32 v5, s0, v3
	v_mul_hi_u32 v11, s0, v1
	v_mul_lo_u32 v9, s1, v1
	v_add_u32_e32 v5, v11, v5
	v_mul_lo_u32 v12, s0, v1
	v_add_u32_e32 v5, v5, v9
	v_mul_lo_u32 v11, v1, v5
	v_mul_hi_u32 v13, v1, v12
	v_mul_hi_u32 v9, v1, v5
	v_add_co_u32_e32 v11, vcc, v13, v11
	v_addc_co_u32_e32 v9, vcc, 0, v9, vcc
	v_mul_hi_u32 v16, v3, v12
	v_mul_lo_u32 v12, v3, v12
	v_add_co_u32_e32 v11, vcc, v11, v12
	v_mul_hi_u32 v13, v3, v5
	v_addc_co_u32_e32 v9, vcc, v9, v16, vcc
	v_addc_co_u32_e32 v11, vcc, 0, v13, vcc
	v_mul_lo_u32 v5, v3, v5
	v_add_co_u32_e32 v5, vcc, v9, v5
	v_addc_co_u32_e32 v9, vcc, 0, v11, vcc
	v_add_co_u32_e32 v1, vcc, v1, v5
	v_addc_co_u32_e32 v3, vcc, v3, v9, vcc
	v_mul_lo_u32 v5, s0, v3
	v_mul_hi_u32 v9, s0, v1
	v_add_u32_e32 v5, v9, v5
	v_mul_lo_u32 v9, s1, v1
	v_add_u32_e32 v5, v5, v9
	v_mul_lo_u32 v11, s0, v1
	v_mul_hi_u32 v12, v3, v11
	v_mul_lo_u32 v13, v3, v11
	v_mul_lo_u32 v17, v1, v5
	v_mul_hi_u32 v11, v1, v11
	v_mul_hi_u32 v16, v1, v5
	v_add_co_u32_e32 v11, vcc, v11, v17
	v_addc_co_u32_e32 v16, vcc, 0, v16, vcc
	v_add_co_u32_e32 v11, vcc, v11, v13
	v_mul_hi_u32 v9, v3, v5
	v_addc_co_u32_e32 v11, vcc, v16, v12, vcc
	v_addc_co_u32_e32 v9, vcc, 0, v9, vcc
	v_mul_lo_u32 v5, v3, v5
	v_add_co_u32_e32 v5, vcc, v11, v5
	v_addc_co_u32_e32 v9, vcc, 0, v9, vcc
	v_add_co_u32_e32 v1, vcc, v1, v5
	v_addc_co_u32_e32 v3, vcc, v3, v9, vcc
	v_ashrrev_i32_e32 v5, 31, v15
	v_add_co_u32_e32 v9, vcc, v14, v5
	v_xor_b32_e32 v9, v9, v5
	v_addc_co_u32_e32 v11, vcc, v15, v5, vcc
	v_mad_u64_u32 v[12:13], s[0:1], v9, v3, 0
	v_mul_hi_u32 v15, v9, v1
	v_xor_b32_e32 v11, v11, v5
	v_add_co_u32_e32 v15, vcc, v15, v12
	v_addc_co_u32_e32 v18, vcc, 0, v13, vcc
	v_mad_u64_u32 v[16:17], s[0:1], v11, v1, 0
	v_add_co_u32_e32 v1, vcc, v15, v16
	v_mad_u64_u32 v[12:13], s[0:1], v11, v3, 0
	v_addc_co_u32_e32 v1, vcc, v18, v17, vcc
	v_addc_co_u32_e32 v3, vcc, 0, v13, vcc
	v_add_co_u32_e32 v1, vcc, v1, v12
	v_addc_co_u32_e32 v3, vcc, 0, v3, vcc
	v_mul_lo_u32 v15, s37, v1
	v_mul_lo_u32 v16, s36, v3
	v_mad_u64_u32 v[12:13], s[0:1], s36, v1, 0
	v_add3_u32 v13, v13, v16, v15
	v_sub_u32_e32 v15, v11, v13
	v_mov_b32_e32 v16, s37
	v_sub_co_u32_e32 v9, vcc, v9, v12
	v_subb_co_u32_e64 v12, s[0:1], v15, v16, vcc
	v_subrev_co_u32_e64 v15, s[0:1], s36, v9
	v_subbrev_co_u32_e64 v12, s[0:1], 0, v12, s[0:1]
	v_cmp_le_u32_e64 s[0:1], s37, v12
	v_cndmask_b32_e64 v16, 0, -1, s[0:1]
	v_cmp_le_u32_e64 s[0:1], s36, v15
	v_cndmask_b32_e64 v15, 0, -1, s[0:1]
	v_cmp_eq_u32_e64 s[0:1], s37, v12
	v_cndmask_b32_e64 v12, v16, v15, s[0:1]
	v_add_co_u32_e64 v15, s[0:1], 2, v1
	v_subb_co_u32_e32 v11, vcc, v11, v13, vcc
	v_addc_co_u32_e64 v16, s[0:1], 0, v3, s[0:1]
	v_cmp_le_u32_e32 vcc, s37, v11
	v_add_co_u32_e64 v17, s[0:1], 1, v1
	v_cndmask_b32_e64 v13, 0, -1, vcc
	v_cmp_le_u32_e32 vcc, s36, v9
	v_addc_co_u32_e64 v18, s[0:1], 0, v3, s[0:1]
	v_cndmask_b32_e64 v9, 0, -1, vcc
	v_cmp_eq_u32_e32 vcc, s37, v11
	v_cmp_ne_u32_e64 s[0:1], 0, v12
	v_cndmask_b32_e32 v9, v13, v9, vcc
	v_cmp_ne_u32_e32 vcc, 0, v9
	v_cndmask_b32_e64 v9, v17, v15, s[0:1]
	v_cndmask_b32_e64 v12, v18, v16, s[0:1]
	v_cndmask_b32_e32 v1, v1, v9, vcc
	v_xor_b32_e32 v9, s35, v5
	v_xor_b32_e32 v5, s34, v5
	v_cndmask_b32_e32 v3, v3, v12, vcc
	v_xor_b32_e32 v1, v1, v5
	v_xor_b32_e32 v3, v3, v9
	v_sub_co_u32_e32 v12, vcc, v1, v5
	v_subb_co_u32_e32 v13, vcc, v3, v9, vcc
.LBB29_39:                              ;   in Loop: Header=BB29_37 Depth=2
	s_andn2_saveexec_b64 s[0:1], s[30:31]
	s_cbranch_execz .LBB29_36
; %bb.40:                               ;   in Loop: Header=BB29_37 Depth=2
	v_cvt_f32_u32_e32 v1, s49
	s_sub_i32 s30, 0, s49
	v_mov_b32_e32 v13, v4
	v_rcp_iflag_f32_e32 v1, v1
	v_mul_f32_e32 v1, 0x4f7ffffe, v1
	v_cvt_u32_f32_e32 v1, v1
	v_mul_lo_u32 v3, s30, v1
	v_mul_hi_u32 v3, v1, v3
	v_add_u32_e32 v1, v1, v3
	v_mul_hi_u32 v1, v14, v1
	v_mul_lo_u32 v3, v1, s49
	v_sub_u32_e32 v3, v14, v3
	v_add_u32_e32 v5, 1, v1
	v_subrev_u32_e32 v9, s49, v3
	v_cmp_le_u32_e32 vcc, s49, v3
	v_cndmask_b32_e32 v3, v3, v9, vcc
	v_cndmask_b32_e32 v1, v1, v5, vcc
	v_add_u32_e32 v5, 1, v1
	v_cmp_le_u32_e32 vcc, s49, v3
	v_cndmask_b32_e32 v12, v1, v5, vcc
	s_branch .LBB29_36
.LBB29_41:                              ;   in Loop: Header=BB29_3 Depth=1
	v_sub_u32_e32 v2, v0, v2
	v_mov_b32_e32 v1, v0
	v_ashrrev_i32_e32 v3, 31, v2
	v_cmp_ge_i64_e64 s[0:1], s[8:9], v[2:3]
	v_cmp_gt_i32_e32 vcc, s13, v1
	v_pk_mov_b32 v[0:1], 0, 0
	s_and_b64 s[0:1], s[0:1], vcc
	v_pk_mov_b32 v[2:3], v[0:1], v[0:1] op_sel:[0,1]
	s_and_saveexec_b64 s[2:3], s[0:1]
	s_cbranch_execz .LBB29_43
; %bb.42:                               ;   in Loop: Header=BB29_3 Depth=1
	v_ashrrev_i32_e32 v11, 31, v10
	v_lshlrev_b64 v[0:1], 4, v[10:11]
	v_mov_b32_e32 v2, s7
	v_add_co_u32_e64 v0, s[0:1], s6, v0
	v_addc_co_u32_e64 v1, s[0:1], v2, v1, s[0:1]
	global_load_dwordx4 v[0:3], v[0:1], off
.LBB29_43:                              ;   in Loop: Header=BB29_3 Depth=1
	s_or_b64 exec, exec, s[2:3]
	s_and_saveexec_b64 s[0:1], vcc
	s_cbranch_execz .LBB29_2
; %bb.44:                               ;   in Loop: Header=BB29_3 Depth=1
	v_ashrrev_i32_e32 v9, 31, v8
	v_lshlrev_b64 v[8:9], 4, v[8:9]
	v_mov_b32_e32 v5, s5
	v_add_co_u32_e32 v8, vcc, s4, v8
	v_addc_co_u32_e32 v9, vcc, v5, v9, vcc
	s_waitcnt vmcnt(0)
	global_store_dwordx4 v[8:9], v[0:3], off
	s_branch .LBB29_2
.LBB29_45:
	s_endpgm
	.section	.rodata,"a",@progbits
	.p2align	6, 0x0
	.amdhsa_kernel _ZN2at6native16triu_tril_kernelIN3c107complexIdEEiLb0ELi1ELb0EEEvNS_4cuda6detail10TensorInfoIT_T0_EENS7_IKS8_S9_EEllS9_
		.amdhsa_group_segment_fixed_size 0
		.amdhsa_private_segment_fixed_size 0
		.amdhsa_kernarg_size 712
		.amdhsa_user_sgpr_count 6
		.amdhsa_user_sgpr_private_segment_buffer 1
		.amdhsa_user_sgpr_dispatch_ptr 0
		.amdhsa_user_sgpr_queue_ptr 0
		.amdhsa_user_sgpr_kernarg_segment_ptr 1
		.amdhsa_user_sgpr_dispatch_id 0
		.amdhsa_user_sgpr_flat_scratch_init 0
		.amdhsa_user_sgpr_kernarg_preload_length 0
		.amdhsa_user_sgpr_kernarg_preload_offset 0
		.amdhsa_user_sgpr_private_segment_size 0
		.amdhsa_uses_dynamic_stack 0
		.amdhsa_system_sgpr_private_segment_wavefront_offset 0
		.amdhsa_system_sgpr_workgroup_id_x 1
		.amdhsa_system_sgpr_workgroup_id_y 0
		.amdhsa_system_sgpr_workgroup_id_z 0
		.amdhsa_system_sgpr_workgroup_info 0
		.amdhsa_system_vgpr_workitem_id 0
		.amdhsa_next_free_vgpr 26
		.amdhsa_next_free_sgpr 58
		.amdhsa_accum_offset 28
		.amdhsa_reserve_vcc 1
		.amdhsa_reserve_flat_scratch 0
		.amdhsa_float_round_mode_32 0
		.amdhsa_float_round_mode_16_64 0
		.amdhsa_float_denorm_mode_32 3
		.amdhsa_float_denorm_mode_16_64 3
		.amdhsa_dx10_clamp 1
		.amdhsa_ieee_mode 1
		.amdhsa_fp16_overflow 0
		.amdhsa_tg_split 0
		.amdhsa_exception_fp_ieee_invalid_op 0
		.amdhsa_exception_fp_denorm_src 0
		.amdhsa_exception_fp_ieee_div_zero 0
		.amdhsa_exception_fp_ieee_overflow 0
		.amdhsa_exception_fp_ieee_underflow 0
		.amdhsa_exception_fp_ieee_inexact 0
		.amdhsa_exception_int_div_zero 0
	.end_amdhsa_kernel
	.section	.text._ZN2at6native16triu_tril_kernelIN3c107complexIdEEiLb0ELi1ELb0EEEvNS_4cuda6detail10TensorInfoIT_T0_EENS7_IKS8_S9_EEllS9_,"axG",@progbits,_ZN2at6native16triu_tril_kernelIN3c107complexIdEEiLb0ELi1ELb0EEEvNS_4cuda6detail10TensorInfoIT_T0_EENS7_IKS8_S9_EEllS9_,comdat
.Lfunc_end29:
	.size	_ZN2at6native16triu_tril_kernelIN3c107complexIdEEiLb0ELi1ELb0EEEvNS_4cuda6detail10TensorInfoIT_T0_EENS7_IKS8_S9_EEllS9_, .Lfunc_end29-_ZN2at6native16triu_tril_kernelIN3c107complexIdEEiLb0ELi1ELb0EEEvNS_4cuda6detail10TensorInfoIT_T0_EENS7_IKS8_S9_EEllS9_
                                        ; -- End function
	.section	.AMDGPU.csdata,"",@progbits
; Kernel info:
; codeLenInByte = 7444
; NumSgprs: 62
; NumVgprs: 26
; NumAgprs: 0
; TotalNumVgprs: 26
; ScratchSize: 0
; MemoryBound: 1
; FloatMode: 240
; IeeeMode: 1
; LDSByteSize: 0 bytes/workgroup (compile time only)
; SGPRBlocks: 7
; VGPRBlocks: 3
; NumSGPRsForWavesPerEU: 62
; NumVGPRsForWavesPerEU: 26
; AccumOffset: 28
; Occupancy: 8
; WaveLimiterHint : 0
; COMPUTE_PGM_RSRC2:SCRATCH_EN: 0
; COMPUTE_PGM_RSRC2:USER_SGPR: 6
; COMPUTE_PGM_RSRC2:TRAP_HANDLER: 0
; COMPUTE_PGM_RSRC2:TGID_X_EN: 1
; COMPUTE_PGM_RSRC2:TGID_Y_EN: 0
; COMPUTE_PGM_RSRC2:TGID_Z_EN: 0
; COMPUTE_PGM_RSRC2:TIDIG_COMP_CNT: 0
; COMPUTE_PGM_RSRC3_GFX90A:ACCUM_OFFSET: 6
; COMPUTE_PGM_RSRC3_GFX90A:TG_SPLIT: 0
	.section	.text._ZN2at6native16triu_tril_kernelIN3c107complexIdEElLb0ELi1ELb1EEEvNS_4cuda6detail10TensorInfoIT_T0_EENS7_IKS8_S9_EEllS9_,"axG",@progbits,_ZN2at6native16triu_tril_kernelIN3c107complexIdEElLb0ELi1ELb1EEEvNS_4cuda6detail10TensorInfoIT_T0_EENS7_IKS8_S9_EEllS9_,comdat
	.protected	_ZN2at6native16triu_tril_kernelIN3c107complexIdEElLb0ELi1ELb1EEEvNS_4cuda6detail10TensorInfoIT_T0_EENS7_IKS8_S9_EEllS9_ ; -- Begin function _ZN2at6native16triu_tril_kernelIN3c107complexIdEElLb0ELi1ELb1EEEvNS_4cuda6detail10TensorInfoIT_T0_EENS7_IKS8_S9_EEllS9_
	.globl	_ZN2at6native16triu_tril_kernelIN3c107complexIdEElLb0ELi1ELb1EEEvNS_4cuda6detail10TensorInfoIT_T0_EENS7_IKS8_S9_EEllS9_
	.p2align	8
	.type	_ZN2at6native16triu_tril_kernelIN3c107complexIdEElLb0ELi1ELb1EEEvNS_4cuda6detail10TensorInfoIT_T0_EENS7_IKS8_S9_EEllS9_,@function
_ZN2at6native16triu_tril_kernelIN3c107complexIdEElLb0ELi1ELb1EEEvNS_4cuda6detail10TensorInfoIT_T0_EENS7_IKS8_S9_EEllS9_: ; @_ZN2at6native16triu_tril_kernelIN3c107complexIdEElLb0ELi1ELb1EEEvNS_4cuda6detail10TensorInfoIT_T0_EENS7_IKS8_S9_EEllS9_
; %bb.0:
	s_load_dword s2, s[4:5], 0x364
	s_load_dwordx4 s[8:11], s[4:5], 0x340
	s_add_u32 s0, s4, 0x358
	v_mov_b32_e32 v2, 0
	s_addc_u32 s1, s5, 0
	s_waitcnt lgkmcnt(0)
	s_and_b32 s20, s2, 0xffff
	v_mov_b32_e32 v1, v2
	v_mov_b32_e32 v3, s6
	v_mad_u64_u32 v[0:1], s[2:3], s20, v3, v[0:1]
	v_cmp_gt_i64_e32 vcc, s[10:11], v[0:1]
	s_and_saveexec_b64 s[2:3], vcc
	s_cbranch_execz .LBB30_20
; %bb.1:
	s_load_dword s18, s[4:5], 0x338
	s_load_dwordx2 s[2:3], s[4:5], 0x350
	s_load_dword s21, s[0:1], 0x0
	s_load_dwordx2 s[6:7], s[4:5], 0x0
	s_mov_b32 s46, 0
	s_waitcnt lgkmcnt(0)
	s_ashr_i32 s19, s18, 31
	s_add_u32 s24, s4, 0x1a8
	s_addc_u32 s25, s5, 0
	s_lshl_b64 s[0:1], s[18:19], 3
	s_add_u32 s16, s0, -16
	s_addc_u32 s17, s1, -1
	s_add_u32 s14, s24, s16
	s_addc_u32 s15, s25, s17
	v_cmp_gt_i64_e64 s[12:13], s[18:19], 2
	s_add_u32 s19, s0, -8
	s_addc_u32 s22, s1, -1
	s_add_u32 s26, s4, 0xd0
	s_addc_u32 s27, s5, 0
	s_add_u32 s4, s26, s19
	v_cvt_f32_u32_e32 v3, s2
	s_addc_u32 s5, s27, s22
	s_add_u32 s16, s26, s16
	s_addc_u32 s17, s27, s17
	s_add_i32 s0, s18, -3
	s_ashr_i32 s1, s0, 31
	v_rcp_iflag_f32_e32 v3, v3
	s_add_u32 s18, s24, s19
	s_addc_u32 s19, s25, s22
	s_lshl_b64 s[22:23], s[0:1], 3
	s_mul_i32 s33, s21, s20
	s_add_u32 s20, s26, s22
	s_load_dwordx2 s[14:15], s[14:15], 0x0
	s_addc_u32 s21, s27, s23
	v_mul_f32_e32 v3, 0x4f7ffffe, v3
	s_add_u32 s22, s24, s22
	v_cvt_u32_f32_e32 v14, v3
	s_addc_u32 s23, s25, s23
	s_add_u32 s24, s0, 1
	s_addc_u32 s25, s1, 0
	s_mov_b64 s[26:27], 0
	s_branch .LBB30_3
.LBB30_2:                               ;   in Loop: Header=BB30_3 Depth=1
	s_or_b64 exec, exec, s[28:29]
	v_mov_b32_e32 v3, s46
	v_add_co_u32_e32 v0, vcc, s33, v0
	v_addc_co_u32_e32 v1, vcc, v1, v3, vcc
	v_cmp_le_i64_e32 vcc, s[10:11], v[0:1]
	s_or_b64 s[26:27], vcc, s[26:27]
	s_andn2_b64 exec, exec, s[26:27]
	s_cbranch_execz .LBB30_20
.LBB30_3:                               ; =>This Loop Header: Depth=1
                                        ;     Child Loop BB30_16 Depth 2
	v_or_b32_e32 v3, s3, v1
	v_cmp_ne_u64_e32 vcc, 0, v[2:3]
                                        ; implicit-def: $vgpr8_vgpr9
	s_and_saveexec_b64 s[0:1], vcc
	s_xor_b64 s[28:29], exec, s[0:1]
	s_cbranch_execz .LBB30_5
; %bb.4:                                ;   in Loop: Header=BB30_3 Depth=1
	s_ashr_i32 s30, s3, 31
	s_add_u32 s0, s2, s30
	s_mov_b32 s31, s30
	s_addc_u32 s1, s3, s30
	s_xor_b64 s[34:35], s[0:1], s[30:31]
	v_cvt_f32_u32_e32 v3, s34
	v_cvt_f32_u32_e32 v4, s35
	s_sub_u32 s0, 0, s34
	s_subb_u32 s1, 0, s35
	v_mac_f32_e32 v3, 0x4f800000, v4
	v_rcp_f32_e32 v3, v3
	v_mul_f32_e32 v3, 0x5f7ffffc, v3
	v_mul_f32_e32 v4, 0x2f800000, v3
	v_trunc_f32_e32 v4, v4
	v_mac_f32_e32 v3, 0xcf800000, v4
	v_cvt_u32_f32_e32 v4, v4
	v_cvt_u32_f32_e32 v3, v3
	v_mul_lo_u32 v5, s0, v4
	v_mul_hi_u32 v7, s0, v3
	v_mul_lo_u32 v6, s1, v3
	v_add_u32_e32 v5, v7, v5
	v_mul_lo_u32 v8, s0, v3
	v_add_u32_e32 v5, v5, v6
	v_mul_lo_u32 v7, v3, v5
	v_mul_hi_u32 v9, v3, v8
	v_mul_hi_u32 v6, v3, v5
	v_add_co_u32_e32 v7, vcc, v9, v7
	v_addc_co_u32_e32 v6, vcc, 0, v6, vcc
	v_mul_hi_u32 v10, v4, v8
	v_mul_lo_u32 v8, v4, v8
	v_add_co_u32_e32 v7, vcc, v7, v8
	v_mul_hi_u32 v9, v4, v5
	v_addc_co_u32_e32 v6, vcc, v6, v10, vcc
	v_addc_co_u32_e32 v7, vcc, 0, v9, vcc
	v_mul_lo_u32 v5, v4, v5
	v_add_co_u32_e32 v5, vcc, v6, v5
	v_addc_co_u32_e32 v6, vcc, 0, v7, vcc
	v_add_co_u32_e32 v3, vcc, v3, v5
	v_addc_co_u32_e32 v4, vcc, v4, v6, vcc
	v_mul_lo_u32 v5, s0, v4
	v_mul_hi_u32 v6, s0, v3
	v_add_u32_e32 v5, v6, v5
	v_mul_lo_u32 v6, s1, v3
	v_add_u32_e32 v5, v5, v6
	v_mul_lo_u32 v7, s0, v3
	v_mul_hi_u32 v8, v4, v7
	v_mul_lo_u32 v9, v4, v7
	v_mul_lo_u32 v11, v3, v5
	v_mul_hi_u32 v7, v3, v7
	v_mul_hi_u32 v10, v3, v5
	v_add_co_u32_e32 v7, vcc, v7, v11
	v_addc_co_u32_e32 v10, vcc, 0, v10, vcc
	v_add_co_u32_e32 v7, vcc, v7, v9
	v_mul_hi_u32 v6, v4, v5
	v_addc_co_u32_e32 v7, vcc, v10, v8, vcc
	v_addc_co_u32_e32 v6, vcc, 0, v6, vcc
	v_mul_lo_u32 v5, v4, v5
	v_add_co_u32_e32 v5, vcc, v7, v5
	v_addc_co_u32_e32 v6, vcc, 0, v6, vcc
	v_add_co_u32_e32 v3, vcc, v3, v5
	v_addc_co_u32_e32 v6, vcc, v4, v6, vcc
	v_ashrrev_i32_e32 v8, 31, v1
	v_add_co_u32_e32 v4, vcc, v0, v8
	v_addc_co_u32_e32 v5, vcc, v1, v8, vcc
	v_xor_b32_e32 v10, v4, v8
	v_xor_b32_e32 v9, v5, v8
	v_mad_u64_u32 v[4:5], s[0:1], v10, v6, 0
	v_mul_hi_u32 v7, v10, v3
	v_add_co_u32_e32 v11, vcc, v7, v4
	v_addc_co_u32_e32 v12, vcc, 0, v5, vcc
	v_mad_u64_u32 v[4:5], s[0:1], v9, v6, 0
	v_mad_u64_u32 v[6:7], s[0:1], v9, v3, 0
	v_add_co_u32_e32 v3, vcc, v11, v6
	v_addc_co_u32_e32 v3, vcc, v12, v7, vcc
	v_addc_co_u32_e32 v5, vcc, 0, v5, vcc
	v_add_co_u32_e32 v3, vcc, v3, v4
	v_addc_co_u32_e32 v6, vcc, 0, v5, vcc
	v_mul_lo_u32 v7, s35, v3
	v_mul_lo_u32 v11, s34, v6
	v_mad_u64_u32 v[4:5], s[0:1], s34, v3, 0
	v_add3_u32 v5, v5, v11, v7
	v_sub_u32_e32 v7, v9, v5
	v_mov_b32_e32 v11, s35
	v_sub_co_u32_e32 v4, vcc, v10, v4
	v_subb_co_u32_e64 v7, s[0:1], v7, v11, vcc
	v_subrev_co_u32_e64 v10, s[0:1], s34, v4
	v_subbrev_co_u32_e64 v7, s[0:1], 0, v7, s[0:1]
	v_cmp_le_u32_e64 s[0:1], s35, v7
	v_cndmask_b32_e64 v11, 0, -1, s[0:1]
	v_cmp_le_u32_e64 s[0:1], s34, v10
	v_cndmask_b32_e64 v10, 0, -1, s[0:1]
	v_cmp_eq_u32_e64 s[0:1], s35, v7
	v_cndmask_b32_e64 v7, v11, v10, s[0:1]
	v_add_co_u32_e64 v10, s[0:1], 2, v3
	v_subb_co_u32_e32 v5, vcc, v9, v5, vcc
	v_addc_co_u32_e64 v11, s[0:1], 0, v6, s[0:1]
	v_cmp_le_u32_e32 vcc, s35, v5
	v_add_co_u32_e64 v12, s[0:1], 1, v3
	v_cndmask_b32_e64 v9, 0, -1, vcc
	v_cmp_le_u32_e32 vcc, s34, v4
	v_addc_co_u32_e64 v13, s[0:1], 0, v6, s[0:1]
	v_cndmask_b32_e64 v4, 0, -1, vcc
	v_cmp_eq_u32_e32 vcc, s35, v5
	v_cmp_ne_u32_e64 s[0:1], 0, v7
	v_cndmask_b32_e32 v4, v9, v4, vcc
	v_cmp_ne_u32_e32 vcc, 0, v4
	v_cndmask_b32_e64 v5, v12, v10, s[0:1]
	v_cndmask_b32_e64 v7, v13, v11, s[0:1]
	v_cndmask_b32_e32 v3, v3, v5, vcc
	v_xor_b32_e32 v5, s30, v8
	v_cndmask_b32_e32 v4, v6, v7, vcc
	v_xor_b32_e32 v3, v3, v5
	v_xor_b32_e32 v4, v4, v5
	v_sub_co_u32_e32 v8, vcc, v3, v5
	v_subb_co_u32_e32 v9, vcc, v4, v5, vcc
.LBB30_5:                               ;   in Loop: Header=BB30_3 Depth=1
	s_andn2_saveexec_b64 s[0:1], s[28:29]
	s_cbranch_execz .LBB30_7
; %bb.6:                                ;   in Loop: Header=BB30_3 Depth=1
	s_sub_i32 s28, 0, s2
	v_mul_lo_u32 v3, s28, v14
	v_mul_hi_u32 v3, v14, v3
	v_add_u32_e32 v3, v14, v3
	v_mul_hi_u32 v3, v0, v3
	v_mul_lo_u32 v4, v3, s2
	v_sub_u32_e32 v4, v0, v4
	v_subrev_u32_e32 v5, s2, v4
	v_cmp_le_u32_e32 vcc, s2, v4
	v_cndmask_b32_e32 v4, v4, v5, vcc
	v_add_u32_e32 v5, 1, v3
	v_cndmask_b32_e32 v3, v3, v5, vcc
	v_add_u32_e32 v5, 1, v3
	v_cmp_le_u32_e32 vcc, s2, v4
	v_cndmask_b32_e32 v8, v3, v5, vcc
	v_mov_b32_e32 v9, v2
.LBB30_7:                               ;   in Loop: Header=BB30_3 Depth=1
	s_or_b64 exec, exec, s[0:1]
	s_waitcnt lgkmcnt(0)
	v_or_b32_e32 v3, s15, v9
	v_cmp_ne_u64_e32 vcc, 0, v[2:3]
                                        ; implicit-def: $vgpr4_vgpr5
	s_and_saveexec_b64 s[0:1], vcc
	s_xor_b64 s[28:29], exec, s[0:1]
	s_cbranch_execz .LBB30_9
; %bb.8:                                ;   in Loop: Header=BB30_3 Depth=1
	s_ashr_i32 s30, s15, 31
	s_add_u32 s0, s14, s30
	s_mov_b32 s31, s30
	s_addc_u32 s1, s15, s30
	s_xor_b64 s[34:35], s[0:1], s[30:31]
	v_cvt_f32_u32_e32 v3, s34
	v_cvt_f32_u32_e32 v4, s35
	s_sub_u32 s0, 0, s34
	s_subb_u32 s1, 0, s35
	v_mac_f32_e32 v3, 0x4f800000, v4
	v_rcp_f32_e32 v3, v3
	v_mul_f32_e32 v3, 0x5f7ffffc, v3
	v_mul_f32_e32 v4, 0x2f800000, v3
	v_trunc_f32_e32 v4, v4
	v_mac_f32_e32 v3, 0xcf800000, v4
	v_cvt_u32_f32_e32 v4, v4
	v_cvt_u32_f32_e32 v3, v3
	v_mul_lo_u32 v5, s0, v4
	v_mul_hi_u32 v7, s0, v3
	v_mul_lo_u32 v6, s1, v3
	v_add_u32_e32 v5, v7, v5
	v_mul_lo_u32 v10, s0, v3
	v_add_u32_e32 v5, v5, v6
	v_mul_lo_u32 v7, v3, v5
	v_mul_hi_u32 v11, v3, v10
	v_mul_hi_u32 v6, v3, v5
	v_add_co_u32_e32 v7, vcc, v11, v7
	v_addc_co_u32_e32 v6, vcc, 0, v6, vcc
	v_mul_hi_u32 v12, v4, v10
	v_mul_lo_u32 v10, v4, v10
	v_add_co_u32_e32 v7, vcc, v7, v10
	v_mul_hi_u32 v11, v4, v5
	v_addc_co_u32_e32 v6, vcc, v6, v12, vcc
	v_addc_co_u32_e32 v7, vcc, 0, v11, vcc
	v_mul_lo_u32 v5, v4, v5
	v_add_co_u32_e32 v5, vcc, v6, v5
	v_addc_co_u32_e32 v6, vcc, 0, v7, vcc
	v_add_co_u32_e32 v3, vcc, v3, v5
	v_addc_co_u32_e32 v4, vcc, v4, v6, vcc
	v_mul_lo_u32 v5, s0, v4
	v_mul_hi_u32 v6, s0, v3
	v_add_u32_e32 v5, v6, v5
	v_mul_lo_u32 v6, s1, v3
	v_add_u32_e32 v5, v5, v6
	v_mul_lo_u32 v7, s0, v3
	v_mul_hi_u32 v10, v4, v7
	v_mul_lo_u32 v11, v4, v7
	v_mul_lo_u32 v13, v3, v5
	v_mul_hi_u32 v7, v3, v7
	v_mul_hi_u32 v12, v3, v5
	v_add_co_u32_e32 v7, vcc, v7, v13
	v_addc_co_u32_e32 v12, vcc, 0, v12, vcc
	v_add_co_u32_e32 v7, vcc, v7, v11
	v_mul_hi_u32 v6, v4, v5
	v_addc_co_u32_e32 v7, vcc, v12, v10, vcc
	v_addc_co_u32_e32 v6, vcc, 0, v6, vcc
	v_mul_lo_u32 v5, v4, v5
	v_add_co_u32_e32 v5, vcc, v7, v5
	v_addc_co_u32_e32 v6, vcc, 0, v6, vcc
	v_add_co_u32_e32 v3, vcc, v3, v5
	v_addc_co_u32_e32 v6, vcc, v4, v6, vcc
	v_ashrrev_i32_e32 v10, 31, v9
	v_add_co_u32_e32 v4, vcc, v8, v10
	v_addc_co_u32_e32 v5, vcc, v9, v10, vcc
	v_xor_b32_e32 v12, v4, v10
	v_xor_b32_e32 v11, v5, v10
	v_mad_u64_u32 v[4:5], s[0:1], v12, v6, 0
	v_mul_hi_u32 v7, v12, v3
	v_add_co_u32_e32 v13, vcc, v7, v4
	v_addc_co_u32_e32 v15, vcc, 0, v5, vcc
	v_mad_u64_u32 v[4:5], s[0:1], v11, v6, 0
	v_mad_u64_u32 v[6:7], s[0:1], v11, v3, 0
	v_add_co_u32_e32 v3, vcc, v13, v6
	v_addc_co_u32_e32 v3, vcc, v15, v7, vcc
	v_addc_co_u32_e32 v5, vcc, 0, v5, vcc
	v_add_co_u32_e32 v3, vcc, v3, v4
	v_addc_co_u32_e32 v6, vcc, 0, v5, vcc
	v_mul_lo_u32 v7, s35, v3
	v_mul_lo_u32 v13, s34, v6
	v_mad_u64_u32 v[4:5], s[0:1], s34, v3, 0
	v_add3_u32 v5, v5, v13, v7
	v_sub_u32_e32 v7, v11, v5
	v_mov_b32_e32 v13, s35
	v_sub_co_u32_e32 v4, vcc, v12, v4
	v_subb_co_u32_e64 v7, s[0:1], v7, v13, vcc
	v_subrev_co_u32_e64 v12, s[0:1], s34, v4
	v_subbrev_co_u32_e64 v7, s[0:1], 0, v7, s[0:1]
	v_cmp_le_u32_e64 s[0:1], s35, v7
	v_cndmask_b32_e64 v13, 0, -1, s[0:1]
	v_cmp_le_u32_e64 s[0:1], s34, v12
	v_cndmask_b32_e64 v12, 0, -1, s[0:1]
	v_cmp_eq_u32_e64 s[0:1], s35, v7
	v_cndmask_b32_e64 v7, v13, v12, s[0:1]
	v_add_co_u32_e64 v12, s[0:1], 2, v3
	v_subb_co_u32_e32 v5, vcc, v11, v5, vcc
	v_addc_co_u32_e64 v13, s[0:1], 0, v6, s[0:1]
	v_cmp_le_u32_e32 vcc, s35, v5
	v_add_co_u32_e64 v15, s[0:1], 1, v3
	v_cndmask_b32_e64 v11, 0, -1, vcc
	v_cmp_le_u32_e32 vcc, s34, v4
	v_addc_co_u32_e64 v16, s[0:1], 0, v6, s[0:1]
	v_cndmask_b32_e64 v4, 0, -1, vcc
	v_cmp_eq_u32_e32 vcc, s35, v5
	v_cmp_ne_u32_e64 s[0:1], 0, v7
	v_cndmask_b32_e32 v4, v11, v4, vcc
	v_cmp_ne_u32_e32 vcc, 0, v4
	v_cndmask_b32_e64 v5, v15, v12, s[0:1]
	v_cndmask_b32_e64 v7, v16, v13, s[0:1]
	v_cndmask_b32_e32 v3, v3, v5, vcc
	v_xor_b32_e32 v5, s30, v10
	v_cndmask_b32_e32 v4, v6, v7, vcc
	v_xor_b32_e32 v3, v3, v5
	v_xor_b32_e32 v6, v4, v5
	v_sub_co_u32_e32 v4, vcc, v3, v5
	v_subb_co_u32_e32 v5, vcc, v6, v5, vcc
.LBB30_9:                               ;   in Loop: Header=BB30_3 Depth=1
	s_andn2_saveexec_b64 s[0:1], s[28:29]
	s_cbranch_execz .LBB30_11
; %bb.10:                               ;   in Loop: Header=BB30_3 Depth=1
	v_cvt_f32_u32_e32 v3, s14
	s_sub_i32 s28, 0, s14
	v_rcp_iflag_f32_e32 v3, v3
	v_mul_f32_e32 v3, 0x4f7ffffe, v3
	v_cvt_u32_f32_e32 v3, v3
	v_mul_lo_u32 v4, s28, v3
	v_mul_hi_u32 v4, v3, v4
	v_add_u32_e32 v3, v3, v4
	v_mul_hi_u32 v3, v8, v3
	v_mul_lo_u32 v4, v3, s14
	v_sub_u32_e32 v4, v8, v4
	v_add_u32_e32 v5, 1, v3
	v_subrev_u32_e32 v6, s14, v4
	v_cmp_le_u32_e32 vcc, s14, v4
	v_cndmask_b32_e32 v4, v4, v6, vcc
	v_cndmask_b32_e32 v3, v3, v5, vcc
	v_add_u32_e32 v5, 1, v3
	v_cmp_le_u32_e32 vcc, s14, v4
	v_cndmask_b32_e32 v4, v3, v5, vcc
	v_mov_b32_e32 v5, v2
.LBB30_11:                              ;   in Loop: Header=BB30_3 Depth=1
	s_or_b64 exec, exec, s[0:1]
	v_mul_lo_u32 v3, v9, s2
	v_mul_lo_u32 v10, v8, s3
	v_mad_u64_u32 v[6:7], s[0:1], v8, s2, 0
	v_add3_u32 v3, v7, v10, v3
	v_sub_co_u32_e32 v6, vcc, v0, v6
	v_subb_co_u32_e32 v7, vcc, v1, v3, vcc
	v_mul_lo_u32 v3, v5, s14
	v_mul_lo_u32 v12, v4, s15
	v_mad_u64_u32 v[10:11], s[0:1], v4, s14, 0
	v_add3_u32 v11, v11, v12, v3
	v_sub_co_u32_e32 v3, vcc, v8, v10
	v_subb_co_u32_e32 v12, vcc, v9, v11, vcc
	v_sub_co_u32_e32 v8, vcc, v6, v3
	v_subb_co_u32_e32 v9, vcc, v7, v12, vcc
	v_add_co_u32_e32 v10, vcc, 1, v8
	v_addc_co_u32_e32 v11, vcc, 0, v9, vcc
	v_cmp_lt_i64_e32 vcc, s[8:9], v[10:11]
	s_and_saveexec_b64 s[28:29], vcc
	s_cbranch_execz .LBB30_2
; %bb.12:                               ;   in Loop: Header=BB30_3 Depth=1
	s_load_dwordx2 s[0:1], s[4:5], 0x0
	s_load_dwordx2 s[30:31], s[16:17], 0x0
	s_andn2_b64 vcc, exec, s[12:13]
	s_mov_b64 s[34:35], s[22:23]
	s_mov_b64 s[36:37], s[20:21]
	s_waitcnt lgkmcnt(0)
	v_mul_lo_u32 v13, s1, v6
	v_mul_lo_u32 v15, s0, v7
	v_mad_u64_u32 v[10:11], s[0:1], s0, v6, 0
	v_add3_u32 v11, v11, v15, v13
	v_mad_u64_u32 v[10:11], s[0:1], s30, v3, v[10:11]
	v_mul_lo_u32 v12, s30, v12
	v_mul_lo_u32 v3, s31, v3
	v_add3_u32 v11, v3, v11, v12
	s_mov_b64 s[30:31], s[24:25]
	s_cbranch_vccz .LBB30_16
.LBB30_13:                              ;   in Loop: Header=BB30_3 Depth=1
	s_load_dwordx2 s[0:1], s[18:19], 0x0
	s_waitcnt lgkmcnt(0)
	v_cmp_gt_i64_e32 vcc, s[0:1], v[6:7]
	v_cmp_lt_i64_e64 s[0:1], s[8:9], v[8:9]
	s_and_b64 s[0:1], vcc, s[0:1]
	s_and_b64 exec, exec, s[0:1]
	s_cbranch_execz .LBB30_2
; %bb.14:                               ;   in Loop: Header=BB30_3 Depth=1
	v_lshlrev_b64 v[4:5], 4, v[10:11]
	v_mov_b32_e32 v3, s7
	v_add_co_u32_e32 v6, vcc, s6, v4
	v_addc_co_u32_e32 v7, vcc, v3, v5, vcc
	v_mov_b32_e32 v3, v2
	v_mov_b32_e32 v4, v2
	;; [unrolled: 1-line block ×3, first 2 shown]
	global_store_dwordx4 v[6:7], v[2:5], off
	s_branch .LBB30_2
.LBB30_15:                              ;   in Loop: Header=BB30_16 Depth=2
	s_or_b64 exec, exec, s[0:1]
	v_mad_u64_u32 v[16:17], s[0:1], v12, s38, 0
	s_load_dwordx2 s[0:1], s[36:37], 0x0
	s_add_u32 s36, s36, -8
	s_addc_u32 s37, s37, -1
	v_mul_lo_u32 v3, v13, s38
	v_mul_lo_u32 v15, v12, s39
	s_add_u32 s34, s34, -8
	v_add3_u32 v3, v17, v15, v3
	v_sub_co_u32_e32 v4, vcc, v4, v16
	s_addc_u32 s35, s35, -1
	v_subb_co_u32_e32 v3, vcc, v5, v3, vcc
	s_add_u32 s30, s30, -1
	s_waitcnt lgkmcnt(0)
	v_mul_lo_u32 v3, s0, v3
	v_mul_lo_u32 v5, s1, v4
	v_mad_u64_u32 v[10:11], s[0:1], s0, v4, v[10:11]
	s_addc_u32 s31, s31, -1
	v_cmp_gt_i64_e64 s[0:1], s[30:31], 0
	v_add3_u32 v11, v5, v11, v3
	s_and_b64 vcc, exec, s[0:1]
	v_pk_mov_b32 v[4:5], v[12:13], v[12:13] op_sel:[0,1]
	s_cbranch_vccz .LBB30_13
.LBB30_16:                              ;   Parent Loop BB30_3 Depth=1
                                        ; =>  This Inner Loop Header: Depth=2
	s_load_dwordx2 s[38:39], s[34:35], 0x0
                                        ; implicit-def: $vgpr12_vgpr13
	s_waitcnt lgkmcnt(0)
	v_or_b32_e32 v3, s39, v5
	v_cmp_ne_u64_e32 vcc, 0, v[2:3]
	s_and_saveexec_b64 s[0:1], vcc
	s_xor_b64 s[40:41], exec, s[0:1]
	s_cbranch_execz .LBB30_18
; %bb.17:                               ;   in Loop: Header=BB30_16 Depth=2
	s_ashr_i32 s42, s39, 31
	s_add_u32 s0, s38, s42
	s_mov_b32 s43, s42
	s_addc_u32 s1, s39, s42
	s_xor_b64 s[44:45], s[0:1], s[42:43]
	v_cvt_f32_u32_e32 v3, s44
	v_cvt_f32_u32_e32 v12, s45
	s_sub_u32 s0, 0, s44
	s_subb_u32 s1, 0, s45
	v_mac_f32_e32 v3, 0x4f800000, v12
	v_rcp_f32_e32 v3, v3
	v_mul_f32_e32 v3, 0x5f7ffffc, v3
	v_mul_f32_e32 v12, 0x2f800000, v3
	v_trunc_f32_e32 v12, v12
	v_mac_f32_e32 v3, 0xcf800000, v12
	v_cvt_u32_f32_e32 v12, v12
	v_cvt_u32_f32_e32 v3, v3
	v_mul_lo_u32 v13, s0, v12
	v_mul_hi_u32 v16, s0, v3
	v_mul_lo_u32 v15, s1, v3
	v_add_u32_e32 v13, v16, v13
	v_mul_lo_u32 v17, s0, v3
	v_add_u32_e32 v13, v13, v15
	v_mul_lo_u32 v16, v3, v13
	v_mul_hi_u32 v18, v3, v17
	v_mul_hi_u32 v15, v3, v13
	v_add_co_u32_e32 v16, vcc, v18, v16
	v_addc_co_u32_e32 v15, vcc, 0, v15, vcc
	v_mul_hi_u32 v19, v12, v17
	v_mul_lo_u32 v17, v12, v17
	v_add_co_u32_e32 v16, vcc, v16, v17
	v_mul_hi_u32 v18, v12, v13
	v_addc_co_u32_e32 v15, vcc, v15, v19, vcc
	v_addc_co_u32_e32 v16, vcc, 0, v18, vcc
	v_mul_lo_u32 v13, v12, v13
	v_add_co_u32_e32 v13, vcc, v15, v13
	v_addc_co_u32_e32 v15, vcc, 0, v16, vcc
	v_add_co_u32_e32 v3, vcc, v3, v13
	v_addc_co_u32_e32 v12, vcc, v12, v15, vcc
	v_mul_lo_u32 v13, s0, v12
	v_mul_hi_u32 v15, s0, v3
	v_add_u32_e32 v13, v15, v13
	v_mul_lo_u32 v15, s1, v3
	v_add_u32_e32 v13, v13, v15
	v_mul_lo_u32 v16, s0, v3
	v_mul_hi_u32 v17, v12, v16
	v_mul_lo_u32 v18, v12, v16
	v_mul_lo_u32 v20, v3, v13
	v_mul_hi_u32 v16, v3, v16
	v_mul_hi_u32 v19, v3, v13
	v_add_co_u32_e32 v16, vcc, v16, v20
	v_addc_co_u32_e32 v19, vcc, 0, v19, vcc
	v_add_co_u32_e32 v16, vcc, v16, v18
	v_mul_hi_u32 v15, v12, v13
	v_addc_co_u32_e32 v16, vcc, v19, v17, vcc
	v_addc_co_u32_e32 v15, vcc, 0, v15, vcc
	v_mul_lo_u32 v13, v12, v13
	v_add_co_u32_e32 v13, vcc, v16, v13
	v_addc_co_u32_e32 v15, vcc, 0, v15, vcc
	v_add_co_u32_e32 v3, vcc, v3, v13
	v_addc_co_u32_e32 v15, vcc, v12, v15, vcc
	v_ashrrev_i32_e32 v18, 31, v5
	v_add_co_u32_e32 v12, vcc, v4, v18
	v_addc_co_u32_e32 v13, vcc, v5, v18, vcc
	v_xor_b32_e32 v20, v12, v18
	v_xor_b32_e32 v19, v13, v18
	v_mad_u64_u32 v[12:13], s[0:1], v20, v15, 0
	v_mul_hi_u32 v16, v20, v3
	v_add_co_u32_e32 v21, vcc, v16, v12
	v_addc_co_u32_e32 v22, vcc, 0, v13, vcc
	v_mad_u64_u32 v[16:17], s[0:1], v19, v3, 0
	v_add_co_u32_e32 v3, vcc, v21, v16
	v_mad_u64_u32 v[12:13], s[0:1], v19, v15, 0
	v_addc_co_u32_e32 v3, vcc, v22, v17, vcc
	v_addc_co_u32_e32 v13, vcc, 0, v13, vcc
	v_add_co_u32_e32 v3, vcc, v3, v12
	v_addc_co_u32_e32 v15, vcc, 0, v13, vcc
	v_mul_lo_u32 v16, s45, v3
	v_mul_lo_u32 v17, s44, v15
	v_mad_u64_u32 v[12:13], s[0:1], s44, v3, 0
	v_add3_u32 v13, v13, v17, v16
	v_sub_u32_e32 v16, v19, v13
	v_mov_b32_e32 v17, s45
	v_sub_co_u32_e32 v12, vcc, v20, v12
	v_subb_co_u32_e64 v16, s[0:1], v16, v17, vcc
	v_subrev_co_u32_e64 v17, s[0:1], s44, v12
	v_subbrev_co_u32_e64 v16, s[0:1], 0, v16, s[0:1]
	v_cmp_le_u32_e64 s[0:1], s45, v16
	v_cndmask_b32_e64 v20, 0, -1, s[0:1]
	v_cmp_le_u32_e64 s[0:1], s44, v17
	v_cndmask_b32_e64 v17, 0, -1, s[0:1]
	v_cmp_eq_u32_e64 s[0:1], s45, v16
	v_cndmask_b32_e64 v16, v20, v17, s[0:1]
	v_add_co_u32_e64 v17, s[0:1], 2, v3
	v_subb_co_u32_e32 v13, vcc, v19, v13, vcc
	v_addc_co_u32_e64 v20, s[0:1], 0, v15, s[0:1]
	v_cmp_le_u32_e32 vcc, s45, v13
	v_add_co_u32_e64 v21, s[0:1], 1, v3
	v_cndmask_b32_e64 v19, 0, -1, vcc
	v_cmp_le_u32_e32 vcc, s44, v12
	v_addc_co_u32_e64 v22, s[0:1], 0, v15, s[0:1]
	v_cndmask_b32_e64 v12, 0, -1, vcc
	v_cmp_eq_u32_e32 vcc, s45, v13
	v_cmp_ne_u32_e64 s[0:1], 0, v16
	v_cndmask_b32_e32 v12, v19, v12, vcc
	v_cmp_ne_u32_e32 vcc, 0, v12
	v_cndmask_b32_e64 v13, v21, v17, s[0:1]
	v_cndmask_b32_e64 v16, v22, v20, s[0:1]
	v_cndmask_b32_e32 v3, v3, v13, vcc
	v_xor_b32_e32 v13, s42, v18
	v_cndmask_b32_e32 v12, v15, v16, vcc
	v_xor_b32_e32 v3, v3, v13
	v_xor_b32_e32 v15, v12, v13
	v_sub_co_u32_e32 v12, vcc, v3, v13
	v_subb_co_u32_e32 v13, vcc, v15, v13, vcc
.LBB30_18:                              ;   in Loop: Header=BB30_16 Depth=2
	s_andn2_saveexec_b64 s[0:1], s[40:41]
	s_cbranch_execz .LBB30_15
; %bb.19:                               ;   in Loop: Header=BB30_16 Depth=2
	v_cvt_f32_u32_e32 v3, s38
	s_sub_i32 s40, 0, s38
	v_rcp_iflag_f32_e32 v3, v3
	v_mul_f32_e32 v3, 0x4f7ffffe, v3
	v_cvt_u32_f32_e32 v3, v3
	v_mul_lo_u32 v12, s40, v3
	v_mul_hi_u32 v12, v3, v12
	v_add_u32_e32 v3, v3, v12
	v_mul_hi_u32 v3, v4, v3
	v_mul_lo_u32 v12, v3, s38
	v_sub_u32_e32 v12, v4, v12
	v_add_u32_e32 v13, 1, v3
	v_subrev_u32_e32 v15, s38, v12
	v_cmp_le_u32_e32 vcc, s38, v12
	v_cndmask_b32_e32 v12, v12, v15, vcc
	v_cndmask_b32_e32 v3, v3, v13, vcc
	v_add_u32_e32 v13, 1, v3
	v_cmp_le_u32_e32 vcc, s38, v12
	v_cndmask_b32_e32 v12, v3, v13, vcc
	v_mov_b32_e32 v13, v2
	s_branch .LBB30_15
.LBB30_20:
	s_endpgm
	.section	.rodata,"a",@progbits
	.p2align	6, 0x0
	.amdhsa_kernel _ZN2at6native16triu_tril_kernelIN3c107complexIdEElLb0ELi1ELb1EEEvNS_4cuda6detail10TensorInfoIT_T0_EENS7_IKS8_S9_EEllS9_
		.amdhsa_group_segment_fixed_size 0
		.amdhsa_private_segment_fixed_size 0
		.amdhsa_kernarg_size 1112
		.amdhsa_user_sgpr_count 6
		.amdhsa_user_sgpr_private_segment_buffer 1
		.amdhsa_user_sgpr_dispatch_ptr 0
		.amdhsa_user_sgpr_queue_ptr 0
		.amdhsa_user_sgpr_kernarg_segment_ptr 1
		.amdhsa_user_sgpr_dispatch_id 0
		.amdhsa_user_sgpr_flat_scratch_init 0
		.amdhsa_user_sgpr_kernarg_preload_length 0
		.amdhsa_user_sgpr_kernarg_preload_offset 0
		.amdhsa_user_sgpr_private_segment_size 0
		.amdhsa_uses_dynamic_stack 0
		.amdhsa_system_sgpr_private_segment_wavefront_offset 0
		.amdhsa_system_sgpr_workgroup_id_x 1
		.amdhsa_system_sgpr_workgroup_id_y 0
		.amdhsa_system_sgpr_workgroup_id_z 0
		.amdhsa_system_sgpr_workgroup_info 0
		.amdhsa_system_vgpr_workitem_id 0
		.amdhsa_next_free_vgpr 23
		.amdhsa_next_free_sgpr 47
		.amdhsa_accum_offset 24
		.amdhsa_reserve_vcc 1
		.amdhsa_reserve_flat_scratch 0
		.amdhsa_float_round_mode_32 0
		.amdhsa_float_round_mode_16_64 0
		.amdhsa_float_denorm_mode_32 3
		.amdhsa_float_denorm_mode_16_64 3
		.amdhsa_dx10_clamp 1
		.amdhsa_ieee_mode 1
		.amdhsa_fp16_overflow 0
		.amdhsa_tg_split 0
		.amdhsa_exception_fp_ieee_invalid_op 0
		.amdhsa_exception_fp_denorm_src 0
		.amdhsa_exception_fp_ieee_div_zero 0
		.amdhsa_exception_fp_ieee_overflow 0
		.amdhsa_exception_fp_ieee_underflow 0
		.amdhsa_exception_fp_ieee_inexact 0
		.amdhsa_exception_int_div_zero 0
	.end_amdhsa_kernel
	.section	.text._ZN2at6native16triu_tril_kernelIN3c107complexIdEElLb0ELi1ELb1EEEvNS_4cuda6detail10TensorInfoIT_T0_EENS7_IKS8_S9_EEllS9_,"axG",@progbits,_ZN2at6native16triu_tril_kernelIN3c107complexIdEElLb0ELi1ELb1EEEvNS_4cuda6detail10TensorInfoIT_T0_EENS7_IKS8_S9_EEllS9_,comdat
.Lfunc_end30:
	.size	_ZN2at6native16triu_tril_kernelIN3c107complexIdEElLb0ELi1ELb1EEEvNS_4cuda6detail10TensorInfoIT_T0_EENS7_IKS8_S9_EEllS9_, .Lfunc_end30-_ZN2at6native16triu_tril_kernelIN3c107complexIdEElLb0ELi1ELb1EEEvNS_4cuda6detail10TensorInfoIT_T0_EENS7_IKS8_S9_EEllS9_
                                        ; -- End function
	.section	.AMDGPU.csdata,"",@progbits
; Kernel info:
; codeLenInByte = 3136
; NumSgprs: 51
; NumVgprs: 23
; NumAgprs: 0
; TotalNumVgprs: 23
; ScratchSize: 0
; MemoryBound: 0
; FloatMode: 240
; IeeeMode: 1
; LDSByteSize: 0 bytes/workgroup (compile time only)
; SGPRBlocks: 6
; VGPRBlocks: 2
; NumSGPRsForWavesPerEU: 51
; NumVGPRsForWavesPerEU: 23
; AccumOffset: 24
; Occupancy: 8
; WaveLimiterHint : 0
; COMPUTE_PGM_RSRC2:SCRATCH_EN: 0
; COMPUTE_PGM_RSRC2:USER_SGPR: 6
; COMPUTE_PGM_RSRC2:TRAP_HANDLER: 0
; COMPUTE_PGM_RSRC2:TGID_X_EN: 1
; COMPUTE_PGM_RSRC2:TGID_Y_EN: 0
; COMPUTE_PGM_RSRC2:TGID_Z_EN: 0
; COMPUTE_PGM_RSRC2:TIDIG_COMP_CNT: 0
; COMPUTE_PGM_RSRC3_GFX90A:ACCUM_OFFSET: 5
; COMPUTE_PGM_RSRC3_GFX90A:TG_SPLIT: 0
	.section	.text._ZN2at6native16triu_tril_kernelIN3c107complexIdEElLb0ELi1ELb0EEEvNS_4cuda6detail10TensorInfoIT_T0_EENS7_IKS8_S9_EEllS9_,"axG",@progbits,_ZN2at6native16triu_tril_kernelIN3c107complexIdEElLb0ELi1ELb0EEEvNS_4cuda6detail10TensorInfoIT_T0_EENS7_IKS8_S9_EEllS9_,comdat
	.protected	_ZN2at6native16triu_tril_kernelIN3c107complexIdEElLb0ELi1ELb0EEEvNS_4cuda6detail10TensorInfoIT_T0_EENS7_IKS8_S9_EEllS9_ ; -- Begin function _ZN2at6native16triu_tril_kernelIN3c107complexIdEElLb0ELi1ELb0EEEvNS_4cuda6detail10TensorInfoIT_T0_EENS7_IKS8_S9_EEllS9_
	.globl	_ZN2at6native16triu_tril_kernelIN3c107complexIdEElLb0ELi1ELb0EEEvNS_4cuda6detail10TensorInfoIT_T0_EENS7_IKS8_S9_EEllS9_
	.p2align	8
	.type	_ZN2at6native16triu_tril_kernelIN3c107complexIdEElLb0ELi1ELb0EEEvNS_4cuda6detail10TensorInfoIT_T0_EENS7_IKS8_S9_EEllS9_,@function
_ZN2at6native16triu_tril_kernelIN3c107complexIdEElLb0ELi1ELb0EEEvNS_4cuda6detail10TensorInfoIT_T0_EENS7_IKS8_S9_EEllS9_: ; @_ZN2at6native16triu_tril_kernelIN3c107complexIdEElLb0ELi1ELb0EEEvNS_4cuda6detail10TensorInfoIT_T0_EENS7_IKS8_S9_EEllS9_
; %bb.0:
	s_load_dword s2, s[4:5], 0x364
	s_load_dwordx4 s[8:11], s[4:5], 0x340
	s_add_u32 s0, s4, 0x358
	v_mov_b32_e32 v4, 0
	s_addc_u32 s1, s5, 0
	s_waitcnt lgkmcnt(0)
	s_and_b32 s26, s2, 0xffff
	v_mov_b32_e32 v1, v4
	v_mov_b32_e32 v2, s6
	v_mad_u64_u32 v[6:7], s[2:3], s26, v2, v[0:1]
	v_cmp_gt_i64_e32 vcc, s[10:11], v[6:7]
	s_and_saveexec_b64 s[2:3], vcc
	s_cbranch_execz .LBB31_21
; %bb.1:
	s_load_dwordx2 s[2:3], s[4:5], 0x350
	s_load_dword s28, s[4:5], 0x338
	s_add_u32 s12, s4, 0x1a0
	s_addc_u32 s13, s5, 0
	s_load_dword s27, s[0:1], 0x0
	s_load_dwordx2 s[6:7], s[4:5], 0x1a0
	s_waitcnt lgkmcnt(0)
	v_cvt_f32_u32_e32 v0, s2
	s_ashr_i32 s29, s28, 31
	s_add_u32 s30, s4, 0x1a8
	s_addc_u32 s31, s5, 0
	s_lshl_b64 s[0:1], s[28:29], 3
	s_add_u32 s22, s0, -16
	s_addc_u32 s23, s1, -1
	s_add_u32 s0, s30, s22
	s_addc_u32 s1, s31, s23
	s_add_u32 s20, s12, s22
	s_addc_u32 s21, s13, s23
	;; [unrolled: 2-line block ×3, first 2 shown]
	s_load_dwordx4 s[12:15], s[0:1], 0x0
	s_load_dwordx4 s[16:19], s[20:21], 0xd0
	s_add_u32 s0, s34, s22
	s_addc_u32 s1, s35, s23
	s_load_dwordx4 s[20:23], s[0:1], 0x0
	v_rcp_iflag_f32_e32 v0, v0
	s_load_dwordx2 s[4:5], s[4:5], 0x0
	s_add_i32 s0, s28, -3
	s_ashr_i32 s1, s0, 31
	v_cmp_gt_i64_e64 s[24:25], s[28:29], 2
	s_lshl_b64 s[28:29], s[0:1], 3
	s_mul_i32 s33, s27, s26
	s_add_u32 s26, s34, s28
	s_addc_u32 s27, s35, s29
	v_mul_f32_e32 v0, 0x4f7ffffe, v0
	s_add_u32 s28, s30, s28
	v_cvt_u32_f32_e32 v14, v0
	s_addc_u32 s29, s31, s29
	s_add_u32 s30, s0, 1
	s_mov_b32 s50, 0
	s_addc_u32 s31, s1, 0
	s_mov_b64 s[34:35], 0
	s_branch .LBB31_3
.LBB31_2:                               ;   in Loop: Header=BB31_3 Depth=1
	s_or_b64 exec, exec, s[0:1]
	s_waitcnt vmcnt(0)
	v_mov_b32_e32 v0, s50
	v_add_co_u32_e32 v6, vcc, s33, v6
	v_addc_co_u32_e32 v7, vcc, v7, v0, vcc
	v_cmp_le_i64_e32 vcc, s[10:11], v[6:7]
	s_or_b64 s[34:35], vcc, s[34:35]
	s_andn2_b64 exec, exec, s[34:35]
	s_cbranch_execz .LBB31_21
.LBB31_3:                               ; =>This Loop Header: Depth=1
                                        ;     Child Loop BB31_17 Depth 2
	v_or_b32_e32 v5, s3, v7
	v_cmp_ne_u64_e32 vcc, 0, v[4:5]
                                        ; implicit-def: $vgpr8_vgpr9
	s_and_saveexec_b64 s[0:1], vcc
	s_xor_b64 s[36:37], exec, s[0:1]
	s_cbranch_execz .LBB31_5
; %bb.4:                                ;   in Loop: Header=BB31_3 Depth=1
	s_ashr_i32 s38, s3, 31
	s_add_u32 s0, s2, s38
	s_mov_b32 s39, s38
	s_addc_u32 s1, s3, s38
	s_xor_b64 s[40:41], s[0:1], s[38:39]
	v_cvt_f32_u32_e32 v0, s40
	v_cvt_f32_u32_e32 v1, s41
	s_sub_u32 s0, 0, s40
	s_subb_u32 s1, 0, s41
	v_mac_f32_e32 v0, 0x4f800000, v1
	v_rcp_f32_e32 v0, v0
	v_mul_f32_e32 v0, 0x5f7ffffc, v0
	v_mul_f32_e32 v1, 0x2f800000, v0
	v_trunc_f32_e32 v1, v1
	v_mac_f32_e32 v0, 0xcf800000, v1
	v_cvt_u32_f32_e32 v1, v1
	v_cvt_u32_f32_e32 v0, v0
	v_mul_lo_u32 v2, s0, v1
	v_mul_hi_u32 v5, s0, v0
	v_mul_lo_u32 v3, s1, v0
	v_add_u32_e32 v2, v5, v2
	v_mul_lo_u32 v8, s0, v0
	v_add_u32_e32 v2, v2, v3
	v_mul_lo_u32 v5, v0, v2
	v_mul_hi_u32 v9, v0, v8
	v_mul_hi_u32 v3, v0, v2
	v_add_co_u32_e32 v5, vcc, v9, v5
	v_addc_co_u32_e32 v3, vcc, 0, v3, vcc
	v_mul_hi_u32 v10, v1, v8
	v_mul_lo_u32 v8, v1, v8
	v_add_co_u32_e32 v5, vcc, v5, v8
	v_mul_hi_u32 v9, v1, v2
	v_addc_co_u32_e32 v3, vcc, v3, v10, vcc
	v_addc_co_u32_e32 v5, vcc, 0, v9, vcc
	v_mul_lo_u32 v2, v1, v2
	v_add_co_u32_e32 v2, vcc, v3, v2
	v_addc_co_u32_e32 v3, vcc, 0, v5, vcc
	v_add_co_u32_e32 v0, vcc, v0, v2
	v_addc_co_u32_e32 v1, vcc, v1, v3, vcc
	v_mul_lo_u32 v2, s0, v1
	v_mul_hi_u32 v3, s0, v0
	v_add_u32_e32 v2, v3, v2
	v_mul_lo_u32 v3, s1, v0
	v_add_u32_e32 v2, v2, v3
	v_mul_lo_u32 v5, s0, v0
	v_mul_hi_u32 v8, v1, v5
	v_mul_lo_u32 v9, v1, v5
	v_mul_lo_u32 v11, v0, v2
	v_mul_hi_u32 v5, v0, v5
	v_mul_hi_u32 v10, v0, v2
	v_add_co_u32_e32 v5, vcc, v5, v11
	v_addc_co_u32_e32 v10, vcc, 0, v10, vcc
	v_add_co_u32_e32 v5, vcc, v5, v9
	v_mul_hi_u32 v3, v1, v2
	v_addc_co_u32_e32 v5, vcc, v10, v8, vcc
	v_addc_co_u32_e32 v3, vcc, 0, v3, vcc
	v_mul_lo_u32 v2, v1, v2
	v_add_co_u32_e32 v2, vcc, v5, v2
	v_addc_co_u32_e32 v3, vcc, 0, v3, vcc
	v_add_co_u32_e32 v2, vcc, v0, v2
	v_addc_co_u32_e32 v3, vcc, v1, v3, vcc
	v_ashrrev_i32_e32 v5, 31, v7
	v_add_co_u32_e32 v0, vcc, v6, v5
	v_addc_co_u32_e32 v1, vcc, v7, v5, vcc
	v_xor_b32_e32 v9, v0, v5
	v_xor_b32_e32 v8, v1, v5
	v_mad_u64_u32 v[0:1], s[0:1], v9, v3, 0
	v_mul_hi_u32 v10, v9, v2
	v_add_co_u32_e32 v10, vcc, v10, v0
	v_addc_co_u32_e32 v11, vcc, 0, v1, vcc
	v_mad_u64_u32 v[0:1], s[0:1], v8, v3, 0
	v_mad_u64_u32 v[2:3], s[0:1], v8, v2, 0
	v_add_co_u32_e32 v2, vcc, v10, v2
	v_addc_co_u32_e32 v2, vcc, v11, v3, vcc
	v_addc_co_u32_e32 v1, vcc, 0, v1, vcc
	v_add_co_u32_e32 v2, vcc, v2, v0
	v_addc_co_u32_e32 v3, vcc, 0, v1, vcc
	v_mul_lo_u32 v10, s41, v2
	v_mul_lo_u32 v11, s40, v3
	v_mad_u64_u32 v[0:1], s[0:1], s40, v2, 0
	v_add3_u32 v1, v1, v11, v10
	v_sub_u32_e32 v10, v8, v1
	v_mov_b32_e32 v11, s41
	v_sub_co_u32_e32 v0, vcc, v9, v0
	v_subb_co_u32_e64 v9, s[0:1], v10, v11, vcc
	v_subrev_co_u32_e64 v10, s[0:1], s40, v0
	v_subbrev_co_u32_e64 v9, s[0:1], 0, v9, s[0:1]
	v_cmp_le_u32_e64 s[0:1], s41, v9
	v_cndmask_b32_e64 v11, 0, -1, s[0:1]
	v_cmp_le_u32_e64 s[0:1], s40, v10
	v_cndmask_b32_e64 v10, 0, -1, s[0:1]
	v_cmp_eq_u32_e64 s[0:1], s41, v9
	v_cndmask_b32_e64 v9, v11, v10, s[0:1]
	v_add_co_u32_e64 v10, s[0:1], 2, v2
	v_subb_co_u32_e32 v1, vcc, v8, v1, vcc
	v_addc_co_u32_e64 v11, s[0:1], 0, v3, s[0:1]
	v_cmp_le_u32_e32 vcc, s41, v1
	v_add_co_u32_e64 v12, s[0:1], 1, v2
	v_cndmask_b32_e64 v8, 0, -1, vcc
	v_cmp_le_u32_e32 vcc, s40, v0
	v_addc_co_u32_e64 v13, s[0:1], 0, v3, s[0:1]
	v_cndmask_b32_e64 v0, 0, -1, vcc
	v_cmp_eq_u32_e32 vcc, s41, v1
	v_cmp_ne_u32_e64 s[0:1], 0, v9
	v_cndmask_b32_e32 v0, v8, v0, vcc
	v_cmp_ne_u32_e32 vcc, 0, v0
	v_cndmask_b32_e64 v1, v12, v10, s[0:1]
	v_cndmask_b32_e64 v9, v13, v11, s[0:1]
	v_cndmask_b32_e32 v1, v2, v1, vcc
	v_xor_b32_e32 v2, s38, v5
	v_cndmask_b32_e32 v0, v3, v9, vcc
	v_xor_b32_e32 v1, v1, v2
	v_xor_b32_e32 v0, v0, v2
	v_sub_co_u32_e32 v8, vcc, v1, v2
	v_subb_co_u32_e32 v9, vcc, v0, v2, vcc
.LBB31_5:                               ;   in Loop: Header=BB31_3 Depth=1
	s_andn2_saveexec_b64 s[0:1], s[36:37]
	s_cbranch_execz .LBB31_7
; %bb.6:                                ;   in Loop: Header=BB31_3 Depth=1
	s_sub_i32 s36, 0, s2
	v_mul_lo_u32 v0, s36, v14
	v_mul_hi_u32 v0, v14, v0
	v_add_u32_e32 v0, v14, v0
	v_mul_hi_u32 v0, v6, v0
	v_mul_lo_u32 v1, v0, s2
	v_sub_u32_e32 v1, v6, v1
	v_subrev_u32_e32 v2, s2, v1
	v_cmp_le_u32_e32 vcc, s2, v1
	v_cndmask_b32_e32 v1, v1, v2, vcc
	v_add_u32_e32 v2, 1, v0
	v_cndmask_b32_e32 v0, v0, v2, vcc
	v_add_u32_e32 v2, 1, v0
	v_cmp_le_u32_e32 vcc, s2, v1
	v_cndmask_b32_e32 v8, v0, v2, vcc
	v_mov_b32_e32 v9, v4
.LBB31_7:                               ;   in Loop: Header=BB31_3 Depth=1
	s_or_b64 exec, exec, s[0:1]
	s_waitcnt lgkmcnt(0)
	v_or_b32_e32 v5, s13, v9
	v_cmp_ne_u64_e32 vcc, 0, v[4:5]
                                        ; implicit-def: $vgpr2_vgpr3
	s_and_saveexec_b64 s[0:1], vcc
	s_xor_b64 s[36:37], exec, s[0:1]
	s_cbranch_execz .LBB31_9
; %bb.8:                                ;   in Loop: Header=BB31_3 Depth=1
	s_ashr_i32 s38, s13, 31
	s_add_u32 s0, s12, s38
	s_mov_b32 s39, s38
	s_addc_u32 s1, s13, s38
	s_xor_b64 s[40:41], s[0:1], s[38:39]
	v_cvt_f32_u32_e32 v0, s40
	v_cvt_f32_u32_e32 v1, s41
	s_sub_u32 s0, 0, s40
	s_subb_u32 s1, 0, s41
	v_mac_f32_e32 v0, 0x4f800000, v1
	v_rcp_f32_e32 v0, v0
	v_mul_f32_e32 v0, 0x5f7ffffc, v0
	v_mul_f32_e32 v1, 0x2f800000, v0
	v_trunc_f32_e32 v1, v1
	v_mac_f32_e32 v0, 0xcf800000, v1
	v_cvt_u32_f32_e32 v1, v1
	v_cvt_u32_f32_e32 v0, v0
	v_mul_lo_u32 v2, s0, v1
	v_mul_hi_u32 v5, s0, v0
	v_mul_lo_u32 v3, s1, v0
	v_add_u32_e32 v2, v5, v2
	v_mul_lo_u32 v10, s0, v0
	v_add_u32_e32 v2, v2, v3
	v_mul_lo_u32 v5, v0, v2
	v_mul_hi_u32 v11, v0, v10
	v_mul_hi_u32 v3, v0, v2
	v_add_co_u32_e32 v5, vcc, v11, v5
	v_addc_co_u32_e32 v3, vcc, 0, v3, vcc
	v_mul_hi_u32 v12, v1, v10
	v_mul_lo_u32 v10, v1, v10
	v_add_co_u32_e32 v5, vcc, v5, v10
	v_mul_hi_u32 v11, v1, v2
	v_addc_co_u32_e32 v3, vcc, v3, v12, vcc
	v_addc_co_u32_e32 v5, vcc, 0, v11, vcc
	v_mul_lo_u32 v2, v1, v2
	v_add_co_u32_e32 v2, vcc, v3, v2
	v_addc_co_u32_e32 v3, vcc, 0, v5, vcc
	v_add_co_u32_e32 v0, vcc, v0, v2
	v_addc_co_u32_e32 v1, vcc, v1, v3, vcc
	v_mul_lo_u32 v2, s0, v1
	v_mul_hi_u32 v3, s0, v0
	v_add_u32_e32 v2, v3, v2
	v_mul_lo_u32 v3, s1, v0
	v_add_u32_e32 v2, v2, v3
	v_mul_lo_u32 v5, s0, v0
	v_mul_hi_u32 v10, v1, v5
	v_mul_lo_u32 v11, v1, v5
	v_mul_lo_u32 v13, v0, v2
	v_mul_hi_u32 v5, v0, v5
	v_mul_hi_u32 v12, v0, v2
	v_add_co_u32_e32 v5, vcc, v5, v13
	v_addc_co_u32_e32 v12, vcc, 0, v12, vcc
	v_add_co_u32_e32 v5, vcc, v5, v11
	v_mul_hi_u32 v3, v1, v2
	v_addc_co_u32_e32 v5, vcc, v12, v10, vcc
	v_addc_co_u32_e32 v3, vcc, 0, v3, vcc
	v_mul_lo_u32 v2, v1, v2
	v_add_co_u32_e32 v2, vcc, v5, v2
	v_addc_co_u32_e32 v3, vcc, 0, v3, vcc
	v_add_co_u32_e32 v2, vcc, v0, v2
	v_addc_co_u32_e32 v3, vcc, v1, v3, vcc
	v_ashrrev_i32_e32 v5, 31, v9
	v_add_co_u32_e32 v0, vcc, v8, v5
	v_addc_co_u32_e32 v1, vcc, v9, v5, vcc
	v_xor_b32_e32 v11, v0, v5
	v_xor_b32_e32 v10, v1, v5
	v_mad_u64_u32 v[0:1], s[0:1], v11, v3, 0
	v_mul_hi_u32 v12, v11, v2
	v_add_co_u32_e32 v12, vcc, v12, v0
	v_addc_co_u32_e32 v13, vcc, 0, v1, vcc
	v_mad_u64_u32 v[0:1], s[0:1], v10, v3, 0
	v_mad_u64_u32 v[2:3], s[0:1], v10, v2, 0
	v_add_co_u32_e32 v2, vcc, v12, v2
	v_addc_co_u32_e32 v2, vcc, v13, v3, vcc
	v_addc_co_u32_e32 v1, vcc, 0, v1, vcc
	v_add_co_u32_e32 v2, vcc, v2, v0
	v_addc_co_u32_e32 v3, vcc, 0, v1, vcc
	v_mul_lo_u32 v12, s41, v2
	v_mul_lo_u32 v13, s40, v3
	v_mad_u64_u32 v[0:1], s[0:1], s40, v2, 0
	v_add3_u32 v1, v1, v13, v12
	v_sub_u32_e32 v12, v10, v1
	v_mov_b32_e32 v13, s41
	v_sub_co_u32_e32 v0, vcc, v11, v0
	v_subb_co_u32_e64 v11, s[0:1], v12, v13, vcc
	v_subrev_co_u32_e64 v12, s[0:1], s40, v0
	v_subbrev_co_u32_e64 v11, s[0:1], 0, v11, s[0:1]
	v_cmp_le_u32_e64 s[0:1], s41, v11
	v_cndmask_b32_e64 v13, 0, -1, s[0:1]
	v_cmp_le_u32_e64 s[0:1], s40, v12
	v_cndmask_b32_e64 v12, 0, -1, s[0:1]
	v_cmp_eq_u32_e64 s[0:1], s41, v11
	v_cndmask_b32_e64 v11, v13, v12, s[0:1]
	v_add_co_u32_e64 v12, s[0:1], 2, v2
	v_subb_co_u32_e32 v1, vcc, v10, v1, vcc
	v_addc_co_u32_e64 v13, s[0:1], 0, v3, s[0:1]
	v_cmp_le_u32_e32 vcc, s41, v1
	v_add_co_u32_e64 v15, s[0:1], 1, v2
	v_cndmask_b32_e64 v10, 0, -1, vcc
	v_cmp_le_u32_e32 vcc, s40, v0
	v_addc_co_u32_e64 v16, s[0:1], 0, v3, s[0:1]
	v_cndmask_b32_e64 v0, 0, -1, vcc
	v_cmp_eq_u32_e32 vcc, s41, v1
	v_cmp_ne_u32_e64 s[0:1], 0, v11
	v_cndmask_b32_e32 v0, v10, v0, vcc
	v_cndmask_b32_e64 v11, v16, v13, s[0:1]
	v_cmp_ne_u32_e32 vcc, 0, v0
	v_cndmask_b32_e64 v1, v15, v12, s[0:1]
	v_cndmask_b32_e32 v0, v3, v11, vcc
	v_cndmask_b32_e32 v1, v2, v1, vcc
	v_xor_b32_e32 v3, s38, v5
	v_xor_b32_e32 v1, v1, v3
	;; [unrolled: 1-line block ×3, first 2 shown]
	v_sub_co_u32_e32 v2, vcc, v1, v3
	v_subb_co_u32_e32 v3, vcc, v0, v3, vcc
.LBB31_9:                               ;   in Loop: Header=BB31_3 Depth=1
	s_andn2_saveexec_b64 s[0:1], s[36:37]
	s_cbranch_execz .LBB31_11
; %bb.10:                               ;   in Loop: Header=BB31_3 Depth=1
	v_cvt_f32_u32_e32 v0, s12
	s_sub_i32 s36, 0, s12
	v_rcp_iflag_f32_e32 v0, v0
	v_mul_f32_e32 v0, 0x4f7ffffe, v0
	v_cvt_u32_f32_e32 v0, v0
	v_mul_lo_u32 v1, s36, v0
	v_mul_hi_u32 v1, v0, v1
	v_add_u32_e32 v0, v0, v1
	v_mul_hi_u32 v0, v8, v0
	v_mul_lo_u32 v1, v0, s12
	v_sub_u32_e32 v1, v8, v1
	v_add_u32_e32 v2, 1, v0
	v_subrev_u32_e32 v3, s12, v1
	v_cmp_le_u32_e32 vcc, s12, v1
	v_cndmask_b32_e32 v1, v1, v3, vcc
	v_cndmask_b32_e32 v0, v0, v2, vcc
	v_add_u32_e32 v2, 1, v0
	v_cmp_le_u32_e32 vcc, s12, v1
	v_cndmask_b32_e32 v2, v0, v2, vcc
	v_mov_b32_e32 v3, v4
.LBB31_11:                              ;   in Loop: Header=BB31_3 Depth=1
	s_or_b64 exec, exec, s[0:1]
	v_mul_lo_u32 v5, v9, s2
	v_mul_lo_u32 v10, v8, s3
	v_mad_u64_u32 v[0:1], s[0:1], v8, s2, 0
	v_add3_u32 v1, v1, v10, v5
	v_sub_co_u32_e32 v0, vcc, v6, v0
	v_subb_co_u32_e32 v1, vcc, v7, v1, vcc
	v_mul_lo_u32 v5, v3, s12
	v_mul_lo_u32 v12, v2, s13
	v_mad_u64_u32 v[10:11], s[0:1], v2, s12, 0
	v_add3_u32 v5, v11, v12, v5
	v_sub_co_u32_e32 v15, vcc, v8, v10
	v_subb_co_u32_e32 v16, vcc, v9, v5, vcc
	v_mul_lo_u32 v5, s19, v0
	v_mul_lo_u32 v10, s18, v1
	v_mad_u64_u32 v[8:9], s[0:1], s18, v0, 0
	v_add3_u32 v9, v9, v10, v5
	v_mul_lo_u32 v5, s23, v0
	v_mul_lo_u32 v10, s22, v1
	v_mad_u64_u32 v[12:13], s[0:1], s22, v0, 0
	v_add3_u32 v13, v13, v10, v5
	v_mad_u64_u32 v[10:11], s[0:1], s16, v15, v[8:9]
	v_mul_lo_u32 v5, s16, v16
	v_mul_lo_u32 v8, s17, v15
	v_add3_u32 v11, v8, v11, v5
	v_mad_u64_u32 v[8:9], s[0:1], s20, v15, v[12:13]
	v_mul_lo_u32 v5, s20, v16
	v_mul_lo_u32 v12, s21, v15
	v_add3_u32 v9, v12, v9, v5
	s_and_b64 vcc, exec, s[24:25]
	s_mov_b64 s[36:37], s[30:31]
	s_mov_b64 s[38:39], s[28:29]
	;; [unrolled: 1-line block ×3, first 2 shown]
	s_cbranch_vccnz .LBB31_17
.LBB31_12:                              ;   in Loop: Header=BB31_3 Depth=1
	v_sub_co_u32_e32 v2, vcc, v0, v15
	v_subb_co_u32_e32 v3, vcc, v1, v16, vcc
	v_cmp_ge_i64_e64 s[0:1], s[8:9], v[2:3]
	v_cmp_gt_i64_e32 vcc, s[14:15], v[0:1]
	v_pk_mov_b32 v[0:1], 0, 0
	s_and_b64 s[0:1], s[0:1], vcc
	v_pk_mov_b32 v[2:3], v[0:1], v[0:1] op_sel:[0,1]
	s_and_saveexec_b64 s[36:37], s[0:1]
	s_cbranch_execz .LBB31_14
; %bb.13:                               ;   in Loop: Header=BB31_3 Depth=1
	v_lshlrev_b64 v[0:1], 4, v[10:11]
	v_mov_b32_e32 v2, s7
	v_add_co_u32_e64 v0, s[0:1], s6, v0
	v_addc_co_u32_e64 v1, s[0:1], v2, v1, s[0:1]
	global_load_dwordx4 v[0:3], v[0:1], off
.LBB31_14:                              ;   in Loop: Header=BB31_3 Depth=1
	s_or_b64 exec, exec, s[36:37]
	s_and_saveexec_b64 s[0:1], vcc
	s_cbranch_execz .LBB31_2
; %bb.15:                               ;   in Loop: Header=BB31_3 Depth=1
	v_lshlrev_b64 v[8:9], 4, v[8:9]
	v_mov_b32_e32 v5, s5
	v_add_co_u32_e32 v8, vcc, s4, v8
	v_addc_co_u32_e32 v9, vcc, v5, v9, vcc
	s_waitcnt vmcnt(0)
	global_store_dwordx4 v[8:9], v[0:3], off
	s_branch .LBB31_2
.LBB31_16:                              ;   in Loop: Header=BB31_17 Depth=2
	s_or_b64 exec, exec, s[0:1]
	v_mad_u64_u32 v[18:19], s[0:1], v12, s42, 0
	v_mul_lo_u32 v5, v13, s42
	v_mul_lo_u32 v17, v12, s43
	s_load_dwordx2 s[0:1], s[38:39], 0xc8
	s_load_dwordx2 s[42:43], s[40:41], 0x0
	s_add_u32 s40, s40, -8
	s_addc_u32 s41, s41, -1
	s_add_u32 s38, s38, -8
	v_add3_u32 v5, v19, v17, v5
	v_sub_co_u32_e32 v2, vcc, v2, v18
	s_addc_u32 s39, s39, -1
	v_subb_co_u32_e32 v3, vcc, v3, v5, vcc
	s_add_u32 s36, s36, -1
	s_waitcnt lgkmcnt(0)
	v_mul_lo_u32 v5, s0, v3
	v_mul_lo_u32 v17, s1, v2
	v_mad_u64_u32 v[10:11], s[0:1], s0, v2, v[10:11]
	v_mad_u64_u32 v[8:9], s[0:1], s42, v2, v[8:9]
	s_addc_u32 s37, s37, -1
	v_add3_u32 v11, v17, v11, v5
	v_mul_lo_u32 v3, s42, v3
	v_mul_lo_u32 v5, s43, v2
	v_cmp_lt_i64_e64 s[0:1], s[36:37], 1
	v_add3_u32 v9, v5, v9, v3
	s_and_b64 vcc, exec, s[0:1]
	v_pk_mov_b32 v[2:3], v[12:13], v[12:13] op_sel:[0,1]
	s_cbranch_vccnz .LBB31_12
.LBB31_17:                              ;   Parent Loop BB31_3 Depth=1
                                        ; =>  This Inner Loop Header: Depth=2
	s_load_dwordx2 s[42:43], s[38:39], 0x0
                                        ; implicit-def: $vgpr12_vgpr13
	s_waitcnt lgkmcnt(0)
	v_or_b32_e32 v5, s43, v3
	v_cmp_ne_u64_e32 vcc, 0, v[4:5]
	s_and_saveexec_b64 s[0:1], vcc
	s_xor_b64 s[44:45], exec, s[0:1]
	s_cbranch_execz .LBB31_19
; %bb.18:                               ;   in Loop: Header=BB31_17 Depth=2
	s_ashr_i32 s46, s43, 31
	s_add_u32 s0, s42, s46
	s_mov_b32 s47, s46
	s_addc_u32 s1, s43, s46
	s_xor_b64 s[48:49], s[0:1], s[46:47]
	v_cvt_f32_u32_e32 v5, s48
	v_cvt_f32_u32_e32 v12, s49
	s_sub_u32 s0, 0, s48
	s_subb_u32 s1, 0, s49
	v_mac_f32_e32 v5, 0x4f800000, v12
	v_rcp_f32_e32 v5, v5
	v_mul_f32_e32 v5, 0x5f7ffffc, v5
	v_mul_f32_e32 v12, 0x2f800000, v5
	v_trunc_f32_e32 v12, v12
	v_mac_f32_e32 v5, 0xcf800000, v12
	v_cvt_u32_f32_e32 v12, v12
	v_cvt_u32_f32_e32 v5, v5
	v_mul_lo_u32 v13, s0, v12
	v_mul_hi_u32 v18, s0, v5
	v_mul_lo_u32 v17, s1, v5
	v_add_u32_e32 v13, v18, v13
	v_mul_lo_u32 v19, s0, v5
	v_add_u32_e32 v13, v13, v17
	v_mul_lo_u32 v18, v5, v13
	v_mul_hi_u32 v20, v5, v19
	v_mul_hi_u32 v17, v5, v13
	v_add_co_u32_e32 v18, vcc, v20, v18
	v_addc_co_u32_e32 v17, vcc, 0, v17, vcc
	v_mul_hi_u32 v21, v12, v19
	v_mul_lo_u32 v19, v12, v19
	v_add_co_u32_e32 v18, vcc, v18, v19
	v_mul_hi_u32 v20, v12, v13
	v_addc_co_u32_e32 v17, vcc, v17, v21, vcc
	v_addc_co_u32_e32 v18, vcc, 0, v20, vcc
	v_mul_lo_u32 v13, v12, v13
	v_add_co_u32_e32 v13, vcc, v17, v13
	v_addc_co_u32_e32 v17, vcc, 0, v18, vcc
	v_add_co_u32_e32 v5, vcc, v5, v13
	v_addc_co_u32_e32 v12, vcc, v12, v17, vcc
	v_mul_lo_u32 v13, s0, v12
	v_mul_hi_u32 v17, s0, v5
	v_add_u32_e32 v13, v17, v13
	v_mul_lo_u32 v17, s1, v5
	v_add_u32_e32 v13, v13, v17
	v_mul_lo_u32 v18, s0, v5
	v_mul_hi_u32 v19, v12, v18
	v_mul_lo_u32 v20, v12, v18
	v_mul_lo_u32 v22, v5, v13
	v_mul_hi_u32 v18, v5, v18
	v_mul_hi_u32 v21, v5, v13
	v_add_co_u32_e32 v18, vcc, v18, v22
	v_addc_co_u32_e32 v21, vcc, 0, v21, vcc
	v_add_co_u32_e32 v18, vcc, v18, v20
	v_mul_hi_u32 v17, v12, v13
	v_addc_co_u32_e32 v18, vcc, v21, v19, vcc
	v_addc_co_u32_e32 v17, vcc, 0, v17, vcc
	v_mul_lo_u32 v13, v12, v13
	v_add_co_u32_e32 v13, vcc, v18, v13
	v_addc_co_u32_e32 v17, vcc, 0, v17, vcc
	v_add_co_u32_e32 v5, vcc, v5, v13
	v_addc_co_u32_e32 v17, vcc, v12, v17, vcc
	v_ashrrev_i32_e32 v20, 31, v3
	v_add_co_u32_e32 v12, vcc, v2, v20
	v_addc_co_u32_e32 v13, vcc, v3, v20, vcc
	v_xor_b32_e32 v22, v12, v20
	v_xor_b32_e32 v21, v13, v20
	v_mad_u64_u32 v[12:13], s[0:1], v22, v17, 0
	v_mul_hi_u32 v18, v22, v5
	v_add_co_u32_e32 v23, vcc, v18, v12
	v_addc_co_u32_e32 v24, vcc, 0, v13, vcc
	v_mad_u64_u32 v[18:19], s[0:1], v21, v5, 0
	v_add_co_u32_e32 v5, vcc, v23, v18
	v_mad_u64_u32 v[12:13], s[0:1], v21, v17, 0
	v_addc_co_u32_e32 v5, vcc, v24, v19, vcc
	v_addc_co_u32_e32 v13, vcc, 0, v13, vcc
	v_add_co_u32_e32 v5, vcc, v5, v12
	v_addc_co_u32_e32 v17, vcc, 0, v13, vcc
	v_mul_lo_u32 v18, s49, v5
	v_mul_lo_u32 v19, s48, v17
	v_mad_u64_u32 v[12:13], s[0:1], s48, v5, 0
	v_add3_u32 v13, v13, v19, v18
	v_sub_u32_e32 v18, v21, v13
	v_mov_b32_e32 v19, s49
	v_sub_co_u32_e32 v12, vcc, v22, v12
	v_subb_co_u32_e64 v18, s[0:1], v18, v19, vcc
	v_subrev_co_u32_e64 v19, s[0:1], s48, v12
	v_subbrev_co_u32_e64 v18, s[0:1], 0, v18, s[0:1]
	v_cmp_le_u32_e64 s[0:1], s49, v18
	v_cndmask_b32_e64 v22, 0, -1, s[0:1]
	v_cmp_le_u32_e64 s[0:1], s48, v19
	v_cndmask_b32_e64 v19, 0, -1, s[0:1]
	v_cmp_eq_u32_e64 s[0:1], s49, v18
	v_cndmask_b32_e64 v18, v22, v19, s[0:1]
	v_add_co_u32_e64 v19, s[0:1], 2, v5
	v_subb_co_u32_e32 v13, vcc, v21, v13, vcc
	v_addc_co_u32_e64 v22, s[0:1], 0, v17, s[0:1]
	v_cmp_le_u32_e32 vcc, s49, v13
	v_add_co_u32_e64 v23, s[0:1], 1, v5
	v_cndmask_b32_e64 v21, 0, -1, vcc
	v_cmp_le_u32_e32 vcc, s48, v12
	v_addc_co_u32_e64 v24, s[0:1], 0, v17, s[0:1]
	v_cndmask_b32_e64 v12, 0, -1, vcc
	v_cmp_eq_u32_e32 vcc, s49, v13
	v_cmp_ne_u32_e64 s[0:1], 0, v18
	v_cndmask_b32_e32 v12, v21, v12, vcc
	v_cmp_ne_u32_e32 vcc, 0, v12
	v_cndmask_b32_e64 v13, v23, v19, s[0:1]
	v_cndmask_b32_e64 v18, v24, v22, s[0:1]
	v_cndmask_b32_e32 v5, v5, v13, vcc
	v_xor_b32_e32 v13, s46, v20
	v_cndmask_b32_e32 v12, v17, v18, vcc
	v_xor_b32_e32 v5, v5, v13
	v_xor_b32_e32 v17, v12, v13
	v_sub_co_u32_e32 v12, vcc, v5, v13
	v_subb_co_u32_e32 v13, vcc, v17, v13, vcc
.LBB31_19:                              ;   in Loop: Header=BB31_17 Depth=2
	s_andn2_saveexec_b64 s[0:1], s[44:45]
	s_cbranch_execz .LBB31_16
; %bb.20:                               ;   in Loop: Header=BB31_17 Depth=2
	v_cvt_f32_u32_e32 v5, s42
	s_sub_i32 s44, 0, s42
	v_rcp_iflag_f32_e32 v5, v5
	v_mul_f32_e32 v5, 0x4f7ffffe, v5
	v_cvt_u32_f32_e32 v5, v5
	v_mul_lo_u32 v12, s44, v5
	v_mul_hi_u32 v12, v5, v12
	v_add_u32_e32 v5, v5, v12
	v_mul_hi_u32 v5, v2, v5
	v_mul_lo_u32 v12, v5, s42
	v_sub_u32_e32 v12, v2, v12
	v_add_u32_e32 v13, 1, v5
	v_subrev_u32_e32 v17, s42, v12
	v_cmp_le_u32_e32 vcc, s42, v12
	v_cndmask_b32_e32 v12, v12, v17, vcc
	v_cndmask_b32_e32 v5, v5, v13, vcc
	v_add_u32_e32 v13, 1, v5
	v_cmp_le_u32_e32 vcc, s42, v12
	v_cndmask_b32_e32 v12, v5, v13, vcc
	v_mov_b32_e32 v13, v4
	s_branch .LBB31_16
.LBB31_21:
	s_endpgm
	.section	.rodata,"a",@progbits
	.p2align	6, 0x0
	.amdhsa_kernel _ZN2at6native16triu_tril_kernelIN3c107complexIdEElLb0ELi1ELb0EEEvNS_4cuda6detail10TensorInfoIT_T0_EENS7_IKS8_S9_EEllS9_
		.amdhsa_group_segment_fixed_size 0
		.amdhsa_private_segment_fixed_size 0
		.amdhsa_kernarg_size 1112
		.amdhsa_user_sgpr_count 6
		.amdhsa_user_sgpr_private_segment_buffer 1
		.amdhsa_user_sgpr_dispatch_ptr 0
		.amdhsa_user_sgpr_queue_ptr 0
		.amdhsa_user_sgpr_kernarg_segment_ptr 1
		.amdhsa_user_sgpr_dispatch_id 0
		.amdhsa_user_sgpr_flat_scratch_init 0
		.amdhsa_user_sgpr_kernarg_preload_length 0
		.amdhsa_user_sgpr_kernarg_preload_offset 0
		.amdhsa_user_sgpr_private_segment_size 0
		.amdhsa_uses_dynamic_stack 0
		.amdhsa_system_sgpr_private_segment_wavefront_offset 0
		.amdhsa_system_sgpr_workgroup_id_x 1
		.amdhsa_system_sgpr_workgroup_id_y 0
		.amdhsa_system_sgpr_workgroup_id_z 0
		.amdhsa_system_sgpr_workgroup_info 0
		.amdhsa_system_vgpr_workitem_id 0
		.amdhsa_next_free_vgpr 25
		.amdhsa_next_free_sgpr 51
		.amdhsa_accum_offset 28
		.amdhsa_reserve_vcc 1
		.amdhsa_reserve_flat_scratch 0
		.amdhsa_float_round_mode_32 0
		.amdhsa_float_round_mode_16_64 0
		.amdhsa_float_denorm_mode_32 3
		.amdhsa_float_denorm_mode_16_64 3
		.amdhsa_dx10_clamp 1
		.amdhsa_ieee_mode 1
		.amdhsa_fp16_overflow 0
		.amdhsa_tg_split 0
		.amdhsa_exception_fp_ieee_invalid_op 0
		.amdhsa_exception_fp_denorm_src 0
		.amdhsa_exception_fp_ieee_div_zero 0
		.amdhsa_exception_fp_ieee_overflow 0
		.amdhsa_exception_fp_ieee_underflow 0
		.amdhsa_exception_fp_ieee_inexact 0
		.amdhsa_exception_int_div_zero 0
	.end_amdhsa_kernel
	.section	.text._ZN2at6native16triu_tril_kernelIN3c107complexIdEElLb0ELi1ELb0EEEvNS_4cuda6detail10TensorInfoIT_T0_EENS7_IKS8_S9_EEllS9_,"axG",@progbits,_ZN2at6native16triu_tril_kernelIN3c107complexIdEElLb0ELi1ELb0EEEvNS_4cuda6detail10TensorInfoIT_T0_EENS7_IKS8_S9_EEllS9_,comdat
.Lfunc_end31:
	.size	_ZN2at6native16triu_tril_kernelIN3c107complexIdEElLb0ELi1ELb0EEEvNS_4cuda6detail10TensorInfoIT_T0_EENS7_IKS8_S9_EEllS9_, .Lfunc_end31-_ZN2at6native16triu_tril_kernelIN3c107complexIdEElLb0ELi1ELb0EEEvNS_4cuda6detail10TensorInfoIT_T0_EENS7_IKS8_S9_EEllS9_
                                        ; -- End function
	.section	.AMDGPU.csdata,"",@progbits
; Kernel info:
; codeLenInByte = 3268
; NumSgprs: 55
; NumVgprs: 25
; NumAgprs: 0
; TotalNumVgprs: 25
; ScratchSize: 0
; MemoryBound: 1
; FloatMode: 240
; IeeeMode: 1
; LDSByteSize: 0 bytes/workgroup (compile time only)
; SGPRBlocks: 6
; VGPRBlocks: 3
; NumSGPRsForWavesPerEU: 55
; NumVGPRsForWavesPerEU: 25
; AccumOffset: 28
; Occupancy: 8
; WaveLimiterHint : 0
; COMPUTE_PGM_RSRC2:SCRATCH_EN: 0
; COMPUTE_PGM_RSRC2:USER_SGPR: 6
; COMPUTE_PGM_RSRC2:TRAP_HANDLER: 0
; COMPUTE_PGM_RSRC2:TGID_X_EN: 1
; COMPUTE_PGM_RSRC2:TGID_Y_EN: 0
; COMPUTE_PGM_RSRC2:TGID_Z_EN: 0
; COMPUTE_PGM_RSRC2:TIDIG_COMP_CNT: 0
; COMPUTE_PGM_RSRC3_GFX90A:ACCUM_OFFSET: 6
; COMPUTE_PGM_RSRC3_GFX90A:TG_SPLIT: 0
	.section	.text._ZN2at6native16triu_tril_kernelIN3c107complexIfEEiLb0ELi2ELb1EEEvNS_4cuda6detail10TensorInfoIT_T0_EENS7_IKS8_S9_EEllS9_,"axG",@progbits,_ZN2at6native16triu_tril_kernelIN3c107complexIfEEiLb0ELi2ELb1EEEvNS_4cuda6detail10TensorInfoIT_T0_EENS7_IKS8_S9_EEllS9_,comdat
	.protected	_ZN2at6native16triu_tril_kernelIN3c107complexIfEEiLb0ELi2ELb1EEEvNS_4cuda6detail10TensorInfoIT_T0_EENS7_IKS8_S9_EEllS9_ ; -- Begin function _ZN2at6native16triu_tril_kernelIN3c107complexIfEEiLb0ELi2ELb1EEEvNS_4cuda6detail10TensorInfoIT_T0_EENS7_IKS8_S9_EEllS9_
	.globl	_ZN2at6native16triu_tril_kernelIN3c107complexIfEEiLb0ELi2ELb1EEEvNS_4cuda6detail10TensorInfoIT_T0_EENS7_IKS8_S9_EEllS9_
	.p2align	8
	.type	_ZN2at6native16triu_tril_kernelIN3c107complexIfEEiLb0ELi2ELb1EEEvNS_4cuda6detail10TensorInfoIT_T0_EENS7_IKS8_S9_EEllS9_,@function
_ZN2at6native16triu_tril_kernelIN3c107complexIfEEiLb0ELi2ELb1EEEvNS_4cuda6detail10TensorInfoIT_T0_EENS7_IKS8_S9_EEllS9_: ; @_ZN2at6native16triu_tril_kernelIN3c107complexIfEEiLb0ELi2ELb1EEEvNS_4cuda6detail10TensorInfoIT_T0_EENS7_IKS8_S9_EEllS9_
; %bb.0:
	s_load_dword s2, s[4:5], 0x1d4
	s_load_dwordx4 s[8:11], s[4:5], 0x1b0
	s_add_u32 s0, s4, 0x1c8
	v_mov_b32_e32 v2, 0
	s_addc_u32 s1, s5, 0
	s_waitcnt lgkmcnt(0)
	s_and_b32 s7, s2, 0xffff
	v_mov_b32_e32 v1, v2
	v_mov_b32_e32 v3, s6
	v_mad_u64_u32 v[0:1], s[2:3], s7, v3, v[0:1]
	v_lshlrev_b64 v[0:1], 1, v[0:1]
	v_cmp_gt_i64_e32 vcc, s[10:11], v[0:1]
	s_and_saveexec_b64 s[2:3], vcc
	s_cbranch_execz .LBB32_63
; %bb.1:
	s_load_dword s33, s[4:5], 0x1c0
	s_load_dword s16, s[4:5], 0x1a8
	;; [unrolled: 1-line block ×3, first 2 shown]
	s_load_dwordx2 s[2:3], s[4:5], 0x0
	s_mov_b64 s[22:23], 0
	s_waitcnt lgkmcnt(0)
	s_ashr_i32 s38, s33, 31
	s_ashr_i32 s17, s16, 31
	s_add_u32 s39, s4, 0xe0
	s_addc_u32 s40, s5, 0
	s_lshl_b64 s[0:1], s[16:17], 2
	s_add_u32 s14, s0, -8
	s_addc_u32 s15, s1, -1
	s_add_u32 s12, s39, s14
	s_addc_u32 s13, s40, s15
	s_load_dword s41, s[12:13], 0x0
	v_cvt_f32_u32_e32 v3, s33
	s_mul_i32 s18, s6, s7
	v_cmp_gt_i64_e64 s[6:7], s[16:17], 2
	s_mov_b32 s17, 0
	s_waitcnt lgkmcnt(0)
	s_ashr_i32 s42, s41, 31
	s_add_u32 s0, s0, -4
	s_addc_u32 s1, s1, -1
	s_add_u32 s43, s4, 0x6c
	s_addc_u32 s44, s5, 0
	s_add_u32 s4, s43, s0
	s_addc_u32 s5, s44, s1
	v_rcp_iflag_f32_e32 v3, v3
	s_add_u32 s12, s43, s14
	s_addc_u32 s13, s44, s15
	s_add_i32 s45, s16, -3
	s_add_u32 s14, s39, s0
	s_addc_u32 s15, s40, s1
	s_add_i32 s0, s16, 6
	v_mul_f32_e32 v3, 0x4f7ffffe, v3
	s_lshl_b32 s46, s18, 1
	s_and_b32 s48, s0, 7
	v_cvt_u32_f32_e32 v26, v3
	s_cmp_lg_u32 s48, 0
	s_cselect_b64 s[18:19], -1, 0
	s_cmp_gt_u32 s45, 6
	s_mov_b32 s47, s17
	s_cselect_b64 s[20:21], -1, 0
	s_branch .LBB32_3
.LBB32_2:                               ;   in Loop: Header=BB32_3 Depth=1
	s_or_b64 exec, exec, s[24:25]
	v_mov_b32_e32 v3, s47
	v_add_co_u32_e32 v0, vcc, s46, v0
	v_addc_co_u32_e32 v1, vcc, v1, v3, vcc
	v_cmp_le_i64_e32 vcc, s[10:11], v[0:1]
	s_or_b64 s[22:23], vcc, s[22:23]
	s_andn2_b64 exec, exec, s[22:23]
	s_cbranch_execz .LBB32_63
.LBB32_3:                               ; =>This Loop Header: Depth=1
                                        ;     Child Loop BB32_16 Depth 2
                                        ;     Child Loop BB32_23 Depth 2
	v_or_b32_e32 v3, s38, v1
	v_cmp_ne_u64_e32 vcc, 0, v[2:3]
                                        ; implicit-def: $vgpr4_vgpr5
	s_and_saveexec_b64 s[0:1], vcc
	s_xor_b64 s[24:25], exec, s[0:1]
	s_cbranch_execz .LBB32_5
; %bb.4:                                ;   in Loop: Header=BB32_3 Depth=1
	s_add_u32 s0, s33, s38
	s_mov_b32 s26, s38
	s_mov_b32 s27, s38
	s_addc_u32 s1, s38, s38
	s_xor_b64 s[28:29], s[0:1], s[26:27]
	v_cvt_f32_u32_e32 v3, s28
	v_cvt_f32_u32_e32 v4, s29
	s_sub_u32 s0, 0, s28
	s_subb_u32 s1, 0, s29
	v_mac_f32_e32 v3, 0x4f800000, v4
	v_rcp_f32_e32 v3, v3
	v_mul_f32_e32 v3, 0x5f7ffffc, v3
	v_mul_f32_e32 v4, 0x2f800000, v3
	v_trunc_f32_e32 v4, v4
	v_mac_f32_e32 v3, 0xcf800000, v4
	v_cvt_u32_f32_e32 v4, v4
	v_cvt_u32_f32_e32 v3, v3
	v_mul_lo_u32 v5, s0, v4
	v_mul_hi_u32 v7, s0, v3
	v_mul_lo_u32 v6, s1, v3
	v_add_u32_e32 v5, v7, v5
	v_mul_lo_u32 v8, s0, v3
	v_add_u32_e32 v5, v5, v6
	v_mul_lo_u32 v7, v3, v5
	v_mul_hi_u32 v9, v3, v8
	v_mul_hi_u32 v6, v3, v5
	v_add_co_u32_e32 v7, vcc, v9, v7
	v_addc_co_u32_e32 v6, vcc, 0, v6, vcc
	v_mul_hi_u32 v10, v4, v8
	v_mul_lo_u32 v8, v4, v8
	v_add_co_u32_e32 v7, vcc, v7, v8
	v_mul_hi_u32 v9, v4, v5
	v_addc_co_u32_e32 v6, vcc, v6, v10, vcc
	v_addc_co_u32_e32 v7, vcc, 0, v9, vcc
	v_mul_lo_u32 v5, v4, v5
	v_add_co_u32_e32 v5, vcc, v6, v5
	v_addc_co_u32_e32 v6, vcc, 0, v7, vcc
	v_add_co_u32_e32 v3, vcc, v3, v5
	v_addc_co_u32_e32 v4, vcc, v4, v6, vcc
	v_mul_lo_u32 v5, s0, v4
	v_mul_hi_u32 v6, s0, v3
	v_add_u32_e32 v5, v6, v5
	v_mul_lo_u32 v6, s1, v3
	v_add_u32_e32 v5, v5, v6
	v_mul_lo_u32 v7, s0, v3
	v_mul_hi_u32 v8, v4, v7
	v_mul_lo_u32 v9, v4, v7
	v_mul_lo_u32 v11, v3, v5
	v_mul_hi_u32 v7, v3, v7
	v_mul_hi_u32 v10, v3, v5
	v_add_co_u32_e32 v7, vcc, v7, v11
	v_addc_co_u32_e32 v10, vcc, 0, v10, vcc
	v_add_co_u32_e32 v7, vcc, v7, v9
	v_mul_hi_u32 v6, v4, v5
	v_addc_co_u32_e32 v7, vcc, v10, v8, vcc
	v_addc_co_u32_e32 v6, vcc, 0, v6, vcc
	v_mul_lo_u32 v5, v4, v5
	v_add_co_u32_e32 v5, vcc, v7, v5
	v_addc_co_u32_e32 v6, vcc, 0, v6, vcc
	v_add_co_u32_e32 v3, vcc, v3, v5
	v_addc_co_u32_e32 v6, vcc, v4, v6, vcc
	v_ashrrev_i32_e32 v8, 31, v1
	v_add_co_u32_e32 v4, vcc, v0, v8
	v_addc_co_u32_e32 v5, vcc, v1, v8, vcc
	v_xor_b32_e32 v10, v4, v8
	v_xor_b32_e32 v9, v5, v8
	v_mad_u64_u32 v[4:5], s[0:1], v10, v6, 0
	v_mul_hi_u32 v7, v10, v3
	v_add_co_u32_e32 v11, vcc, v7, v4
	v_addc_co_u32_e32 v12, vcc, 0, v5, vcc
	v_mad_u64_u32 v[4:5], s[0:1], v9, v6, 0
	v_mad_u64_u32 v[6:7], s[0:1], v9, v3, 0
	v_add_co_u32_e32 v3, vcc, v11, v6
	v_addc_co_u32_e32 v3, vcc, v12, v7, vcc
	v_addc_co_u32_e32 v5, vcc, 0, v5, vcc
	v_add_co_u32_e32 v3, vcc, v3, v4
	v_addc_co_u32_e32 v6, vcc, 0, v5, vcc
	v_mul_lo_u32 v7, s29, v3
	v_mul_lo_u32 v11, s28, v6
	v_mad_u64_u32 v[4:5], s[0:1], s28, v3, 0
	v_add3_u32 v5, v5, v11, v7
	v_sub_u32_e32 v7, v9, v5
	v_mov_b32_e32 v11, s29
	v_sub_co_u32_e32 v4, vcc, v10, v4
	v_subb_co_u32_e64 v7, s[0:1], v7, v11, vcc
	v_subrev_co_u32_e64 v10, s[0:1], s28, v4
	v_subbrev_co_u32_e64 v7, s[0:1], 0, v7, s[0:1]
	v_cmp_le_u32_e64 s[0:1], s29, v7
	v_cndmask_b32_e64 v11, 0, -1, s[0:1]
	v_cmp_le_u32_e64 s[0:1], s28, v10
	v_cndmask_b32_e64 v10, 0, -1, s[0:1]
	v_cmp_eq_u32_e64 s[0:1], s29, v7
	v_cndmask_b32_e64 v7, v11, v10, s[0:1]
	v_add_co_u32_e64 v10, s[0:1], 2, v3
	v_subb_co_u32_e32 v5, vcc, v9, v5, vcc
	v_addc_co_u32_e64 v11, s[0:1], 0, v6, s[0:1]
	v_cmp_le_u32_e32 vcc, s29, v5
	v_add_co_u32_e64 v12, s[0:1], 1, v3
	v_cndmask_b32_e64 v9, 0, -1, vcc
	v_cmp_le_u32_e32 vcc, s28, v4
	v_addc_co_u32_e64 v13, s[0:1], 0, v6, s[0:1]
	v_cndmask_b32_e64 v4, 0, -1, vcc
	v_cmp_eq_u32_e32 vcc, s29, v5
	v_cmp_ne_u32_e64 s[0:1], 0, v7
	v_cndmask_b32_e32 v4, v9, v4, vcc
	v_cndmask_b32_e64 v7, v13, v11, s[0:1]
	v_cmp_ne_u32_e32 vcc, 0, v4
	v_cndmask_b32_e64 v5, v12, v10, s[0:1]
	v_cndmask_b32_e32 v4, v6, v7, vcc
	v_cndmask_b32_e32 v3, v3, v5, vcc
	v_xor_b32_e32 v6, s26, v8
	v_xor_b32_e32 v5, s27, v8
	;; [unrolled: 1-line block ×4, first 2 shown]
	v_sub_co_u32_e32 v4, vcc, v3, v6
	v_subb_co_u32_e32 v5, vcc, v7, v5, vcc
.LBB32_5:                               ;   in Loop: Header=BB32_3 Depth=1
	s_andn2_saveexec_b64 s[0:1], s[24:25]
	s_cbranch_execz .LBB32_7
; %bb.6:                                ;   in Loop: Header=BB32_3 Depth=1
	s_sub_i32 s16, 0, s33
	v_mul_lo_u32 v3, s16, v26
	v_mul_hi_u32 v3, v26, v3
	v_add_u32_e32 v3, v26, v3
	v_mul_hi_u32 v3, v0, v3
	v_mul_lo_u32 v4, v3, s33
	v_sub_u32_e32 v4, v0, v4
	v_subrev_u32_e32 v5, s33, v4
	v_cmp_le_u32_e32 vcc, s33, v4
	v_cndmask_b32_e32 v4, v4, v5, vcc
	v_add_u32_e32 v5, 1, v3
	v_cndmask_b32_e32 v3, v3, v5, vcc
	v_add_u32_e32 v5, 1, v3
	v_cmp_le_u32_e32 vcc, s33, v4
	v_cndmask_b32_e32 v4, v3, v5, vcc
	v_mov_b32_e32 v5, v2
.LBB32_7:                               ;   in Loop: Header=BB32_3 Depth=1
	s_or_b64 exec, exec, s[0:1]
	v_or_b32_e32 v3, s42, v5
	v_cmp_ne_u64_e32 vcc, 0, v[2:3]
                                        ; implicit-def: $vgpr8_vgpr9
	s_and_saveexec_b64 s[0:1], vcc
	s_xor_b64 s[24:25], exec, s[0:1]
	s_cbranch_execz .LBB32_9
; %bb.8:                                ;   in Loop: Header=BB32_3 Depth=1
	s_add_u32 s0, s41, s42
	s_mov_b32 s26, s42
	s_mov_b32 s27, s42
	s_addc_u32 s1, s42, s42
	s_xor_b64 s[28:29], s[0:1], s[26:27]
	v_cvt_f32_u32_e32 v3, s28
	v_cvt_f32_u32_e32 v6, s29
	s_sub_u32 s0, 0, s28
	s_subb_u32 s1, 0, s29
	v_mac_f32_e32 v3, 0x4f800000, v6
	v_rcp_f32_e32 v3, v3
	v_mul_f32_e32 v3, 0x5f7ffffc, v3
	v_mul_f32_e32 v6, 0x2f800000, v3
	v_trunc_f32_e32 v6, v6
	v_mac_f32_e32 v3, 0xcf800000, v6
	v_cvt_u32_f32_e32 v6, v6
	v_cvt_u32_f32_e32 v3, v3
	v_mul_lo_u32 v7, s0, v6
	v_mul_hi_u32 v9, s0, v3
	v_mul_lo_u32 v8, s1, v3
	v_add_u32_e32 v7, v9, v7
	v_mul_lo_u32 v10, s0, v3
	v_add_u32_e32 v7, v7, v8
	v_mul_lo_u32 v9, v3, v7
	v_mul_hi_u32 v11, v3, v10
	v_mul_hi_u32 v8, v3, v7
	v_add_co_u32_e32 v9, vcc, v11, v9
	v_addc_co_u32_e32 v8, vcc, 0, v8, vcc
	v_mul_hi_u32 v12, v6, v10
	v_mul_lo_u32 v10, v6, v10
	v_add_co_u32_e32 v9, vcc, v9, v10
	v_mul_hi_u32 v11, v6, v7
	v_addc_co_u32_e32 v8, vcc, v8, v12, vcc
	v_addc_co_u32_e32 v9, vcc, 0, v11, vcc
	v_mul_lo_u32 v7, v6, v7
	v_add_co_u32_e32 v7, vcc, v8, v7
	v_addc_co_u32_e32 v8, vcc, 0, v9, vcc
	v_add_co_u32_e32 v3, vcc, v3, v7
	v_addc_co_u32_e32 v6, vcc, v6, v8, vcc
	v_mul_lo_u32 v7, s0, v6
	v_mul_hi_u32 v8, s0, v3
	v_add_u32_e32 v7, v8, v7
	v_mul_lo_u32 v8, s1, v3
	v_add_u32_e32 v7, v7, v8
	v_mul_lo_u32 v9, s0, v3
	v_mul_hi_u32 v10, v6, v9
	v_mul_lo_u32 v11, v6, v9
	v_mul_lo_u32 v13, v3, v7
	v_mul_hi_u32 v9, v3, v9
	v_mul_hi_u32 v12, v3, v7
	v_add_co_u32_e32 v9, vcc, v9, v13
	v_addc_co_u32_e32 v12, vcc, 0, v12, vcc
	v_add_co_u32_e32 v9, vcc, v9, v11
	v_mul_hi_u32 v8, v6, v7
	v_addc_co_u32_e32 v9, vcc, v12, v10, vcc
	v_addc_co_u32_e32 v8, vcc, 0, v8, vcc
	v_mul_lo_u32 v7, v6, v7
	v_add_co_u32_e32 v7, vcc, v9, v7
	v_addc_co_u32_e32 v8, vcc, 0, v8, vcc
	v_add_co_u32_e32 v3, vcc, v3, v7
	v_addc_co_u32_e32 v8, vcc, v6, v8, vcc
	v_ashrrev_i32_e32 v10, 31, v5
	v_add_co_u32_e32 v6, vcc, v4, v10
	v_xor_b32_e32 v11, v6, v10
	v_addc_co_u32_e32 v5, vcc, v5, v10, vcc
	v_mad_u64_u32 v[6:7], s[0:1], v11, v8, 0
	v_mul_hi_u32 v9, v11, v3
	v_xor_b32_e32 v5, v5, v10
	v_add_co_u32_e32 v12, vcc, v9, v6
	v_addc_co_u32_e32 v13, vcc, 0, v7, vcc
	v_mad_u64_u32 v[6:7], s[0:1], v5, v8, 0
	v_mad_u64_u32 v[8:9], s[0:1], v5, v3, 0
	v_add_co_u32_e32 v3, vcc, v12, v8
	v_addc_co_u32_e32 v3, vcc, v13, v9, vcc
	v_addc_co_u32_e32 v7, vcc, 0, v7, vcc
	v_add_co_u32_e32 v3, vcc, v3, v6
	v_addc_co_u32_e32 v8, vcc, 0, v7, vcc
	v_mul_lo_u32 v9, s29, v3
	v_mul_lo_u32 v12, s28, v8
	v_mad_u64_u32 v[6:7], s[0:1], s28, v3, 0
	v_add3_u32 v7, v7, v12, v9
	v_sub_u32_e32 v9, v5, v7
	v_mov_b32_e32 v12, s29
	v_sub_co_u32_e32 v6, vcc, v11, v6
	v_subb_co_u32_e64 v9, s[0:1], v9, v12, vcc
	v_subrev_co_u32_e64 v11, s[0:1], s28, v6
	v_subbrev_co_u32_e64 v9, s[0:1], 0, v9, s[0:1]
	v_cmp_le_u32_e64 s[0:1], s29, v9
	v_cndmask_b32_e64 v12, 0, -1, s[0:1]
	v_cmp_le_u32_e64 s[0:1], s28, v11
	v_cndmask_b32_e64 v11, 0, -1, s[0:1]
	v_cmp_eq_u32_e64 s[0:1], s29, v9
	v_cndmask_b32_e64 v9, v12, v11, s[0:1]
	v_add_co_u32_e64 v11, s[0:1], 2, v3
	v_subb_co_u32_e32 v5, vcc, v5, v7, vcc
	v_addc_co_u32_e64 v12, s[0:1], 0, v8, s[0:1]
	v_cmp_le_u32_e32 vcc, s29, v5
	v_add_co_u32_e64 v13, s[0:1], 1, v3
	v_cndmask_b32_e64 v7, 0, -1, vcc
	v_cmp_le_u32_e32 vcc, s28, v6
	v_addc_co_u32_e64 v14, s[0:1], 0, v8, s[0:1]
	v_cndmask_b32_e64 v6, 0, -1, vcc
	v_cmp_eq_u32_e32 vcc, s29, v5
	v_cmp_ne_u32_e64 s[0:1], 0, v9
	v_cndmask_b32_e32 v5, v7, v6, vcc
	v_cmp_ne_u32_e32 vcc, 0, v5
	v_cndmask_b32_e64 v6, v13, v11, s[0:1]
	v_cndmask_b32_e64 v9, v14, v12, s[0:1]
	v_cndmask_b32_e32 v3, v3, v6, vcc
	v_xor_b32_e32 v7, s26, v10
	v_cndmask_b32_e32 v5, v8, v9, vcc
	v_xor_b32_e32 v6, s27, v10
	v_xor_b32_e32 v3, v3, v7
	;; [unrolled: 1-line block ×3, first 2 shown]
	v_sub_co_u32_e32 v8, vcc, v3, v7
	v_subb_co_u32_e32 v9, vcc, v5, v6, vcc
.LBB32_9:                               ;   in Loop: Header=BB32_3 Depth=1
	s_andn2_saveexec_b64 s[0:1], s[24:25]
	s_cbranch_execz .LBB32_11
; %bb.10:                               ;   in Loop: Header=BB32_3 Depth=1
	v_cvt_f32_u32_e32 v3, s41
	s_sub_i32 s16, 0, s41
	v_mov_b32_e32 v9, v2
	v_rcp_iflag_f32_e32 v3, v3
	v_mul_f32_e32 v3, 0x4f7ffffe, v3
	v_cvt_u32_f32_e32 v3, v3
	v_mul_lo_u32 v5, s16, v3
	v_mul_hi_u32 v5, v3, v5
	v_add_u32_e32 v3, v3, v5
	v_mul_hi_u32 v3, v4, v3
	v_mul_lo_u32 v5, v3, s41
	v_sub_u32_e32 v5, v4, v5
	v_add_u32_e32 v6, 1, v3
	v_subrev_u32_e32 v7, s41, v5
	v_cmp_le_u32_e32 vcc, s41, v5
	v_cndmask_b32_e32 v5, v5, v7, vcc
	v_cndmask_b32_e32 v3, v3, v6, vcc
	v_add_u32_e32 v6, 1, v3
	v_cmp_le_u32_e32 vcc, s41, v5
	v_cndmask_b32_e32 v8, v3, v6, vcc
.LBB32_11:                              ;   in Loop: Header=BB32_3 Depth=1
	s_or_b64 exec, exec, s[0:1]
	v_mad_u64_u32 v[6:7], s[0:1], v4, s33, 0
	v_sub_co_u32_e32 v28, vcc, v0, v6
	v_mad_u64_u32 v[6:7], s[0:1], v8, s41, 0
	v_sub_co_u32_e32 v27, vcc, v4, v6
	v_sub_u32_e32 v4, v28, v27
	v_add_u32_e32 v6, 2, v4
	v_ashrrev_i32_e32 v7, 31, v6
	v_cmp_lt_i64_e32 vcc, s[8:9], v[6:7]
	s_and_saveexec_b64 s[24:25], vcc
	s_cbranch_execz .LBB32_2
; %bb.12:                               ;   in Loop: Header=BB32_3 Depth=1
	s_load_dword s49, s[4:5], 0x0
	s_load_dword s0, s[12:13], 0x0
	s_andn2_b64 vcc, exec, s[6:7]
	s_waitcnt lgkmcnt(0)
	v_mul_lo_u32 v6, s49, v28
	v_mad_u64_u32 v[6:7], s[0:1], s0, v27, v[6:7]
	s_cbranch_vccnz .LBB32_57
; %bb.13:                               ;   in Loop: Header=BB32_3 Depth=1
	s_andn2_b64 vcc, exec, s[18:19]
	s_cbranch_vccnz .LBB32_20
; %bb.14:                               ;   in Loop: Header=BB32_3 Depth=1
	s_mov_b32 s36, s48
	s_mov_b32 s16, s45
	s_branch .LBB32_16
.LBB32_15:                              ;   in Loop: Header=BB32_16 Depth=2
	s_or_b64 exec, exec, s[0:1]
	s_add_u32 s0, s43, s26
	s_addc_u32 s1, s44, s27
	s_load_dword s0, s[0:1], 0x0
	v_mul_lo_u32 v3, v8, s37
	v_sub_u32_e32 v3, v10, v3
	s_add_i32 s16, s16, -1
	s_add_i32 s36, s36, -1
	s_cmp_lg_u32 s36, 0
	s_waitcnt lgkmcnt(0)
	v_mad_u64_u32 v[6:7], s[0:1], s0, v3, v[6:7]
	s_cbranch_scc0 .LBB32_21
.LBB32_16:                              ;   Parent Loop BB32_3 Depth=1
                                        ; =>  This Inner Loop Header: Depth=2
	s_lshl_b64 s[26:27], s[16:17], 2
	s_add_u32 s0, s39, s26
	s_addc_u32 s1, s40, s27
	s_load_dword s37, s[0:1], 0x0
	v_pk_mov_b32 v[10:11], v[8:9], v[8:9] op_sel:[0,1]
                                        ; implicit-def: $vgpr8_vgpr9
	s_waitcnt lgkmcnt(0)
	s_ashr_i32 s0, s37, 31
	v_or_b32_e32 v3, s0, v11
	v_cmp_ne_u64_e32 vcc, 0, v[2:3]
	s_and_saveexec_b64 s[28:29], vcc
	s_xor_b64 s[28:29], exec, s[28:29]
	s_cbranch_execz .LBB32_18
; %bb.17:                               ;   in Loop: Header=BB32_16 Depth=2
	s_add_u32 s34, s37, s0
	s_mov_b32 s30, s0
	s_mov_b32 s31, s0
	s_addc_u32 s35, s0, s0
	s_xor_b64 s[34:35], s[34:35], s[30:31]
	v_cvt_f32_u32_e32 v3, s34
	v_cvt_f32_u32_e32 v5, s35
	s_sub_u32 s0, 0, s34
	s_subb_u32 s1, 0, s35
	v_mac_f32_e32 v3, 0x4f800000, v5
	v_rcp_f32_e32 v3, v3
	v_mul_f32_e32 v3, 0x5f7ffffc, v3
	v_mul_f32_e32 v5, 0x2f800000, v3
	v_trunc_f32_e32 v5, v5
	v_mac_f32_e32 v3, 0xcf800000, v5
	v_cvt_u32_f32_e32 v5, v5
	v_cvt_u32_f32_e32 v3, v3
	v_mul_lo_u32 v7, s0, v5
	v_mul_hi_u32 v9, s0, v3
	v_mul_lo_u32 v8, s1, v3
	v_add_u32_e32 v7, v9, v7
	v_mul_lo_u32 v12, s0, v3
	v_add_u32_e32 v7, v7, v8
	v_mul_lo_u32 v9, v3, v7
	v_mul_hi_u32 v13, v3, v12
	v_mul_hi_u32 v8, v3, v7
	v_add_co_u32_e32 v9, vcc, v13, v9
	v_addc_co_u32_e32 v8, vcc, 0, v8, vcc
	v_mul_hi_u32 v14, v5, v12
	v_mul_lo_u32 v12, v5, v12
	v_add_co_u32_e32 v9, vcc, v9, v12
	v_mul_hi_u32 v13, v5, v7
	v_addc_co_u32_e32 v8, vcc, v8, v14, vcc
	v_addc_co_u32_e32 v9, vcc, 0, v13, vcc
	v_mul_lo_u32 v7, v5, v7
	v_add_co_u32_e32 v7, vcc, v8, v7
	v_addc_co_u32_e32 v8, vcc, 0, v9, vcc
	v_add_co_u32_e32 v3, vcc, v3, v7
	v_addc_co_u32_e32 v5, vcc, v5, v8, vcc
	v_mul_lo_u32 v7, s0, v5
	v_mul_hi_u32 v8, s0, v3
	v_add_u32_e32 v7, v8, v7
	v_mul_lo_u32 v8, s1, v3
	v_add_u32_e32 v7, v7, v8
	v_mul_lo_u32 v9, s0, v3
	v_mul_hi_u32 v12, v5, v9
	v_mul_lo_u32 v13, v5, v9
	v_mul_lo_u32 v15, v3, v7
	v_mul_hi_u32 v9, v3, v9
	v_mul_hi_u32 v14, v3, v7
	v_add_co_u32_e32 v9, vcc, v9, v15
	v_addc_co_u32_e32 v14, vcc, 0, v14, vcc
	v_add_co_u32_e32 v9, vcc, v9, v13
	v_mul_hi_u32 v8, v5, v7
	v_addc_co_u32_e32 v9, vcc, v14, v12, vcc
	v_addc_co_u32_e32 v8, vcc, 0, v8, vcc
	v_mul_lo_u32 v7, v5, v7
	v_add_co_u32_e32 v7, vcc, v9, v7
	v_addc_co_u32_e32 v8, vcc, 0, v8, vcc
	v_add_co_u32_e32 v3, vcc, v3, v7
	v_addc_co_u32_e32 v5, vcc, v5, v8, vcc
	v_ashrrev_i32_e32 v7, 31, v11
	v_add_co_u32_e32 v8, vcc, v10, v7
	v_addc_co_u32_e32 v9, vcc, v11, v7, vcc
	v_xor_b32_e32 v14, v8, v7
	v_xor_b32_e32 v11, v9, v7
	v_mad_u64_u32 v[8:9], s[0:1], v14, v5, 0
	v_mul_hi_u32 v12, v14, v3
	v_add_co_u32_e32 v15, vcc, v12, v8
	v_addc_co_u32_e32 v16, vcc, 0, v9, vcc
	v_mad_u64_u32 v[12:13], s[0:1], v11, v3, 0
	v_add_co_u32_e32 v3, vcc, v15, v12
	v_mad_u64_u32 v[8:9], s[0:1], v11, v5, 0
	v_addc_co_u32_e32 v3, vcc, v16, v13, vcc
	v_addc_co_u32_e32 v5, vcc, 0, v9, vcc
	v_add_co_u32_e32 v3, vcc, v3, v8
	v_addc_co_u32_e32 v5, vcc, 0, v5, vcc
	v_mul_lo_u32 v12, s35, v3
	v_mul_lo_u32 v13, s34, v5
	v_mad_u64_u32 v[8:9], s[0:1], s34, v3, 0
	v_add3_u32 v9, v9, v13, v12
	v_sub_u32_e32 v12, v11, v9
	v_mov_b32_e32 v13, s35
	v_sub_co_u32_e32 v8, vcc, v14, v8
	v_subb_co_u32_e64 v12, s[0:1], v12, v13, vcc
	v_subrev_co_u32_e64 v13, s[0:1], s34, v8
	v_subbrev_co_u32_e64 v12, s[0:1], 0, v12, s[0:1]
	v_cmp_le_u32_e64 s[0:1], s35, v12
	v_cndmask_b32_e64 v14, 0, -1, s[0:1]
	v_cmp_le_u32_e64 s[0:1], s34, v13
	v_cndmask_b32_e64 v13, 0, -1, s[0:1]
	v_cmp_eq_u32_e64 s[0:1], s35, v12
	v_cndmask_b32_e64 v12, v14, v13, s[0:1]
	v_add_co_u32_e64 v13, s[0:1], 2, v3
	v_subb_co_u32_e32 v9, vcc, v11, v9, vcc
	v_addc_co_u32_e64 v14, s[0:1], 0, v5, s[0:1]
	v_cmp_le_u32_e32 vcc, s35, v9
	v_add_co_u32_e64 v15, s[0:1], 1, v3
	v_cndmask_b32_e64 v11, 0, -1, vcc
	v_cmp_le_u32_e32 vcc, s34, v8
	v_addc_co_u32_e64 v16, s[0:1], 0, v5, s[0:1]
	v_cndmask_b32_e64 v8, 0, -1, vcc
	v_cmp_eq_u32_e32 vcc, s35, v9
	v_cmp_ne_u32_e64 s[0:1], 0, v12
	v_cndmask_b32_e32 v8, v11, v8, vcc
	v_cmp_ne_u32_e32 vcc, 0, v8
	v_cndmask_b32_e64 v8, v15, v13, s[0:1]
	v_cndmask_b32_e64 v12, v16, v14, s[0:1]
	v_cndmask_b32_e32 v3, v3, v8, vcc
	v_xor_b32_e32 v9, s31, v7
	v_xor_b32_e32 v7, s30, v7
	v_cndmask_b32_e32 v5, v5, v12, vcc
	v_xor_b32_e32 v3, v3, v7
	v_xor_b32_e32 v5, v5, v9
	v_sub_co_u32_e32 v8, vcc, v3, v7
	v_subb_co_u32_e32 v9, vcc, v5, v9, vcc
.LBB32_18:                              ;   in Loop: Header=BB32_16 Depth=2
	s_andn2_saveexec_b64 s[0:1], s[28:29]
	s_cbranch_execz .LBB32_15
; %bb.19:                               ;   in Loop: Header=BB32_16 Depth=2
	v_cvt_f32_u32_e32 v3, s37
	s_sub_i32 s28, 0, s37
	v_mov_b32_e32 v9, v2
	v_rcp_iflag_f32_e32 v3, v3
	v_mul_f32_e32 v3, 0x4f7ffffe, v3
	v_cvt_u32_f32_e32 v3, v3
	v_mul_lo_u32 v5, s28, v3
	v_mul_hi_u32 v5, v3, v5
	v_add_u32_e32 v3, v3, v5
	v_mul_hi_u32 v3, v10, v3
	v_mul_lo_u32 v5, v3, s37
	v_sub_u32_e32 v5, v10, v5
	v_add_u32_e32 v7, 1, v3
	v_subrev_u32_e32 v8, s37, v5
	v_cmp_le_u32_e32 vcc, s37, v5
	v_cndmask_b32_e32 v5, v5, v8, vcc
	v_cndmask_b32_e32 v3, v3, v7, vcc
	v_add_u32_e32 v7, 1, v3
	v_cmp_le_u32_e32 vcc, s37, v5
	v_cndmask_b32_e32 v8, v3, v7, vcc
	s_branch .LBB32_15
.LBB32_20:                              ;   in Loop: Header=BB32_3 Depth=1
	s_mov_b32 s16, s45
.LBB32_21:                              ;   in Loop: Header=BB32_3 Depth=1
	s_andn2_b64 vcc, exec, s[20:21]
	s_cbranch_vccnz .LBB32_57
; %bb.22:                               ;   in Loop: Header=BB32_3 Depth=1
	s_add_i32 s26, s16, -7
.LBB32_23:                              ;   Parent Loop BB32_3 Depth=1
                                        ; =>  This Inner Loop Header: Depth=2
	s_add_i32 s16, s26, 7
	s_lshl_b64 s[28:29], s[16:17], 2
	s_add_u32 s0, s39, s28
	s_addc_u32 s1, s40, s29
	s_load_dword s50, s[0:1], 0x0
                                        ; implicit-def: $vgpr10_vgpr11
	s_waitcnt lgkmcnt(0)
	s_ashr_i32 s0, s50, 31
	v_or_b32_e32 v3, s0, v9
	v_cmp_ne_u64_e32 vcc, 0, v[2:3]
	s_and_saveexec_b64 s[30:31], vcc
	s_xor_b64 s[30:31], exec, s[30:31]
	s_cbranch_execz .LBB32_25
; %bb.24:                               ;   in Loop: Header=BB32_23 Depth=2
	s_add_u32 s36, s50, s0
	s_mov_b32 s34, s0
	s_mov_b32 s35, s0
	s_addc_u32 s37, s0, s0
	s_xor_b64 s[36:37], s[36:37], s[34:35]
	v_cvt_f32_u32_e32 v3, s36
	v_cvt_f32_u32_e32 v5, s37
	s_sub_u32 s0, 0, s36
	s_subb_u32 s1, 0, s37
	v_mac_f32_e32 v3, 0x4f800000, v5
	v_rcp_f32_e32 v3, v3
	v_mul_f32_e32 v3, 0x5f7ffffc, v3
	v_mul_f32_e32 v5, 0x2f800000, v3
	v_trunc_f32_e32 v5, v5
	v_mac_f32_e32 v3, 0xcf800000, v5
	v_cvt_u32_f32_e32 v5, v5
	v_cvt_u32_f32_e32 v3, v3
	v_mul_lo_u32 v7, s0, v5
	v_mul_hi_u32 v11, s0, v3
	v_mul_lo_u32 v10, s1, v3
	v_add_u32_e32 v7, v11, v7
	v_mul_lo_u32 v12, s0, v3
	v_add_u32_e32 v7, v7, v10
	v_mul_lo_u32 v11, v3, v7
	v_mul_hi_u32 v13, v3, v12
	v_mul_hi_u32 v10, v3, v7
	v_add_co_u32_e32 v11, vcc, v13, v11
	v_addc_co_u32_e32 v10, vcc, 0, v10, vcc
	v_mul_hi_u32 v14, v5, v12
	v_mul_lo_u32 v12, v5, v12
	v_add_co_u32_e32 v11, vcc, v11, v12
	v_mul_hi_u32 v13, v5, v7
	v_addc_co_u32_e32 v10, vcc, v10, v14, vcc
	v_addc_co_u32_e32 v11, vcc, 0, v13, vcc
	v_mul_lo_u32 v7, v5, v7
	v_add_co_u32_e32 v7, vcc, v10, v7
	v_addc_co_u32_e32 v10, vcc, 0, v11, vcc
	v_add_co_u32_e32 v3, vcc, v3, v7
	v_addc_co_u32_e32 v5, vcc, v5, v10, vcc
	v_mul_lo_u32 v7, s0, v5
	v_mul_hi_u32 v10, s0, v3
	v_add_u32_e32 v7, v10, v7
	v_mul_lo_u32 v10, s1, v3
	v_add_u32_e32 v7, v7, v10
	v_mul_lo_u32 v11, s0, v3
	v_mul_hi_u32 v12, v5, v11
	v_mul_lo_u32 v13, v5, v11
	v_mul_lo_u32 v15, v3, v7
	v_mul_hi_u32 v11, v3, v11
	v_mul_hi_u32 v14, v3, v7
	v_add_co_u32_e32 v11, vcc, v11, v15
	v_addc_co_u32_e32 v14, vcc, 0, v14, vcc
	v_add_co_u32_e32 v11, vcc, v11, v13
	v_mul_hi_u32 v10, v5, v7
	v_addc_co_u32_e32 v11, vcc, v14, v12, vcc
	v_addc_co_u32_e32 v10, vcc, 0, v10, vcc
	v_mul_lo_u32 v7, v5, v7
	v_add_co_u32_e32 v7, vcc, v11, v7
	v_addc_co_u32_e32 v10, vcc, 0, v10, vcc
	v_add_co_u32_e32 v3, vcc, v3, v7
	v_addc_co_u32_e32 v5, vcc, v5, v10, vcc
	v_ashrrev_i32_e32 v7, 31, v9
	v_add_co_u32_e32 v10, vcc, v8, v7
	v_xor_b32_e32 v14, v10, v7
	v_addc_co_u32_e32 v9, vcc, v9, v7, vcc
	v_mad_u64_u32 v[10:11], s[0:1], v14, v5, 0
	v_mul_hi_u32 v12, v14, v3
	v_xor_b32_e32 v9, v9, v7
	v_add_co_u32_e32 v15, vcc, v12, v10
	v_addc_co_u32_e32 v16, vcc, 0, v11, vcc
	v_mad_u64_u32 v[12:13], s[0:1], v9, v3, 0
	v_add_co_u32_e32 v3, vcc, v15, v12
	v_mad_u64_u32 v[10:11], s[0:1], v9, v5, 0
	v_addc_co_u32_e32 v3, vcc, v16, v13, vcc
	v_addc_co_u32_e32 v5, vcc, 0, v11, vcc
	v_add_co_u32_e32 v3, vcc, v3, v10
	v_addc_co_u32_e32 v5, vcc, 0, v5, vcc
	v_mul_lo_u32 v12, s37, v3
	v_mul_lo_u32 v13, s36, v5
	v_mad_u64_u32 v[10:11], s[0:1], s36, v3, 0
	v_add3_u32 v11, v11, v13, v12
	v_sub_u32_e32 v12, v9, v11
	v_mov_b32_e32 v13, s37
	v_sub_co_u32_e32 v10, vcc, v14, v10
	v_subb_co_u32_e64 v12, s[0:1], v12, v13, vcc
	v_subrev_co_u32_e64 v13, s[0:1], s36, v10
	v_subbrev_co_u32_e64 v12, s[0:1], 0, v12, s[0:1]
	v_cmp_le_u32_e64 s[0:1], s37, v12
	v_cndmask_b32_e64 v14, 0, -1, s[0:1]
	v_cmp_le_u32_e64 s[0:1], s36, v13
	v_cndmask_b32_e64 v13, 0, -1, s[0:1]
	v_cmp_eq_u32_e64 s[0:1], s37, v12
	v_cndmask_b32_e64 v12, v14, v13, s[0:1]
	v_add_co_u32_e64 v13, s[0:1], 2, v3
	v_subb_co_u32_e32 v9, vcc, v9, v11, vcc
	v_addc_co_u32_e64 v14, s[0:1], 0, v5, s[0:1]
	v_cmp_le_u32_e32 vcc, s37, v9
	v_add_co_u32_e64 v15, s[0:1], 1, v3
	v_cndmask_b32_e64 v11, 0, -1, vcc
	v_cmp_le_u32_e32 vcc, s36, v10
	v_addc_co_u32_e64 v16, s[0:1], 0, v5, s[0:1]
	v_cndmask_b32_e64 v10, 0, -1, vcc
	v_cmp_eq_u32_e32 vcc, s37, v9
	v_cmp_ne_u32_e64 s[0:1], 0, v12
	v_cndmask_b32_e32 v9, v11, v10, vcc
	v_cmp_ne_u32_e32 vcc, 0, v9
	v_cndmask_b32_e64 v9, v15, v13, s[0:1]
	v_cndmask_b32_e64 v12, v16, v14, s[0:1]
	v_cndmask_b32_e32 v3, v3, v9, vcc
	v_xor_b32_e32 v9, s35, v7
	v_xor_b32_e32 v7, s34, v7
	v_cndmask_b32_e32 v5, v5, v12, vcc
	v_xor_b32_e32 v3, v3, v7
	v_xor_b32_e32 v5, v5, v9
	v_sub_co_u32_e32 v10, vcc, v3, v7
	v_subb_co_u32_e32 v11, vcc, v5, v9, vcc
.LBB32_25:                              ;   in Loop: Header=BB32_23 Depth=2
	s_andn2_saveexec_b64 s[0:1], s[30:31]
	s_cbranch_execz .LBB32_27
; %bb.26:                               ;   in Loop: Header=BB32_23 Depth=2
	v_cvt_f32_u32_e32 v3, s50
	s_sub_i32 s16, 0, s50
	v_mov_b32_e32 v11, v2
	v_rcp_iflag_f32_e32 v3, v3
	v_mul_f32_e32 v3, 0x4f7ffffe, v3
	v_cvt_u32_f32_e32 v3, v3
	v_mul_lo_u32 v5, s16, v3
	v_mul_hi_u32 v5, v3, v5
	v_add_u32_e32 v3, v3, v5
	v_mul_hi_u32 v3, v8, v3
	v_mul_lo_u32 v5, v3, s50
	v_sub_u32_e32 v5, v8, v5
	v_add_u32_e32 v7, 1, v3
	v_subrev_u32_e32 v9, s50, v5
	v_cmp_le_u32_e32 vcc, s50, v5
	v_cndmask_b32_e32 v5, v5, v9, vcc
	v_cndmask_b32_e32 v3, v3, v7, vcc
	v_add_u32_e32 v7, 1, v3
	v_cmp_le_u32_e32 vcc, s50, v5
	v_cndmask_b32_e32 v10, v3, v7, vcc
.LBB32_27:                              ;   in Loop: Header=BB32_23 Depth=2
	s_or_b64 exec, exec, s[0:1]
	s_add_u32 s0, s43, s28
	s_addc_u32 s1, s44, s29
	s_add_i32 s16, s26, 6
	s_lshl_b64 s[28:29], s[16:17], 2
	s_add_u32 s30, s39, s28
	s_addc_u32 s31, s40, s29
	s_load_dword s51, s[30:31], 0x0
	s_load_dword s52, s[0:1], 0x0
                                        ; implicit-def: $vgpr12_vgpr13
	s_waitcnt lgkmcnt(0)
	s_ashr_i32 s0, s51, 31
	v_or_b32_e32 v3, s0, v11
	v_cmp_ne_u64_e32 vcc, 0, v[2:3]
	s_and_saveexec_b64 s[30:31], vcc
	s_xor_b64 s[30:31], exec, s[30:31]
	s_cbranch_execz .LBB32_29
; %bb.28:                               ;   in Loop: Header=BB32_23 Depth=2
	s_add_u32 s36, s51, s0
	s_mov_b32 s34, s0
	s_mov_b32 s35, s0
	s_addc_u32 s37, s0, s0
	s_xor_b64 s[36:37], s[36:37], s[34:35]
	v_cvt_f32_u32_e32 v3, s36
	v_cvt_f32_u32_e32 v5, s37
	s_sub_u32 s0, 0, s36
	s_subb_u32 s1, 0, s37
	v_mac_f32_e32 v3, 0x4f800000, v5
	v_rcp_f32_e32 v3, v3
	v_mul_f32_e32 v3, 0x5f7ffffc, v3
	v_mul_f32_e32 v5, 0x2f800000, v3
	v_trunc_f32_e32 v5, v5
	v_mac_f32_e32 v3, 0xcf800000, v5
	v_cvt_u32_f32_e32 v5, v5
	v_cvt_u32_f32_e32 v3, v3
	v_mul_lo_u32 v7, s0, v5
	v_mul_hi_u32 v12, s0, v3
	v_mul_lo_u32 v9, s1, v3
	v_add_u32_e32 v7, v12, v7
	v_mul_lo_u32 v13, s0, v3
	v_add_u32_e32 v7, v7, v9
	v_mul_lo_u32 v12, v3, v7
	v_mul_hi_u32 v14, v3, v13
	v_mul_hi_u32 v9, v3, v7
	v_add_co_u32_e32 v12, vcc, v14, v12
	v_addc_co_u32_e32 v9, vcc, 0, v9, vcc
	v_mul_hi_u32 v15, v5, v13
	v_mul_lo_u32 v13, v5, v13
	v_add_co_u32_e32 v12, vcc, v12, v13
	v_mul_hi_u32 v14, v5, v7
	v_addc_co_u32_e32 v9, vcc, v9, v15, vcc
	v_addc_co_u32_e32 v12, vcc, 0, v14, vcc
	v_mul_lo_u32 v7, v5, v7
	v_add_co_u32_e32 v7, vcc, v9, v7
	v_addc_co_u32_e32 v9, vcc, 0, v12, vcc
	v_add_co_u32_e32 v3, vcc, v3, v7
	v_addc_co_u32_e32 v5, vcc, v5, v9, vcc
	v_mul_lo_u32 v7, s0, v5
	v_mul_hi_u32 v9, s0, v3
	v_add_u32_e32 v7, v9, v7
	v_mul_lo_u32 v9, s1, v3
	v_add_u32_e32 v7, v7, v9
	v_mul_lo_u32 v12, s0, v3
	v_mul_hi_u32 v13, v5, v12
	v_mul_lo_u32 v14, v5, v12
	v_mul_lo_u32 v16, v3, v7
	v_mul_hi_u32 v12, v3, v12
	v_mul_hi_u32 v15, v3, v7
	v_add_co_u32_e32 v12, vcc, v12, v16
	v_addc_co_u32_e32 v15, vcc, 0, v15, vcc
	v_add_co_u32_e32 v12, vcc, v12, v14
	v_mul_hi_u32 v9, v5, v7
	v_addc_co_u32_e32 v12, vcc, v15, v13, vcc
	v_addc_co_u32_e32 v9, vcc, 0, v9, vcc
	v_mul_lo_u32 v7, v5, v7
	v_add_co_u32_e32 v7, vcc, v12, v7
	v_addc_co_u32_e32 v9, vcc, 0, v9, vcc
	v_add_co_u32_e32 v3, vcc, v3, v7
	v_addc_co_u32_e32 v5, vcc, v5, v9, vcc
	v_ashrrev_i32_e32 v7, 31, v11
	v_add_co_u32_e32 v9, vcc, v10, v7
	v_xor_b32_e32 v9, v9, v7
	v_addc_co_u32_e32 v11, vcc, v11, v7, vcc
	v_mad_u64_u32 v[12:13], s[0:1], v9, v5, 0
	v_mul_hi_u32 v14, v9, v3
	v_xor_b32_e32 v11, v11, v7
	v_add_co_u32_e32 v16, vcc, v14, v12
	v_addc_co_u32_e32 v17, vcc, 0, v13, vcc
	v_mad_u64_u32 v[14:15], s[0:1], v11, v3, 0
	v_add_co_u32_e32 v3, vcc, v16, v14
	v_mad_u64_u32 v[12:13], s[0:1], v11, v5, 0
	v_addc_co_u32_e32 v3, vcc, v17, v15, vcc
	v_addc_co_u32_e32 v5, vcc, 0, v13, vcc
	v_add_co_u32_e32 v3, vcc, v3, v12
	v_addc_co_u32_e32 v5, vcc, 0, v5, vcc
	v_mul_lo_u32 v14, s37, v3
	v_mul_lo_u32 v15, s36, v5
	v_mad_u64_u32 v[12:13], s[0:1], s36, v3, 0
	v_add3_u32 v13, v13, v15, v14
	v_sub_u32_e32 v14, v11, v13
	v_mov_b32_e32 v15, s37
	v_sub_co_u32_e32 v9, vcc, v9, v12
	v_subb_co_u32_e64 v12, s[0:1], v14, v15, vcc
	v_subrev_co_u32_e64 v14, s[0:1], s36, v9
	v_subbrev_co_u32_e64 v12, s[0:1], 0, v12, s[0:1]
	v_cmp_le_u32_e64 s[0:1], s37, v12
	v_cndmask_b32_e64 v15, 0, -1, s[0:1]
	v_cmp_le_u32_e64 s[0:1], s36, v14
	v_cndmask_b32_e64 v14, 0, -1, s[0:1]
	v_cmp_eq_u32_e64 s[0:1], s37, v12
	v_cndmask_b32_e64 v12, v15, v14, s[0:1]
	v_add_co_u32_e64 v14, s[0:1], 2, v3
	v_subb_co_u32_e32 v11, vcc, v11, v13, vcc
	v_addc_co_u32_e64 v15, s[0:1], 0, v5, s[0:1]
	v_cmp_le_u32_e32 vcc, s37, v11
	v_add_co_u32_e64 v16, s[0:1], 1, v3
	v_cndmask_b32_e64 v13, 0, -1, vcc
	v_cmp_le_u32_e32 vcc, s36, v9
	v_addc_co_u32_e64 v17, s[0:1], 0, v5, s[0:1]
	v_cndmask_b32_e64 v9, 0, -1, vcc
	v_cmp_eq_u32_e32 vcc, s37, v11
	v_cmp_ne_u32_e64 s[0:1], 0, v12
	v_cndmask_b32_e32 v9, v13, v9, vcc
	v_cmp_ne_u32_e32 vcc, 0, v9
	v_cndmask_b32_e64 v9, v16, v14, s[0:1]
	v_cndmask_b32_e64 v12, v17, v15, s[0:1]
	v_cndmask_b32_e32 v3, v3, v9, vcc
	v_xor_b32_e32 v9, s35, v7
	v_xor_b32_e32 v7, s34, v7
	v_cndmask_b32_e32 v5, v5, v12, vcc
	v_xor_b32_e32 v3, v3, v7
	v_xor_b32_e32 v5, v5, v9
	v_sub_co_u32_e32 v12, vcc, v3, v7
	v_subb_co_u32_e32 v13, vcc, v5, v9, vcc
.LBB32_29:                              ;   in Loop: Header=BB32_23 Depth=2
	s_andn2_saveexec_b64 s[0:1], s[30:31]
	s_cbranch_execz .LBB32_31
; %bb.30:                               ;   in Loop: Header=BB32_23 Depth=2
	v_cvt_f32_u32_e32 v3, s51
	s_sub_i32 s16, 0, s51
	v_mov_b32_e32 v13, v2
	v_rcp_iflag_f32_e32 v3, v3
	v_mul_f32_e32 v3, 0x4f7ffffe, v3
	v_cvt_u32_f32_e32 v3, v3
	v_mul_lo_u32 v5, s16, v3
	v_mul_hi_u32 v5, v3, v5
	v_add_u32_e32 v3, v3, v5
	v_mul_hi_u32 v3, v10, v3
	v_mul_lo_u32 v5, v3, s51
	v_sub_u32_e32 v5, v10, v5
	v_add_u32_e32 v7, 1, v3
	v_subrev_u32_e32 v9, s51, v5
	v_cmp_le_u32_e32 vcc, s51, v5
	v_cndmask_b32_e32 v5, v5, v9, vcc
	v_cndmask_b32_e32 v3, v3, v7, vcc
	v_add_u32_e32 v7, 1, v3
	v_cmp_le_u32_e32 vcc, s51, v5
	v_cndmask_b32_e32 v12, v3, v7, vcc
.LBB32_31:                              ;   in Loop: Header=BB32_23 Depth=2
	s_or_b64 exec, exec, s[0:1]
	s_add_u32 s0, s43, s28
	s_addc_u32 s1, s44, s29
	s_add_i32 s16, s26, 5
	s_lshl_b64 s[28:29], s[16:17], 2
	s_add_u32 s30, s39, s28
	s_addc_u32 s31, s40, s29
	s_load_dword s53, s[30:31], 0x0
	s_load_dword s54, s[0:1], 0x0
                                        ; implicit-def: $vgpr14_vgpr15
	s_waitcnt lgkmcnt(0)
	s_ashr_i32 s0, s53, 31
	v_or_b32_e32 v3, s0, v13
	v_cmp_ne_u64_e32 vcc, 0, v[2:3]
	s_and_saveexec_b64 s[30:31], vcc
	s_xor_b64 s[30:31], exec, s[30:31]
	s_cbranch_execz .LBB32_33
; %bb.32:                               ;   in Loop: Header=BB32_23 Depth=2
	s_add_u32 s36, s53, s0
	s_mov_b32 s34, s0
	s_mov_b32 s35, s0
	s_addc_u32 s37, s0, s0
	s_xor_b64 s[36:37], s[36:37], s[34:35]
	v_cvt_f32_u32_e32 v3, s36
	v_cvt_f32_u32_e32 v5, s37
	s_sub_u32 s0, 0, s36
	s_subb_u32 s1, 0, s37
	v_mac_f32_e32 v3, 0x4f800000, v5
	v_rcp_f32_e32 v3, v3
	v_mul_f32_e32 v3, 0x5f7ffffc, v3
	v_mul_f32_e32 v5, 0x2f800000, v3
	v_trunc_f32_e32 v5, v5
	v_mac_f32_e32 v3, 0xcf800000, v5
	v_cvt_u32_f32_e32 v5, v5
	v_cvt_u32_f32_e32 v3, v3
	v_mul_lo_u32 v7, s0, v5
	v_mul_hi_u32 v11, s0, v3
	v_mul_lo_u32 v9, s1, v3
	v_add_u32_e32 v7, v11, v7
	v_mul_lo_u32 v14, s0, v3
	v_add_u32_e32 v7, v7, v9
	v_mul_lo_u32 v11, v3, v7
	v_mul_hi_u32 v15, v3, v14
	v_mul_hi_u32 v9, v3, v7
	v_add_co_u32_e32 v11, vcc, v15, v11
	v_addc_co_u32_e32 v9, vcc, 0, v9, vcc
	v_mul_hi_u32 v16, v5, v14
	v_mul_lo_u32 v14, v5, v14
	v_add_co_u32_e32 v11, vcc, v11, v14
	v_mul_hi_u32 v15, v5, v7
	v_addc_co_u32_e32 v9, vcc, v9, v16, vcc
	v_addc_co_u32_e32 v11, vcc, 0, v15, vcc
	v_mul_lo_u32 v7, v5, v7
	v_add_co_u32_e32 v7, vcc, v9, v7
	v_addc_co_u32_e32 v9, vcc, 0, v11, vcc
	v_add_co_u32_e32 v3, vcc, v3, v7
	v_addc_co_u32_e32 v5, vcc, v5, v9, vcc
	v_mul_lo_u32 v7, s0, v5
	v_mul_hi_u32 v9, s0, v3
	v_add_u32_e32 v7, v9, v7
	v_mul_lo_u32 v9, s1, v3
	v_add_u32_e32 v7, v7, v9
	v_mul_lo_u32 v11, s0, v3
	v_mul_hi_u32 v14, v5, v11
	v_mul_lo_u32 v15, v5, v11
	v_mul_lo_u32 v17, v3, v7
	v_mul_hi_u32 v11, v3, v11
	v_mul_hi_u32 v16, v3, v7
	v_add_co_u32_e32 v11, vcc, v11, v17
	v_addc_co_u32_e32 v16, vcc, 0, v16, vcc
	v_add_co_u32_e32 v11, vcc, v11, v15
	v_mul_hi_u32 v9, v5, v7
	v_addc_co_u32_e32 v11, vcc, v16, v14, vcc
	v_addc_co_u32_e32 v9, vcc, 0, v9, vcc
	v_mul_lo_u32 v7, v5, v7
	v_add_co_u32_e32 v7, vcc, v11, v7
	v_addc_co_u32_e32 v9, vcc, 0, v9, vcc
	v_add_co_u32_e32 v3, vcc, v3, v7
	v_addc_co_u32_e32 v5, vcc, v5, v9, vcc
	v_ashrrev_i32_e32 v7, 31, v13
	v_add_co_u32_e32 v9, vcc, v12, v7
	v_xor_b32_e32 v9, v9, v7
	v_addc_co_u32_e32 v11, vcc, v13, v7, vcc
	v_mad_u64_u32 v[14:15], s[0:1], v9, v5, 0
	v_mul_hi_u32 v13, v9, v3
	v_xor_b32_e32 v11, v11, v7
	v_add_co_u32_e32 v13, vcc, v13, v14
	v_addc_co_u32_e32 v18, vcc, 0, v15, vcc
	v_mad_u64_u32 v[16:17], s[0:1], v11, v3, 0
	v_add_co_u32_e32 v3, vcc, v13, v16
	v_mad_u64_u32 v[14:15], s[0:1], v11, v5, 0
	v_addc_co_u32_e32 v3, vcc, v18, v17, vcc
	v_addc_co_u32_e32 v5, vcc, 0, v15, vcc
	v_add_co_u32_e32 v3, vcc, v3, v14
	v_addc_co_u32_e32 v5, vcc, 0, v5, vcc
	v_mul_lo_u32 v13, s37, v3
	v_mul_lo_u32 v16, s36, v5
	v_mad_u64_u32 v[14:15], s[0:1], s36, v3, 0
	v_add3_u32 v13, v15, v16, v13
	v_sub_u32_e32 v15, v11, v13
	v_mov_b32_e32 v16, s37
	v_sub_co_u32_e32 v9, vcc, v9, v14
	v_subb_co_u32_e64 v14, s[0:1], v15, v16, vcc
	v_subrev_co_u32_e64 v15, s[0:1], s36, v9
	v_subbrev_co_u32_e64 v14, s[0:1], 0, v14, s[0:1]
	v_cmp_le_u32_e64 s[0:1], s37, v14
	v_cndmask_b32_e64 v16, 0, -1, s[0:1]
	v_cmp_le_u32_e64 s[0:1], s36, v15
	v_cndmask_b32_e64 v15, 0, -1, s[0:1]
	v_cmp_eq_u32_e64 s[0:1], s37, v14
	v_cndmask_b32_e64 v14, v16, v15, s[0:1]
	v_add_co_u32_e64 v15, s[0:1], 2, v3
	v_subb_co_u32_e32 v11, vcc, v11, v13, vcc
	v_addc_co_u32_e64 v16, s[0:1], 0, v5, s[0:1]
	v_cmp_le_u32_e32 vcc, s37, v11
	v_add_co_u32_e64 v17, s[0:1], 1, v3
	v_cndmask_b32_e64 v13, 0, -1, vcc
	v_cmp_le_u32_e32 vcc, s36, v9
	v_addc_co_u32_e64 v18, s[0:1], 0, v5, s[0:1]
	v_cndmask_b32_e64 v9, 0, -1, vcc
	v_cmp_eq_u32_e32 vcc, s37, v11
	v_cmp_ne_u32_e64 s[0:1], 0, v14
	v_cndmask_b32_e32 v9, v13, v9, vcc
	v_cmp_ne_u32_e32 vcc, 0, v9
	v_cndmask_b32_e64 v9, v17, v15, s[0:1]
	v_cndmask_b32_e64 v14, v18, v16, s[0:1]
	v_cndmask_b32_e32 v3, v3, v9, vcc
	v_xor_b32_e32 v9, s35, v7
	v_xor_b32_e32 v7, s34, v7
	v_cndmask_b32_e32 v5, v5, v14, vcc
	v_xor_b32_e32 v3, v3, v7
	v_xor_b32_e32 v5, v5, v9
	v_sub_co_u32_e32 v14, vcc, v3, v7
	v_subb_co_u32_e32 v15, vcc, v5, v9, vcc
.LBB32_33:                              ;   in Loop: Header=BB32_23 Depth=2
	s_andn2_saveexec_b64 s[0:1], s[30:31]
	s_cbranch_execz .LBB32_35
; %bb.34:                               ;   in Loop: Header=BB32_23 Depth=2
	v_cvt_f32_u32_e32 v3, s53
	s_sub_i32 s16, 0, s53
	v_mov_b32_e32 v15, v2
	v_rcp_iflag_f32_e32 v3, v3
	v_mul_f32_e32 v3, 0x4f7ffffe, v3
	v_cvt_u32_f32_e32 v3, v3
	v_mul_lo_u32 v5, s16, v3
	v_mul_hi_u32 v5, v3, v5
	v_add_u32_e32 v3, v3, v5
	v_mul_hi_u32 v3, v12, v3
	v_mul_lo_u32 v5, v3, s53
	v_sub_u32_e32 v5, v12, v5
	v_add_u32_e32 v7, 1, v3
	v_subrev_u32_e32 v9, s53, v5
	v_cmp_le_u32_e32 vcc, s53, v5
	v_cndmask_b32_e32 v5, v5, v9, vcc
	v_cndmask_b32_e32 v3, v3, v7, vcc
	v_add_u32_e32 v7, 1, v3
	v_cmp_le_u32_e32 vcc, s53, v5
	v_cndmask_b32_e32 v14, v3, v7, vcc
.LBB32_35:                              ;   in Loop: Header=BB32_23 Depth=2
	s_or_b64 exec, exec, s[0:1]
	s_add_u32 s0, s43, s28
	s_addc_u32 s1, s44, s29
	s_add_i32 s16, s26, 4
	s_lshl_b64 s[28:29], s[16:17], 2
	s_add_u32 s30, s39, s28
	s_addc_u32 s31, s40, s29
	s_load_dword s55, s[30:31], 0x0
	s_load_dword s56, s[0:1], 0x0
                                        ; implicit-def: $vgpr16_vgpr17
	s_waitcnt lgkmcnt(0)
	s_ashr_i32 s0, s55, 31
	v_or_b32_e32 v3, s0, v15
	v_cmp_ne_u64_e32 vcc, 0, v[2:3]
	s_and_saveexec_b64 s[30:31], vcc
	s_xor_b64 s[30:31], exec, s[30:31]
	s_cbranch_execz .LBB32_37
; %bb.36:                               ;   in Loop: Header=BB32_23 Depth=2
	s_add_u32 s36, s55, s0
	s_mov_b32 s34, s0
	s_mov_b32 s35, s0
	s_addc_u32 s37, s0, s0
	s_xor_b64 s[36:37], s[36:37], s[34:35]
	v_cvt_f32_u32_e32 v3, s36
	v_cvt_f32_u32_e32 v5, s37
	s_sub_u32 s0, 0, s36
	s_subb_u32 s1, 0, s37
	v_mac_f32_e32 v3, 0x4f800000, v5
	v_rcp_f32_e32 v3, v3
	v_mul_f32_e32 v3, 0x5f7ffffc, v3
	v_mul_f32_e32 v5, 0x2f800000, v3
	v_trunc_f32_e32 v5, v5
	v_mac_f32_e32 v3, 0xcf800000, v5
	v_cvt_u32_f32_e32 v5, v5
	v_cvt_u32_f32_e32 v3, v3
	v_mul_lo_u32 v7, s0, v5
	v_mul_hi_u32 v11, s0, v3
	v_mul_lo_u32 v9, s1, v3
	v_add_u32_e32 v7, v11, v7
	v_mul_lo_u32 v13, s0, v3
	v_add_u32_e32 v7, v7, v9
	v_mul_lo_u32 v11, v3, v7
	v_mul_hi_u32 v16, v3, v13
	v_mul_hi_u32 v9, v3, v7
	v_add_co_u32_e32 v11, vcc, v16, v11
	v_addc_co_u32_e32 v9, vcc, 0, v9, vcc
	v_mul_hi_u32 v17, v5, v13
	v_mul_lo_u32 v13, v5, v13
	v_add_co_u32_e32 v11, vcc, v11, v13
	v_mul_hi_u32 v16, v5, v7
	v_addc_co_u32_e32 v9, vcc, v9, v17, vcc
	v_addc_co_u32_e32 v11, vcc, 0, v16, vcc
	v_mul_lo_u32 v7, v5, v7
	v_add_co_u32_e32 v7, vcc, v9, v7
	v_addc_co_u32_e32 v9, vcc, 0, v11, vcc
	v_add_co_u32_e32 v3, vcc, v3, v7
	v_addc_co_u32_e32 v5, vcc, v5, v9, vcc
	v_mul_lo_u32 v7, s0, v5
	v_mul_hi_u32 v9, s0, v3
	v_add_u32_e32 v7, v9, v7
	v_mul_lo_u32 v9, s1, v3
	v_add_u32_e32 v7, v7, v9
	v_mul_lo_u32 v11, s0, v3
	v_mul_hi_u32 v13, v5, v11
	v_mul_lo_u32 v16, v5, v11
	v_mul_lo_u32 v18, v3, v7
	v_mul_hi_u32 v11, v3, v11
	v_mul_hi_u32 v17, v3, v7
	v_add_co_u32_e32 v11, vcc, v11, v18
	v_addc_co_u32_e32 v17, vcc, 0, v17, vcc
	v_add_co_u32_e32 v11, vcc, v11, v16
	v_mul_hi_u32 v9, v5, v7
	v_addc_co_u32_e32 v11, vcc, v17, v13, vcc
	v_addc_co_u32_e32 v9, vcc, 0, v9, vcc
	v_mul_lo_u32 v7, v5, v7
	v_add_co_u32_e32 v7, vcc, v11, v7
	v_addc_co_u32_e32 v9, vcc, 0, v9, vcc
	v_add_co_u32_e32 v3, vcc, v3, v7
	v_addc_co_u32_e32 v5, vcc, v5, v9, vcc
	v_ashrrev_i32_e32 v7, 31, v15
	v_add_co_u32_e32 v9, vcc, v14, v7
	v_xor_b32_e32 v9, v9, v7
	v_addc_co_u32_e32 v11, vcc, v15, v7, vcc
	v_mad_u64_u32 v[16:17], s[0:1], v9, v5, 0
	v_mul_hi_u32 v13, v9, v3
	v_xor_b32_e32 v11, v11, v7
	v_add_co_u32_e32 v13, vcc, v13, v16
	v_addc_co_u32_e32 v15, vcc, 0, v17, vcc
	v_mad_u64_u32 v[18:19], s[0:1], v11, v3, 0
	v_add_co_u32_e32 v3, vcc, v13, v18
	v_mad_u64_u32 v[16:17], s[0:1], v11, v5, 0
	v_addc_co_u32_e32 v3, vcc, v15, v19, vcc
	v_addc_co_u32_e32 v5, vcc, 0, v17, vcc
	v_add_co_u32_e32 v3, vcc, v3, v16
	v_addc_co_u32_e32 v5, vcc, 0, v5, vcc
	v_mul_lo_u32 v13, s37, v3
	v_mul_lo_u32 v15, s36, v5
	v_mad_u64_u32 v[16:17], s[0:1], s36, v3, 0
	v_add3_u32 v13, v17, v15, v13
	v_sub_u32_e32 v15, v11, v13
	v_mov_b32_e32 v17, s37
	v_sub_co_u32_e32 v9, vcc, v9, v16
	v_subb_co_u32_e64 v15, s[0:1], v15, v17, vcc
	v_subrev_co_u32_e64 v16, s[0:1], s36, v9
	v_subbrev_co_u32_e64 v15, s[0:1], 0, v15, s[0:1]
	v_cmp_le_u32_e64 s[0:1], s37, v15
	v_cndmask_b32_e64 v17, 0, -1, s[0:1]
	v_cmp_le_u32_e64 s[0:1], s36, v16
	v_cndmask_b32_e64 v16, 0, -1, s[0:1]
	v_cmp_eq_u32_e64 s[0:1], s37, v15
	v_cndmask_b32_e64 v15, v17, v16, s[0:1]
	v_add_co_u32_e64 v16, s[0:1], 2, v3
	v_subb_co_u32_e32 v11, vcc, v11, v13, vcc
	v_addc_co_u32_e64 v17, s[0:1], 0, v5, s[0:1]
	v_cmp_le_u32_e32 vcc, s37, v11
	v_add_co_u32_e64 v18, s[0:1], 1, v3
	v_cndmask_b32_e64 v13, 0, -1, vcc
	v_cmp_le_u32_e32 vcc, s36, v9
	v_addc_co_u32_e64 v19, s[0:1], 0, v5, s[0:1]
	v_cndmask_b32_e64 v9, 0, -1, vcc
	v_cmp_eq_u32_e32 vcc, s37, v11
	v_cmp_ne_u32_e64 s[0:1], 0, v15
	v_cndmask_b32_e32 v9, v13, v9, vcc
	v_cmp_ne_u32_e32 vcc, 0, v9
	v_cndmask_b32_e64 v9, v18, v16, s[0:1]
	v_cndmask_b32_e64 v15, v19, v17, s[0:1]
	v_cndmask_b32_e32 v3, v3, v9, vcc
	v_xor_b32_e32 v9, s35, v7
	v_xor_b32_e32 v7, s34, v7
	v_cndmask_b32_e32 v5, v5, v15, vcc
	v_xor_b32_e32 v3, v3, v7
	v_xor_b32_e32 v5, v5, v9
	v_sub_co_u32_e32 v16, vcc, v3, v7
	v_subb_co_u32_e32 v17, vcc, v5, v9, vcc
.LBB32_37:                              ;   in Loop: Header=BB32_23 Depth=2
	s_andn2_saveexec_b64 s[0:1], s[30:31]
	s_cbranch_execz .LBB32_39
; %bb.38:                               ;   in Loop: Header=BB32_23 Depth=2
	v_cvt_f32_u32_e32 v3, s55
	s_sub_i32 s16, 0, s55
	v_mov_b32_e32 v17, v2
	v_rcp_iflag_f32_e32 v3, v3
	v_mul_f32_e32 v3, 0x4f7ffffe, v3
	v_cvt_u32_f32_e32 v3, v3
	v_mul_lo_u32 v5, s16, v3
	v_mul_hi_u32 v5, v3, v5
	v_add_u32_e32 v3, v3, v5
	v_mul_hi_u32 v3, v14, v3
	v_mul_lo_u32 v5, v3, s55
	v_sub_u32_e32 v5, v14, v5
	v_add_u32_e32 v7, 1, v3
	v_subrev_u32_e32 v9, s55, v5
	v_cmp_le_u32_e32 vcc, s55, v5
	v_cndmask_b32_e32 v5, v5, v9, vcc
	v_cndmask_b32_e32 v3, v3, v7, vcc
	v_add_u32_e32 v7, 1, v3
	v_cmp_le_u32_e32 vcc, s55, v5
	v_cndmask_b32_e32 v16, v3, v7, vcc
.LBB32_39:                              ;   in Loop: Header=BB32_23 Depth=2
	s_or_b64 exec, exec, s[0:1]
	s_add_u32 s0, s43, s28
	s_addc_u32 s1, s44, s29
	s_add_i32 s16, s26, 3
	s_lshl_b64 s[28:29], s[16:17], 2
	s_add_u32 s30, s39, s28
	s_addc_u32 s31, s40, s29
	s_load_dword s57, s[30:31], 0x0
	s_load_dword s58, s[0:1], 0x0
                                        ; implicit-def: $vgpr18_vgpr19
	s_waitcnt lgkmcnt(0)
	s_ashr_i32 s0, s57, 31
	v_or_b32_e32 v3, s0, v17
	v_cmp_ne_u64_e32 vcc, 0, v[2:3]
	s_and_saveexec_b64 s[30:31], vcc
	s_xor_b64 s[30:31], exec, s[30:31]
	s_cbranch_execz .LBB32_41
; %bb.40:                               ;   in Loop: Header=BB32_23 Depth=2
	s_add_u32 s36, s57, s0
	s_mov_b32 s34, s0
	s_mov_b32 s35, s0
	s_addc_u32 s37, s0, s0
	s_xor_b64 s[36:37], s[36:37], s[34:35]
	v_cvt_f32_u32_e32 v3, s36
	v_cvt_f32_u32_e32 v5, s37
	s_sub_u32 s0, 0, s36
	s_subb_u32 s1, 0, s37
	v_mac_f32_e32 v3, 0x4f800000, v5
	v_rcp_f32_e32 v3, v3
	v_mul_f32_e32 v3, 0x5f7ffffc, v3
	v_mul_f32_e32 v5, 0x2f800000, v3
	v_trunc_f32_e32 v5, v5
	v_mac_f32_e32 v3, 0xcf800000, v5
	v_cvt_u32_f32_e32 v5, v5
	v_cvt_u32_f32_e32 v3, v3
	v_mul_lo_u32 v7, s0, v5
	v_mul_hi_u32 v11, s0, v3
	v_mul_lo_u32 v9, s1, v3
	v_add_u32_e32 v7, v11, v7
	v_mul_lo_u32 v13, s0, v3
	v_add_u32_e32 v7, v7, v9
	v_mul_lo_u32 v11, v3, v7
	v_mul_hi_u32 v15, v3, v13
	v_mul_hi_u32 v9, v3, v7
	v_add_co_u32_e32 v11, vcc, v15, v11
	v_addc_co_u32_e32 v9, vcc, 0, v9, vcc
	v_mul_hi_u32 v18, v5, v13
	v_mul_lo_u32 v13, v5, v13
	v_add_co_u32_e32 v11, vcc, v11, v13
	v_mul_hi_u32 v15, v5, v7
	v_addc_co_u32_e32 v9, vcc, v9, v18, vcc
	v_addc_co_u32_e32 v11, vcc, 0, v15, vcc
	v_mul_lo_u32 v7, v5, v7
	v_add_co_u32_e32 v7, vcc, v9, v7
	v_addc_co_u32_e32 v9, vcc, 0, v11, vcc
	v_add_co_u32_e32 v3, vcc, v3, v7
	v_addc_co_u32_e32 v5, vcc, v5, v9, vcc
	v_mul_lo_u32 v7, s0, v5
	v_mul_hi_u32 v9, s0, v3
	v_add_u32_e32 v7, v9, v7
	v_mul_lo_u32 v9, s1, v3
	v_add_u32_e32 v7, v7, v9
	v_mul_lo_u32 v11, s0, v3
	v_mul_hi_u32 v13, v5, v11
	v_mul_lo_u32 v15, v5, v11
	v_mul_lo_u32 v19, v3, v7
	v_mul_hi_u32 v11, v3, v11
	v_mul_hi_u32 v18, v3, v7
	v_add_co_u32_e32 v11, vcc, v11, v19
	v_addc_co_u32_e32 v18, vcc, 0, v18, vcc
	v_add_co_u32_e32 v11, vcc, v11, v15
	v_mul_hi_u32 v9, v5, v7
	v_addc_co_u32_e32 v11, vcc, v18, v13, vcc
	v_addc_co_u32_e32 v9, vcc, 0, v9, vcc
	v_mul_lo_u32 v7, v5, v7
	v_add_co_u32_e32 v7, vcc, v11, v7
	v_addc_co_u32_e32 v9, vcc, 0, v9, vcc
	v_add_co_u32_e32 v3, vcc, v3, v7
	v_addc_co_u32_e32 v5, vcc, v5, v9, vcc
	v_ashrrev_i32_e32 v7, 31, v17
	v_add_co_u32_e32 v9, vcc, v16, v7
	v_xor_b32_e32 v9, v9, v7
	v_addc_co_u32_e32 v11, vcc, v17, v7, vcc
	v_mad_u64_u32 v[18:19], s[0:1], v9, v5, 0
	v_mul_hi_u32 v13, v9, v3
	v_xor_b32_e32 v11, v11, v7
	v_add_co_u32_e32 v13, vcc, v13, v18
	v_addc_co_u32_e32 v15, vcc, 0, v19, vcc
	v_mad_u64_u32 v[20:21], s[0:1], v11, v3, 0
	v_add_co_u32_e32 v3, vcc, v13, v20
	v_mad_u64_u32 v[18:19], s[0:1], v11, v5, 0
	v_addc_co_u32_e32 v3, vcc, v15, v21, vcc
	v_addc_co_u32_e32 v5, vcc, 0, v19, vcc
	v_add_co_u32_e32 v3, vcc, v3, v18
	v_addc_co_u32_e32 v5, vcc, 0, v5, vcc
	v_mul_lo_u32 v13, s37, v3
	v_mul_lo_u32 v15, s36, v5
	v_mad_u64_u32 v[18:19], s[0:1], s36, v3, 0
	v_add3_u32 v13, v19, v15, v13
	v_sub_u32_e32 v15, v11, v13
	v_mov_b32_e32 v17, s37
	v_sub_co_u32_e32 v9, vcc, v9, v18
	v_subb_co_u32_e64 v15, s[0:1], v15, v17, vcc
	v_subrev_co_u32_e64 v17, s[0:1], s36, v9
	v_subbrev_co_u32_e64 v15, s[0:1], 0, v15, s[0:1]
	v_cmp_le_u32_e64 s[0:1], s37, v15
	v_cndmask_b32_e64 v18, 0, -1, s[0:1]
	v_cmp_le_u32_e64 s[0:1], s36, v17
	v_cndmask_b32_e64 v17, 0, -1, s[0:1]
	v_cmp_eq_u32_e64 s[0:1], s37, v15
	v_cndmask_b32_e64 v15, v18, v17, s[0:1]
	v_add_co_u32_e64 v17, s[0:1], 2, v3
	v_subb_co_u32_e32 v11, vcc, v11, v13, vcc
	v_addc_co_u32_e64 v18, s[0:1], 0, v5, s[0:1]
	v_cmp_le_u32_e32 vcc, s37, v11
	v_add_co_u32_e64 v19, s[0:1], 1, v3
	v_cndmask_b32_e64 v13, 0, -1, vcc
	v_cmp_le_u32_e32 vcc, s36, v9
	v_addc_co_u32_e64 v20, s[0:1], 0, v5, s[0:1]
	v_cndmask_b32_e64 v9, 0, -1, vcc
	v_cmp_eq_u32_e32 vcc, s37, v11
	v_cmp_ne_u32_e64 s[0:1], 0, v15
	v_cndmask_b32_e32 v9, v13, v9, vcc
	v_cmp_ne_u32_e32 vcc, 0, v9
	v_cndmask_b32_e64 v9, v19, v17, s[0:1]
	v_cndmask_b32_e64 v15, v20, v18, s[0:1]
	v_cndmask_b32_e32 v3, v3, v9, vcc
	v_xor_b32_e32 v9, s35, v7
	v_xor_b32_e32 v7, s34, v7
	v_cndmask_b32_e32 v5, v5, v15, vcc
	v_xor_b32_e32 v3, v3, v7
	v_xor_b32_e32 v5, v5, v9
	v_sub_co_u32_e32 v18, vcc, v3, v7
	v_subb_co_u32_e32 v19, vcc, v5, v9, vcc
.LBB32_41:                              ;   in Loop: Header=BB32_23 Depth=2
	s_andn2_saveexec_b64 s[0:1], s[30:31]
	s_cbranch_execz .LBB32_43
; %bb.42:                               ;   in Loop: Header=BB32_23 Depth=2
	v_cvt_f32_u32_e32 v3, s57
	s_sub_i32 s16, 0, s57
	v_mov_b32_e32 v19, v2
	v_rcp_iflag_f32_e32 v3, v3
	v_mul_f32_e32 v3, 0x4f7ffffe, v3
	v_cvt_u32_f32_e32 v3, v3
	v_mul_lo_u32 v5, s16, v3
	v_mul_hi_u32 v5, v3, v5
	v_add_u32_e32 v3, v3, v5
	v_mul_hi_u32 v3, v16, v3
	v_mul_lo_u32 v5, v3, s57
	v_sub_u32_e32 v5, v16, v5
	v_add_u32_e32 v7, 1, v3
	v_subrev_u32_e32 v9, s57, v5
	v_cmp_le_u32_e32 vcc, s57, v5
	v_cndmask_b32_e32 v5, v5, v9, vcc
	v_cndmask_b32_e32 v3, v3, v7, vcc
	v_add_u32_e32 v7, 1, v3
	v_cmp_le_u32_e32 vcc, s57, v5
	v_cndmask_b32_e32 v18, v3, v7, vcc
.LBB32_43:                              ;   in Loop: Header=BB32_23 Depth=2
	s_or_b64 exec, exec, s[0:1]
	s_add_u32 s0, s43, s28
	s_addc_u32 s1, s44, s29
	s_add_i32 s16, s26, 2
	s_lshl_b64 s[28:29], s[16:17], 2
	s_add_u32 s30, s39, s28
	s_addc_u32 s31, s40, s29
	s_load_dword s59, s[30:31], 0x0
	s_load_dword s60, s[0:1], 0x0
                                        ; implicit-def: $vgpr20_vgpr21
	s_waitcnt lgkmcnt(0)
	s_ashr_i32 s0, s59, 31
	v_or_b32_e32 v3, s0, v19
	v_cmp_ne_u64_e32 vcc, 0, v[2:3]
	s_and_saveexec_b64 s[30:31], vcc
	s_xor_b64 s[30:31], exec, s[30:31]
	s_cbranch_execz .LBB32_45
; %bb.44:                               ;   in Loop: Header=BB32_23 Depth=2
	s_add_u32 s36, s59, s0
	s_mov_b32 s34, s0
	s_mov_b32 s35, s0
	s_addc_u32 s37, s0, s0
	s_xor_b64 s[36:37], s[36:37], s[34:35]
	v_cvt_f32_u32_e32 v3, s36
	v_cvt_f32_u32_e32 v5, s37
	s_sub_u32 s0, 0, s36
	s_subb_u32 s1, 0, s37
	v_mac_f32_e32 v3, 0x4f800000, v5
	v_rcp_f32_e32 v3, v3
	v_mul_f32_e32 v3, 0x5f7ffffc, v3
	v_mul_f32_e32 v5, 0x2f800000, v3
	v_trunc_f32_e32 v5, v5
	v_mac_f32_e32 v3, 0xcf800000, v5
	v_cvt_u32_f32_e32 v5, v5
	v_cvt_u32_f32_e32 v3, v3
	v_mul_lo_u32 v7, s0, v5
	v_mul_hi_u32 v11, s0, v3
	v_mul_lo_u32 v9, s1, v3
	v_add_u32_e32 v7, v11, v7
	v_mul_lo_u32 v13, s0, v3
	v_add_u32_e32 v7, v7, v9
	v_mul_lo_u32 v11, v3, v7
	v_mul_hi_u32 v15, v3, v13
	v_mul_hi_u32 v9, v3, v7
	v_add_co_u32_e32 v11, vcc, v15, v11
	v_addc_co_u32_e32 v9, vcc, 0, v9, vcc
	v_mul_hi_u32 v17, v5, v13
	v_mul_lo_u32 v13, v5, v13
	v_add_co_u32_e32 v11, vcc, v11, v13
	v_mul_hi_u32 v15, v5, v7
	v_addc_co_u32_e32 v9, vcc, v9, v17, vcc
	v_addc_co_u32_e32 v11, vcc, 0, v15, vcc
	v_mul_lo_u32 v7, v5, v7
	v_add_co_u32_e32 v7, vcc, v9, v7
	v_addc_co_u32_e32 v9, vcc, 0, v11, vcc
	v_add_co_u32_e32 v3, vcc, v3, v7
	v_addc_co_u32_e32 v5, vcc, v5, v9, vcc
	v_mul_lo_u32 v7, s0, v5
	v_mul_hi_u32 v9, s0, v3
	v_add_u32_e32 v7, v9, v7
	v_mul_lo_u32 v9, s1, v3
	v_add_u32_e32 v7, v7, v9
	v_mul_lo_u32 v11, s0, v3
	v_mul_hi_u32 v13, v5, v11
	v_mul_lo_u32 v15, v5, v11
	v_mul_lo_u32 v20, v3, v7
	v_mul_hi_u32 v11, v3, v11
	v_mul_hi_u32 v17, v3, v7
	v_add_co_u32_e32 v11, vcc, v11, v20
	v_addc_co_u32_e32 v17, vcc, 0, v17, vcc
	v_add_co_u32_e32 v11, vcc, v11, v15
	v_mul_hi_u32 v9, v5, v7
	v_addc_co_u32_e32 v11, vcc, v17, v13, vcc
	v_addc_co_u32_e32 v9, vcc, 0, v9, vcc
	v_mul_lo_u32 v7, v5, v7
	v_add_co_u32_e32 v7, vcc, v11, v7
	v_addc_co_u32_e32 v9, vcc, 0, v9, vcc
	v_add_co_u32_e32 v3, vcc, v3, v7
	v_addc_co_u32_e32 v5, vcc, v5, v9, vcc
	v_ashrrev_i32_e32 v7, 31, v19
	v_add_co_u32_e32 v9, vcc, v18, v7
	v_xor_b32_e32 v9, v9, v7
	v_addc_co_u32_e32 v11, vcc, v19, v7, vcc
	v_mad_u64_u32 v[20:21], s[0:1], v9, v5, 0
	v_mul_hi_u32 v13, v9, v3
	v_xor_b32_e32 v11, v11, v7
	v_add_co_u32_e32 v13, vcc, v13, v20
	v_addc_co_u32_e32 v15, vcc, 0, v21, vcc
	v_mad_u64_u32 v[22:23], s[0:1], v11, v3, 0
	v_add_co_u32_e32 v3, vcc, v13, v22
	v_mad_u64_u32 v[20:21], s[0:1], v11, v5, 0
	v_addc_co_u32_e32 v3, vcc, v15, v23, vcc
	v_addc_co_u32_e32 v5, vcc, 0, v21, vcc
	v_add_co_u32_e32 v3, vcc, v3, v20
	v_addc_co_u32_e32 v5, vcc, 0, v5, vcc
	v_mul_lo_u32 v13, s37, v3
	v_mul_lo_u32 v15, s36, v5
	v_mad_u64_u32 v[20:21], s[0:1], s36, v3, 0
	v_add3_u32 v13, v21, v15, v13
	v_sub_u32_e32 v15, v11, v13
	v_mov_b32_e32 v17, s37
	v_sub_co_u32_e32 v9, vcc, v9, v20
	v_subb_co_u32_e64 v15, s[0:1], v15, v17, vcc
	v_subrev_co_u32_e64 v17, s[0:1], s36, v9
	v_subbrev_co_u32_e64 v15, s[0:1], 0, v15, s[0:1]
	v_cmp_le_u32_e64 s[0:1], s37, v15
	v_cndmask_b32_e64 v19, 0, -1, s[0:1]
	v_cmp_le_u32_e64 s[0:1], s36, v17
	v_cndmask_b32_e64 v17, 0, -1, s[0:1]
	v_cmp_eq_u32_e64 s[0:1], s37, v15
	v_cndmask_b32_e64 v15, v19, v17, s[0:1]
	v_add_co_u32_e64 v17, s[0:1], 2, v3
	v_subb_co_u32_e32 v11, vcc, v11, v13, vcc
	v_addc_co_u32_e64 v19, s[0:1], 0, v5, s[0:1]
	v_cmp_le_u32_e32 vcc, s37, v11
	v_add_co_u32_e64 v20, s[0:1], 1, v3
	v_cndmask_b32_e64 v13, 0, -1, vcc
	v_cmp_le_u32_e32 vcc, s36, v9
	v_addc_co_u32_e64 v21, s[0:1], 0, v5, s[0:1]
	v_cndmask_b32_e64 v9, 0, -1, vcc
	v_cmp_eq_u32_e32 vcc, s37, v11
	v_cmp_ne_u32_e64 s[0:1], 0, v15
	v_cndmask_b32_e32 v9, v13, v9, vcc
	v_cmp_ne_u32_e32 vcc, 0, v9
	v_cndmask_b32_e64 v9, v20, v17, s[0:1]
	v_cndmask_b32_e64 v15, v21, v19, s[0:1]
	v_cndmask_b32_e32 v3, v3, v9, vcc
	v_xor_b32_e32 v9, s35, v7
	v_xor_b32_e32 v7, s34, v7
	v_cndmask_b32_e32 v5, v5, v15, vcc
	v_xor_b32_e32 v3, v3, v7
	v_xor_b32_e32 v5, v5, v9
	v_sub_co_u32_e32 v20, vcc, v3, v7
	v_subb_co_u32_e32 v21, vcc, v5, v9, vcc
.LBB32_45:                              ;   in Loop: Header=BB32_23 Depth=2
	s_andn2_saveexec_b64 s[0:1], s[30:31]
	s_cbranch_execz .LBB32_47
; %bb.46:                               ;   in Loop: Header=BB32_23 Depth=2
	v_cvt_f32_u32_e32 v3, s59
	s_sub_i32 s16, 0, s59
	v_mov_b32_e32 v21, v2
	v_rcp_iflag_f32_e32 v3, v3
	v_mul_f32_e32 v3, 0x4f7ffffe, v3
	v_cvt_u32_f32_e32 v3, v3
	v_mul_lo_u32 v5, s16, v3
	v_mul_hi_u32 v5, v3, v5
	v_add_u32_e32 v3, v3, v5
	v_mul_hi_u32 v3, v18, v3
	v_mul_lo_u32 v5, v3, s59
	v_sub_u32_e32 v5, v18, v5
	v_add_u32_e32 v7, 1, v3
	v_subrev_u32_e32 v9, s59, v5
	v_cmp_le_u32_e32 vcc, s59, v5
	v_cndmask_b32_e32 v5, v5, v9, vcc
	v_cndmask_b32_e32 v3, v3, v7, vcc
	v_add_u32_e32 v7, 1, v3
	v_cmp_le_u32_e32 vcc, s59, v5
	v_cndmask_b32_e32 v20, v3, v7, vcc
.LBB32_47:                              ;   in Loop: Header=BB32_23 Depth=2
	s_or_b64 exec, exec, s[0:1]
	s_add_u32 s0, s43, s28
	s_addc_u32 s1, s44, s29
	s_add_i32 s16, s26, 1
	s_lshl_b64 s[28:29], s[16:17], 2
	s_add_u32 s30, s39, s28
	s_addc_u32 s31, s40, s29
	s_load_dword s16, s[30:31], 0x0
	s_load_dword s61, s[0:1], 0x0
                                        ; implicit-def: $vgpr22_vgpr23
	s_waitcnt lgkmcnt(0)
	s_ashr_i32 s0, s16, 31
	v_or_b32_e32 v3, s0, v21
	v_cmp_ne_u64_e32 vcc, 0, v[2:3]
	s_and_saveexec_b64 s[30:31], vcc
	s_xor_b64 s[30:31], exec, s[30:31]
	s_cbranch_execz .LBB32_49
; %bb.48:                               ;   in Loop: Header=BB32_23 Depth=2
	s_add_u32 s36, s16, s0
	s_mov_b32 s34, s0
	s_mov_b32 s35, s0
	s_addc_u32 s37, s0, s0
	s_xor_b64 s[36:37], s[36:37], s[34:35]
	v_cvt_f32_u32_e32 v3, s36
	v_cvt_f32_u32_e32 v5, s37
	s_sub_u32 s0, 0, s36
	s_subb_u32 s1, 0, s37
	v_mac_f32_e32 v3, 0x4f800000, v5
	v_rcp_f32_e32 v3, v3
	v_mul_f32_e32 v3, 0x5f7ffffc, v3
	v_mul_f32_e32 v5, 0x2f800000, v3
	v_trunc_f32_e32 v5, v5
	v_mac_f32_e32 v3, 0xcf800000, v5
	v_cvt_u32_f32_e32 v5, v5
	v_cvt_u32_f32_e32 v3, v3
	v_mul_lo_u32 v7, s0, v5
	v_mul_hi_u32 v11, s0, v3
	v_mul_lo_u32 v9, s1, v3
	v_add_u32_e32 v7, v11, v7
	v_mul_lo_u32 v13, s0, v3
	v_add_u32_e32 v7, v7, v9
	v_mul_lo_u32 v11, v3, v7
	v_mul_hi_u32 v15, v3, v13
	v_mul_hi_u32 v9, v3, v7
	v_add_co_u32_e32 v11, vcc, v15, v11
	v_addc_co_u32_e32 v9, vcc, 0, v9, vcc
	v_mul_hi_u32 v17, v5, v13
	v_mul_lo_u32 v13, v5, v13
	v_add_co_u32_e32 v11, vcc, v11, v13
	v_mul_hi_u32 v15, v5, v7
	v_addc_co_u32_e32 v9, vcc, v9, v17, vcc
	v_addc_co_u32_e32 v11, vcc, 0, v15, vcc
	v_mul_lo_u32 v7, v5, v7
	v_add_co_u32_e32 v7, vcc, v9, v7
	v_addc_co_u32_e32 v9, vcc, 0, v11, vcc
	v_add_co_u32_e32 v3, vcc, v3, v7
	v_addc_co_u32_e32 v5, vcc, v5, v9, vcc
	v_mul_lo_u32 v7, s0, v5
	v_mul_hi_u32 v9, s0, v3
	v_add_u32_e32 v7, v9, v7
	v_mul_lo_u32 v9, s1, v3
	v_add_u32_e32 v7, v7, v9
	v_mul_lo_u32 v11, s0, v3
	v_mul_hi_u32 v13, v5, v11
	v_mul_lo_u32 v15, v5, v11
	v_mul_lo_u32 v19, v3, v7
	v_mul_hi_u32 v11, v3, v11
	v_mul_hi_u32 v17, v3, v7
	v_add_co_u32_e32 v11, vcc, v11, v19
	v_addc_co_u32_e32 v17, vcc, 0, v17, vcc
	v_add_co_u32_e32 v11, vcc, v11, v15
	v_mul_hi_u32 v9, v5, v7
	v_addc_co_u32_e32 v11, vcc, v17, v13, vcc
	v_addc_co_u32_e32 v9, vcc, 0, v9, vcc
	v_mul_lo_u32 v7, v5, v7
	v_add_co_u32_e32 v7, vcc, v11, v7
	v_addc_co_u32_e32 v9, vcc, 0, v9, vcc
	v_add_co_u32_e32 v3, vcc, v3, v7
	v_addc_co_u32_e32 v5, vcc, v5, v9, vcc
	v_ashrrev_i32_e32 v7, 31, v21
	v_add_co_u32_e32 v9, vcc, v20, v7
	v_xor_b32_e32 v9, v9, v7
	v_addc_co_u32_e32 v11, vcc, v21, v7, vcc
	v_mad_u64_u32 v[22:23], s[0:1], v9, v5, 0
	v_mul_hi_u32 v13, v9, v3
	v_xor_b32_e32 v11, v11, v7
	v_add_co_u32_e32 v13, vcc, v13, v22
	v_addc_co_u32_e32 v15, vcc, 0, v23, vcc
	v_mad_u64_u32 v[24:25], s[0:1], v11, v3, 0
	v_add_co_u32_e32 v3, vcc, v13, v24
	v_mad_u64_u32 v[22:23], s[0:1], v11, v5, 0
	v_addc_co_u32_e32 v3, vcc, v15, v25, vcc
	v_addc_co_u32_e32 v5, vcc, 0, v23, vcc
	v_add_co_u32_e32 v3, vcc, v3, v22
	v_addc_co_u32_e32 v5, vcc, 0, v5, vcc
	v_mul_lo_u32 v13, s37, v3
	v_mul_lo_u32 v15, s36, v5
	v_mad_u64_u32 v[22:23], s[0:1], s36, v3, 0
	v_add3_u32 v13, v23, v15, v13
	v_sub_u32_e32 v15, v11, v13
	v_mov_b32_e32 v17, s37
	v_sub_co_u32_e32 v9, vcc, v9, v22
	v_subb_co_u32_e64 v15, s[0:1], v15, v17, vcc
	v_subrev_co_u32_e64 v17, s[0:1], s36, v9
	v_subbrev_co_u32_e64 v15, s[0:1], 0, v15, s[0:1]
	v_cmp_le_u32_e64 s[0:1], s37, v15
	v_cndmask_b32_e64 v19, 0, -1, s[0:1]
	v_cmp_le_u32_e64 s[0:1], s36, v17
	v_cndmask_b32_e64 v17, 0, -1, s[0:1]
	v_cmp_eq_u32_e64 s[0:1], s37, v15
	v_cndmask_b32_e64 v15, v19, v17, s[0:1]
	v_add_co_u32_e64 v17, s[0:1], 2, v3
	v_subb_co_u32_e32 v11, vcc, v11, v13, vcc
	v_addc_co_u32_e64 v19, s[0:1], 0, v5, s[0:1]
	v_cmp_le_u32_e32 vcc, s37, v11
	v_add_co_u32_e64 v21, s[0:1], 1, v3
	v_cndmask_b32_e64 v13, 0, -1, vcc
	v_cmp_le_u32_e32 vcc, s36, v9
	v_addc_co_u32_e64 v22, s[0:1], 0, v5, s[0:1]
	v_cndmask_b32_e64 v9, 0, -1, vcc
	v_cmp_eq_u32_e32 vcc, s37, v11
	v_cmp_ne_u32_e64 s[0:1], 0, v15
	v_cndmask_b32_e32 v9, v13, v9, vcc
	v_cmp_ne_u32_e32 vcc, 0, v9
	v_cndmask_b32_e64 v9, v21, v17, s[0:1]
	v_cndmask_b32_e64 v15, v22, v19, s[0:1]
	v_cndmask_b32_e32 v3, v3, v9, vcc
	v_xor_b32_e32 v9, s35, v7
	v_xor_b32_e32 v7, s34, v7
	v_cndmask_b32_e32 v5, v5, v15, vcc
	v_xor_b32_e32 v3, v3, v7
	v_xor_b32_e32 v5, v5, v9
	v_sub_co_u32_e32 v22, vcc, v3, v7
	v_subb_co_u32_e32 v23, vcc, v5, v9, vcc
.LBB32_49:                              ;   in Loop: Header=BB32_23 Depth=2
	s_andn2_saveexec_b64 s[0:1], s[30:31]
	s_cbranch_execz .LBB32_51
; %bb.50:                               ;   in Loop: Header=BB32_23 Depth=2
	v_cvt_f32_u32_e32 v3, s16
	s_sub_i32 s27, 0, s16
	v_mov_b32_e32 v23, v2
	v_rcp_iflag_f32_e32 v3, v3
	v_mul_f32_e32 v3, 0x4f7ffffe, v3
	v_cvt_u32_f32_e32 v3, v3
	v_mul_lo_u32 v5, s27, v3
	v_mul_hi_u32 v5, v3, v5
	v_add_u32_e32 v3, v3, v5
	v_mul_hi_u32 v3, v20, v3
	v_mul_lo_u32 v5, v3, s16
	v_sub_u32_e32 v5, v20, v5
	v_add_u32_e32 v7, 1, v3
	v_subrev_u32_e32 v9, s16, v5
	v_cmp_le_u32_e32 vcc, s16, v5
	v_cndmask_b32_e32 v5, v5, v9, vcc
	v_cndmask_b32_e32 v3, v3, v7, vcc
	v_add_u32_e32 v7, 1, v3
	v_cmp_le_u32_e32 vcc, s16, v5
	v_cndmask_b32_e32 v22, v3, v7, vcc
.LBB32_51:                              ;   in Loop: Header=BB32_23 Depth=2
	s_or_b64 exec, exec, s[0:1]
	s_add_u32 s0, s43, s28
	s_mov_b32 s27, s17
	s_addc_u32 s1, s44, s29
	s_lshl_b64 s[28:29], s[26:27], 2
	s_add_u32 s30, s39, s28
	s_addc_u32 s31, s40, s29
	s_load_dword s27, s[30:31], 0x0
	s_load_dword s62, s[0:1], 0x0
                                        ; implicit-def: $vgpr24_vgpr25
	s_waitcnt lgkmcnt(0)
	s_ashr_i32 s0, s27, 31
	v_or_b32_e32 v3, s0, v23
	v_cmp_ne_u64_e32 vcc, 0, v[2:3]
	s_and_saveexec_b64 s[30:31], vcc
	s_xor_b64 s[30:31], exec, s[30:31]
	s_cbranch_execz .LBB32_53
; %bb.52:                               ;   in Loop: Header=BB32_23 Depth=2
	s_add_u32 s36, s27, s0
	s_mov_b32 s34, s0
	s_mov_b32 s35, s0
	s_addc_u32 s37, s0, s0
	s_xor_b64 s[36:37], s[36:37], s[34:35]
	v_cvt_f32_u32_e32 v3, s36
	v_cvt_f32_u32_e32 v5, s37
	s_sub_u32 s0, 0, s36
	s_subb_u32 s1, 0, s37
	v_mac_f32_e32 v3, 0x4f800000, v5
	v_rcp_f32_e32 v3, v3
	v_mul_f32_e32 v3, 0x5f7ffffc, v3
	v_mul_f32_e32 v5, 0x2f800000, v3
	v_trunc_f32_e32 v5, v5
	v_mac_f32_e32 v3, 0xcf800000, v5
	v_cvt_u32_f32_e32 v5, v5
	v_cvt_u32_f32_e32 v3, v3
	v_mul_lo_u32 v7, s0, v5
	v_mul_hi_u32 v11, s0, v3
	v_mul_lo_u32 v9, s1, v3
	v_add_u32_e32 v7, v11, v7
	v_mul_lo_u32 v13, s0, v3
	v_add_u32_e32 v7, v7, v9
	v_mul_lo_u32 v11, v3, v7
	v_mul_hi_u32 v15, v3, v13
	v_mul_hi_u32 v9, v3, v7
	v_add_co_u32_e32 v11, vcc, v15, v11
	v_addc_co_u32_e32 v9, vcc, 0, v9, vcc
	v_mul_hi_u32 v17, v5, v13
	v_mul_lo_u32 v13, v5, v13
	v_add_co_u32_e32 v11, vcc, v11, v13
	v_mul_hi_u32 v15, v5, v7
	v_addc_co_u32_e32 v9, vcc, v9, v17, vcc
	v_addc_co_u32_e32 v11, vcc, 0, v15, vcc
	v_mul_lo_u32 v7, v5, v7
	v_add_co_u32_e32 v7, vcc, v9, v7
	v_addc_co_u32_e32 v9, vcc, 0, v11, vcc
	v_add_co_u32_e32 v3, vcc, v3, v7
	v_addc_co_u32_e32 v5, vcc, v5, v9, vcc
	v_mul_lo_u32 v7, s0, v5
	v_mul_hi_u32 v9, s0, v3
	v_add_u32_e32 v7, v9, v7
	v_mul_lo_u32 v9, s1, v3
	v_add_u32_e32 v7, v7, v9
	v_mul_lo_u32 v11, s0, v3
	v_mul_hi_u32 v13, v5, v11
	v_mul_lo_u32 v15, v5, v11
	v_mul_lo_u32 v19, v3, v7
	v_mul_hi_u32 v11, v3, v11
	v_mul_hi_u32 v17, v3, v7
	v_add_co_u32_e32 v11, vcc, v11, v19
	v_addc_co_u32_e32 v17, vcc, 0, v17, vcc
	v_add_co_u32_e32 v11, vcc, v11, v15
	v_mul_hi_u32 v9, v5, v7
	v_addc_co_u32_e32 v11, vcc, v17, v13, vcc
	v_addc_co_u32_e32 v9, vcc, 0, v9, vcc
	v_mul_lo_u32 v7, v5, v7
	v_add_co_u32_e32 v7, vcc, v11, v7
	v_addc_co_u32_e32 v9, vcc, 0, v9, vcc
	v_add_co_u32_e32 v3, vcc, v3, v7
	v_addc_co_u32_e32 v5, vcc, v5, v9, vcc
	v_ashrrev_i32_e32 v7, 31, v23
	v_add_co_u32_e32 v9, vcc, v22, v7
	v_xor_b32_e32 v9, v9, v7
	v_addc_co_u32_e32 v11, vcc, v23, v7, vcc
	v_mad_u64_u32 v[24:25], s[0:1], v9, v5, 0
	v_mul_hi_u32 v13, v9, v3
	v_xor_b32_e32 v11, v11, v7
	v_add_co_u32_e32 v13, vcc, v13, v24
	v_addc_co_u32_e32 v15, vcc, 0, v25, vcc
	v_mad_u64_u32 v[30:31], s[0:1], v11, v3, 0
	v_add_co_u32_e32 v3, vcc, v13, v30
	v_mad_u64_u32 v[24:25], s[0:1], v11, v5, 0
	v_addc_co_u32_e32 v3, vcc, v15, v31, vcc
	v_addc_co_u32_e32 v5, vcc, 0, v25, vcc
	v_add_co_u32_e32 v3, vcc, v3, v24
	v_addc_co_u32_e32 v5, vcc, 0, v5, vcc
	v_mul_lo_u32 v13, s37, v3
	v_mul_lo_u32 v15, s36, v5
	v_mad_u64_u32 v[24:25], s[0:1], s36, v3, 0
	v_add3_u32 v13, v25, v15, v13
	v_sub_u32_e32 v15, v11, v13
	v_mov_b32_e32 v17, s37
	v_sub_co_u32_e32 v9, vcc, v9, v24
	v_subb_co_u32_e64 v15, s[0:1], v15, v17, vcc
	v_subrev_co_u32_e64 v17, s[0:1], s36, v9
	v_subbrev_co_u32_e64 v15, s[0:1], 0, v15, s[0:1]
	v_cmp_le_u32_e64 s[0:1], s37, v15
	v_cndmask_b32_e64 v19, 0, -1, s[0:1]
	v_cmp_le_u32_e64 s[0:1], s36, v17
	v_cndmask_b32_e64 v17, 0, -1, s[0:1]
	v_cmp_eq_u32_e64 s[0:1], s37, v15
	v_cndmask_b32_e64 v15, v19, v17, s[0:1]
	v_add_co_u32_e64 v17, s[0:1], 2, v3
	v_subb_co_u32_e32 v11, vcc, v11, v13, vcc
	v_addc_co_u32_e64 v19, s[0:1], 0, v5, s[0:1]
	v_cmp_le_u32_e32 vcc, s37, v11
	v_add_co_u32_e64 v21, s[0:1], 1, v3
	v_cndmask_b32_e64 v13, 0, -1, vcc
	v_cmp_le_u32_e32 vcc, s36, v9
	v_addc_co_u32_e64 v23, s[0:1], 0, v5, s[0:1]
	v_cndmask_b32_e64 v9, 0, -1, vcc
	v_cmp_eq_u32_e32 vcc, s37, v11
	v_cmp_ne_u32_e64 s[0:1], 0, v15
	v_cndmask_b32_e32 v9, v13, v9, vcc
	v_cmp_ne_u32_e32 vcc, 0, v9
	v_cndmask_b32_e64 v9, v21, v17, s[0:1]
	v_cndmask_b32_e64 v15, v23, v19, s[0:1]
	v_cndmask_b32_e32 v3, v3, v9, vcc
	v_xor_b32_e32 v9, s35, v7
	v_xor_b32_e32 v7, s34, v7
	v_cndmask_b32_e32 v5, v5, v15, vcc
	v_xor_b32_e32 v3, v3, v7
	v_xor_b32_e32 v5, v5, v9
	v_sub_co_u32_e32 v24, vcc, v3, v7
	v_subb_co_u32_e32 v25, vcc, v5, v9, vcc
.LBB32_53:                              ;   in Loop: Header=BB32_23 Depth=2
	s_andn2_saveexec_b64 s[0:1], s[30:31]
	s_cbranch_execz .LBB32_55
; %bb.54:                               ;   in Loop: Header=BB32_23 Depth=2
	v_cvt_f32_u32_e32 v3, s27
	s_sub_i32 s30, 0, s27
	v_mov_b32_e32 v25, v2
	v_rcp_iflag_f32_e32 v3, v3
	v_mul_f32_e32 v3, 0x4f7ffffe, v3
	v_cvt_u32_f32_e32 v3, v3
	v_mul_lo_u32 v5, s30, v3
	v_mul_hi_u32 v5, v3, v5
	v_add_u32_e32 v3, v3, v5
	v_mul_hi_u32 v3, v22, v3
	v_mul_lo_u32 v5, v3, s27
	v_sub_u32_e32 v5, v22, v5
	v_add_u32_e32 v7, 1, v3
	v_subrev_u32_e32 v9, s27, v5
	v_cmp_le_u32_e32 vcc, s27, v5
	v_cndmask_b32_e32 v5, v5, v9, vcc
	v_cndmask_b32_e32 v3, v3, v7, vcc
	v_add_u32_e32 v7, 1, v3
	v_cmp_le_u32_e32 vcc, s27, v5
	v_cndmask_b32_e32 v24, v3, v7, vcc
.LBB32_55:                              ;   in Loop: Header=BB32_23 Depth=2
	s_or_b64 exec, exec, s[0:1]
	v_mul_lo_u32 v3, v10, s50
	v_mul_lo_u32 v5, v12, s51
	v_sub_u32_e32 v3, v8, v3
	v_sub_u32_e32 v5, v10, v5
	v_mul_lo_u32 v3, s52, v3
	v_mul_lo_u32 v5, s54, v5
	v_add3_u32 v3, v3, v6, v5
	v_mul_lo_u32 v5, v14, s53
	v_mul_lo_u32 v6, v16, s55
	v_sub_u32_e32 v5, v12, v5
	v_sub_u32_e32 v6, v14, v6
	s_add_u32 s0, s43, s28
	v_mul_lo_u32 v5, s56, v5
	v_mul_lo_u32 v6, s58, v6
	s_addc_u32 s1, s44, s29
	v_add3_u32 v3, v5, v3, v6
	v_mul_lo_u32 v5, v18, s57
	v_mul_lo_u32 v6, v20, s59
	s_load_dword s0, s[0:1], 0x0
	v_sub_u32_e32 v5, v16, v5
	v_sub_u32_e32 v6, v18, v6
	v_mul_lo_u32 v5, s60, v5
	v_mul_lo_u32 v6, s61, v6
	v_add3_u32 v3, v5, v3, v6
	v_mul_lo_u32 v5, v22, s16
	v_mul_lo_u32 v6, v24, s27
	v_sub_u32_e32 v5, v20, v5
	v_sub_u32_e32 v6, v22, v6
	v_mul_lo_u32 v5, s62, v5
	s_waitcnt lgkmcnt(0)
	v_mul_lo_u32 v6, s0, v6
	s_add_i32 s26, s26, -8
	s_cmp_eq_u32 s26, -8
	v_add3_u32 v6, v5, v3, v6
	s_cbranch_scc1 .LBB32_57
; %bb.56:                               ;   in Loop: Header=BB32_23 Depth=2
	v_pk_mov_b32 v[8:9], v[24:25], v[24:25] op_sel:[0,1]
	s_branch .LBB32_23
.LBB32_57:                              ;   in Loop: Header=BB32_3 Depth=1
	s_load_dword s16, s[14:15], 0x0
	s_waitcnt lgkmcnt(0)
	v_cmp_gt_i32_e32 vcc, s16, v28
	s_and_b64 exec, exec, vcc
	s_cbranch_execz .LBB32_2
; %bb.58:                               ;   in Loop: Header=BB32_3 Depth=1
	v_ashrrev_i32_e32 v5, 31, v4
	v_cmp_lt_i64_e32 vcc, s[8:9], v[4:5]
	s_and_saveexec_b64 s[0:1], vcc
	s_cbranch_execz .LBB32_60
; %bb.59:                               ;   in Loop: Header=BB32_3 Depth=1
	v_ashrrev_i32_e32 v7, 31, v6
	v_lshlrev_b64 v[4:5], 3, v[6:7]
	v_mov_b32_e32 v3, s3
	v_add_co_u32_e32 v4, vcc, s2, v4
	v_addc_co_u32_e32 v5, vcc, v3, v5, vcc
	v_mov_b32_e32 v3, v2
	global_store_dwordx2 v[4:5], v[2:3], off
.LBB32_60:                              ;   in Loop: Header=BB32_3 Depth=1
	s_or_b64 exec, exec, s[0:1]
	v_add_u32_e32 v3, 1, v28
	v_cmp_gt_i32_e32 vcc, s16, v3
	s_and_b64 exec, exec, vcc
	s_cbranch_execz .LBB32_2
; %bb.61:                               ;   in Loop: Header=BB32_3 Depth=1
	v_sub_u32_e32 v4, v3, v27
	v_ashrrev_i32_e32 v5, 31, v4
	v_cmp_lt_i64_e32 vcc, s[8:9], v[4:5]
	s_and_b64 exec, exec, vcc
	s_cbranch_execz .LBB32_2
; %bb.62:                               ;   in Loop: Header=BB32_3 Depth=1
	v_add_u32_e32 v4, s49, v6
	v_ashrrev_i32_e32 v5, 31, v4
	v_lshlrev_b64 v[4:5], 3, v[4:5]
	v_mov_b32_e32 v3, s3
	v_add_co_u32_e32 v4, vcc, s2, v4
	v_addc_co_u32_e32 v5, vcc, v3, v5, vcc
	v_mov_b32_e32 v3, v2
	global_store_dwordx2 v[4:5], v[2:3], off
	s_branch .LBB32_2
.LBB32_63:
	s_endpgm
	.section	.rodata,"a",@progbits
	.p2align	6, 0x0
	.amdhsa_kernel _ZN2at6native16triu_tril_kernelIN3c107complexIfEEiLb0ELi2ELb1EEEvNS_4cuda6detail10TensorInfoIT_T0_EENS7_IKS8_S9_EEllS9_
		.amdhsa_group_segment_fixed_size 0
		.amdhsa_private_segment_fixed_size 0
		.amdhsa_kernarg_size 712
		.amdhsa_user_sgpr_count 6
		.amdhsa_user_sgpr_private_segment_buffer 1
		.amdhsa_user_sgpr_dispatch_ptr 0
		.amdhsa_user_sgpr_queue_ptr 0
		.amdhsa_user_sgpr_kernarg_segment_ptr 1
		.amdhsa_user_sgpr_dispatch_id 0
		.amdhsa_user_sgpr_flat_scratch_init 0
		.amdhsa_user_sgpr_kernarg_preload_length 0
		.amdhsa_user_sgpr_kernarg_preload_offset 0
		.amdhsa_user_sgpr_private_segment_size 0
		.amdhsa_uses_dynamic_stack 0
		.amdhsa_system_sgpr_private_segment_wavefront_offset 0
		.amdhsa_system_sgpr_workgroup_id_x 1
		.amdhsa_system_sgpr_workgroup_id_y 0
		.amdhsa_system_sgpr_workgroup_id_z 0
		.amdhsa_system_sgpr_workgroup_info 0
		.amdhsa_system_vgpr_workitem_id 0
		.amdhsa_next_free_vgpr 32
		.amdhsa_next_free_sgpr 63
		.amdhsa_accum_offset 32
		.amdhsa_reserve_vcc 1
		.amdhsa_reserve_flat_scratch 0
		.amdhsa_float_round_mode_32 0
		.amdhsa_float_round_mode_16_64 0
		.amdhsa_float_denorm_mode_32 3
		.amdhsa_float_denorm_mode_16_64 3
		.amdhsa_dx10_clamp 1
		.amdhsa_ieee_mode 1
		.amdhsa_fp16_overflow 0
		.amdhsa_tg_split 0
		.amdhsa_exception_fp_ieee_invalid_op 0
		.amdhsa_exception_fp_denorm_src 0
		.amdhsa_exception_fp_ieee_div_zero 0
		.amdhsa_exception_fp_ieee_overflow 0
		.amdhsa_exception_fp_ieee_underflow 0
		.amdhsa_exception_fp_ieee_inexact 0
		.amdhsa_exception_int_div_zero 0
	.end_amdhsa_kernel
	.section	.text._ZN2at6native16triu_tril_kernelIN3c107complexIfEEiLb0ELi2ELb1EEEvNS_4cuda6detail10TensorInfoIT_T0_EENS7_IKS8_S9_EEllS9_,"axG",@progbits,_ZN2at6native16triu_tril_kernelIN3c107complexIfEEiLb0ELi2ELb1EEEvNS_4cuda6detail10TensorInfoIT_T0_EENS7_IKS8_S9_EEllS9_,comdat
.Lfunc_end32:
	.size	_ZN2at6native16triu_tril_kernelIN3c107complexIfEEiLb0ELi2ELb1EEEvNS_4cuda6detail10TensorInfoIT_T0_EENS7_IKS8_S9_EEllS9_, .Lfunc_end32-_ZN2at6native16triu_tril_kernelIN3c107complexIfEEiLb0ELi2ELb1EEEvNS_4cuda6detail10TensorInfoIT_T0_EENS7_IKS8_S9_EEllS9_
                                        ; -- End function
	.section	.AMDGPU.csdata,"",@progbits
; Kernel info:
; codeLenInByte = 10144
; NumSgprs: 67
; NumVgprs: 32
; NumAgprs: 0
; TotalNumVgprs: 32
; ScratchSize: 0
; MemoryBound: 0
; FloatMode: 240
; IeeeMode: 1
; LDSByteSize: 0 bytes/workgroup (compile time only)
; SGPRBlocks: 8
; VGPRBlocks: 3
; NumSGPRsForWavesPerEU: 67
; NumVGPRsForWavesPerEU: 32
; AccumOffset: 32
; Occupancy: 8
; WaveLimiterHint : 0
; COMPUTE_PGM_RSRC2:SCRATCH_EN: 0
; COMPUTE_PGM_RSRC2:USER_SGPR: 6
; COMPUTE_PGM_RSRC2:TRAP_HANDLER: 0
; COMPUTE_PGM_RSRC2:TGID_X_EN: 1
; COMPUTE_PGM_RSRC2:TGID_Y_EN: 0
; COMPUTE_PGM_RSRC2:TGID_Z_EN: 0
; COMPUTE_PGM_RSRC2:TIDIG_COMP_CNT: 0
; COMPUTE_PGM_RSRC3_GFX90A:ACCUM_OFFSET: 7
; COMPUTE_PGM_RSRC3_GFX90A:TG_SPLIT: 0
	.section	.text._ZN2at6native16triu_tril_kernelIN3c107complexIfEEiLb0ELi2ELb0EEEvNS_4cuda6detail10TensorInfoIT_T0_EENS7_IKS8_S9_EEllS9_,"axG",@progbits,_ZN2at6native16triu_tril_kernelIN3c107complexIfEEiLb0ELi2ELb0EEEvNS_4cuda6detail10TensorInfoIT_T0_EENS7_IKS8_S9_EEllS9_,comdat
	.protected	_ZN2at6native16triu_tril_kernelIN3c107complexIfEEiLb0ELi2ELb0EEEvNS_4cuda6detail10TensorInfoIT_T0_EENS7_IKS8_S9_EEllS9_ ; -- Begin function _ZN2at6native16triu_tril_kernelIN3c107complexIfEEiLb0ELi2ELb0EEEvNS_4cuda6detail10TensorInfoIT_T0_EENS7_IKS8_S9_EEllS9_
	.globl	_ZN2at6native16triu_tril_kernelIN3c107complexIfEEiLb0ELi2ELb0EEEvNS_4cuda6detail10TensorInfoIT_T0_EENS7_IKS8_S9_EEllS9_
	.p2align	8
	.type	_ZN2at6native16triu_tril_kernelIN3c107complexIfEEiLb0ELi2ELb0EEEvNS_4cuda6detail10TensorInfoIT_T0_EENS7_IKS8_S9_EEllS9_,@function
_ZN2at6native16triu_tril_kernelIN3c107complexIfEEiLb0ELi2ELb0EEEvNS_4cuda6detail10TensorInfoIT_T0_EENS7_IKS8_S9_EEllS9_: ; @_ZN2at6native16triu_tril_kernelIN3c107complexIfEEiLb0ELi2ELb0EEEvNS_4cuda6detail10TensorInfoIT_T0_EENS7_IKS8_S9_EEllS9_
; %bb.0:
	s_load_dword s2, s[4:5], 0x1d4
	s_load_dwordx4 s[8:11], s[4:5], 0x1b0
	s_add_u32 s0, s4, 0x1c8
	v_mov_b32_e32 v2, 0
	s_addc_u32 s1, s5, 0
	s_waitcnt lgkmcnt(0)
	s_and_b32 s2, s2, 0xffff
	v_mov_b32_e32 v1, v2
	v_mov_b32_e32 v3, s6
	v_mad_u64_u32 v[0:1], s[6:7], s2, v3, v[0:1]
	v_lshlrev_b64 v[0:1], 1, v[0:1]
	v_cmp_gt_i64_e32 vcc, s[10:11], v[0:1]
	s_and_saveexec_b64 s[6:7], vcc
	s_cbranch_execz .LBB33_52
; %bb.1:
	s_load_dword s20, s[4:5], 0x1a8
	s_add_u32 s33, s4, 0xd8
	s_addc_u32 s42, s5, 0
	s_load_dword s3, s[0:1], 0x0
	s_load_dwordx2 s[6:7], s[4:5], 0xd8
	s_mov_b64 s[26:27], 0
	s_waitcnt lgkmcnt(0)
	s_ashr_i32 s21, s20, 31
	s_lshl_b64 s[0:1], s[20:21], 2
	s_add_u32 s18, s0, -8
	s_addc_u32 s19, s1, -1
	s_add_u32 s0, s33, s18
	s_addc_u32 s1, s42, s19
	s_load_dwordx2 s[12:13], s[0:1], 0x8
	s_load_dword s43, s[4:5], 0x1c0
	s_load_dwordx2 s[16:17], s[0:1], 0x6c
	s_mul_i32 s3, s3, s2
	v_cmp_gt_i64_e64 s[14:15], s[20:21], 2
	s_waitcnt lgkmcnt(0)
	s_ashr_i32 s44, s12, 31
	v_cvt_f32_u32_e32 v3, s43
	s_ashr_i32 s45, s43, 31
	s_add_u32 s46, s4, 0x6c
	s_addc_u32 s47, s5, 0
	s_add_u32 s0, s46, s18
	v_rcp_iflag_f32_e32 v3, v3
	s_addc_u32 s1, s47, s19
	s_load_dwordx2 s[18:19], s[0:1], 0x0
	s_add_i32 s48, s20, -3
	s_load_dwordx2 s[4:5], s[4:5], 0x0
	s_lshl_b32 s49, s3, 1
	s_and_b32 s51, s20, 3
	v_mul_f32_e32 v3, 0x4f7ffffe, v3
	s_cmp_lg_u32 s51, 2
	v_cvt_u32_f32_e32 v22, v3
	s_cselect_b64 s[22:23], -1, 0
	s_cmp_gt_u32 s48, 2
	s_mov_b32 s21, 0
	s_cselect_b64 s[24:25], -1, 0
	s_ashr_i32 s1, s17, 31
	s_mov_b32 s0, s17
	s_waitcnt lgkmcnt(0)
	s_ashr_i32 s3, s19, 31
	s_mov_b32 s2, s19
	s_mov_b32 s50, s21
	s_lshl_b64 s[28:29], s[0:1], 3
	s_lshl_b64 s[30:31], s[2:3], 3
	s_branch .LBB33_3
.LBB33_2:                               ;   in Loop: Header=BB33_3 Depth=1
	s_or_b64 exec, exec, s[0:1]
	v_mov_b32_e32 v3, s50
	v_add_co_u32_e32 v0, vcc, s49, v0
	v_addc_co_u32_e32 v1, vcc, v1, v3, vcc
	v_cmp_le_i64_e32 vcc, s[10:11], v[0:1]
	s_or_b64 s[26:27], vcc, s[26:27]
	s_andn2_b64 exec, exec, s[26:27]
	s_cbranch_execz .LBB33_52
.LBB33_3:                               ; =>This Loop Header: Depth=1
                                        ;     Child Loop BB33_37 Depth 2
                                        ;     Child Loop BB33_18 Depth 2
	v_or_b32_e32 v3, s45, v1
	v_cmp_ne_u64_e32 vcc, 0, v[2:3]
                                        ; implicit-def: $vgpr4_vgpr5
                                        ; implicit-def: $vgpr14_vgpr15
	s_and_saveexec_b64 s[0:1], vcc
	s_xor_b64 s[34:35], exec, s[0:1]
	s_cbranch_execz .LBB33_5
; %bb.4:                                ;   in Loop: Header=BB33_3 Depth=1
	s_add_u32 s0, s43, s45
	s_mov_b32 s2, s45
	s_mov_b32 s3, s45
	s_addc_u32 s1, s45, s45
	s_xor_b64 s[36:37], s[0:1], s[2:3]
	v_cvt_f32_u32_e32 v3, s36
	v_cvt_f32_u32_e32 v4, s37
	s_sub_u32 s0, 0, s36
	s_subb_u32 s1, 0, s37
	v_mac_f32_e32 v3, 0x4f800000, v4
	v_rcp_f32_e32 v3, v3
	v_mul_f32_e32 v3, 0x5f7ffffc, v3
	v_mul_f32_e32 v4, 0x2f800000, v3
	v_trunc_f32_e32 v4, v4
	v_mac_f32_e32 v3, 0xcf800000, v4
	v_cvt_u32_f32_e32 v4, v4
	v_cvt_u32_f32_e32 v3, v3
	v_mul_lo_u32 v5, s0, v4
	v_mul_hi_u32 v7, s0, v3
	v_mul_lo_u32 v6, s1, v3
	v_add_u32_e32 v5, v7, v5
	v_mul_lo_u32 v8, s0, v3
	v_add_u32_e32 v5, v5, v6
	v_mul_lo_u32 v7, v3, v5
	v_mul_hi_u32 v9, v3, v8
	v_mul_hi_u32 v6, v3, v5
	v_add_co_u32_e32 v7, vcc, v9, v7
	v_addc_co_u32_e32 v6, vcc, 0, v6, vcc
	v_mul_hi_u32 v10, v4, v8
	v_mul_lo_u32 v8, v4, v8
	v_add_co_u32_e32 v7, vcc, v7, v8
	v_mul_hi_u32 v9, v4, v5
	v_addc_co_u32_e32 v6, vcc, v6, v10, vcc
	v_addc_co_u32_e32 v7, vcc, 0, v9, vcc
	v_mul_lo_u32 v5, v4, v5
	v_add_co_u32_e32 v5, vcc, v6, v5
	v_addc_co_u32_e32 v6, vcc, 0, v7, vcc
	v_add_co_u32_e32 v3, vcc, v3, v5
	v_addc_co_u32_e32 v4, vcc, v4, v6, vcc
	v_mul_lo_u32 v5, s0, v4
	v_mul_hi_u32 v6, s0, v3
	v_add_u32_e32 v5, v6, v5
	v_mul_lo_u32 v6, s1, v3
	v_add_u32_e32 v5, v5, v6
	v_mul_lo_u32 v7, s0, v3
	v_mul_hi_u32 v8, v4, v7
	v_mul_lo_u32 v9, v4, v7
	v_mul_lo_u32 v11, v3, v5
	v_mul_hi_u32 v7, v3, v7
	v_mul_hi_u32 v10, v3, v5
	v_add_co_u32_e32 v7, vcc, v7, v11
	v_addc_co_u32_e32 v10, vcc, 0, v10, vcc
	v_add_co_u32_e32 v7, vcc, v7, v9
	v_mul_hi_u32 v6, v4, v5
	v_addc_co_u32_e32 v7, vcc, v10, v8, vcc
	v_addc_co_u32_e32 v6, vcc, 0, v6, vcc
	v_mul_lo_u32 v5, v4, v5
	v_add_co_u32_e32 v5, vcc, v7, v5
	v_addc_co_u32_e32 v6, vcc, 0, v6, vcc
	v_add_co_u32_e32 v3, vcc, v3, v5
	v_addc_co_u32_e32 v6, vcc, v4, v6, vcc
	v_ashrrev_i32_e32 v8, 31, v1
	v_add_co_u32_e32 v4, vcc, v0, v8
	v_addc_co_u32_e32 v5, vcc, v1, v8, vcc
	v_xor_b32_e32 v10, v4, v8
	v_xor_b32_e32 v9, v5, v8
	v_mad_u64_u32 v[4:5], s[0:1], v10, v6, 0
	v_mul_hi_u32 v7, v10, v3
	v_add_co_u32_e32 v11, vcc, v7, v4
	v_addc_co_u32_e32 v12, vcc, 0, v5, vcc
	v_mad_u64_u32 v[4:5], s[0:1], v9, v6, 0
	v_mad_u64_u32 v[6:7], s[0:1], v9, v3, 0
	v_add_co_u32_e32 v3, vcc, v11, v6
	v_addc_co_u32_e32 v3, vcc, v12, v7, vcc
	v_addc_co_u32_e32 v5, vcc, 0, v5, vcc
	v_add_co_u32_e32 v3, vcc, v3, v4
	v_addc_co_u32_e32 v6, vcc, 0, v5, vcc
	v_mul_lo_u32 v7, s37, v3
	v_mul_lo_u32 v11, s36, v6
	v_mad_u64_u32 v[4:5], s[0:1], s36, v3, 0
	v_add3_u32 v5, v5, v11, v7
	v_sub_u32_e32 v7, v9, v5
	v_mov_b32_e32 v11, s37
	v_sub_co_u32_e32 v4, vcc, v10, v4
	v_subb_co_u32_e64 v7, s[0:1], v7, v11, vcc
	v_subrev_co_u32_e64 v10, s[0:1], s36, v4
	v_subbrev_co_u32_e64 v7, s[0:1], 0, v7, s[0:1]
	v_cmp_le_u32_e64 s[0:1], s37, v7
	v_cndmask_b32_e64 v11, 0, -1, s[0:1]
	v_cmp_le_u32_e64 s[0:1], s36, v10
	v_cndmask_b32_e64 v12, 0, -1, s[0:1]
	v_cmp_eq_u32_e64 s[0:1], s37, v7
	v_cndmask_b32_e64 v7, v11, v12, s[0:1]
	v_add_co_u32_e64 v11, s[0:1], 2, v3
	v_addc_co_u32_e64 v12, s[0:1], 0, v6, s[0:1]
	v_add_co_u32_e64 v13, s[0:1], 1, v3
	v_subb_co_u32_e32 v5, vcc, v9, v5, vcc
	v_addc_co_u32_e64 v14, s[0:1], 0, v6, s[0:1]
	v_cmp_le_u32_e32 vcc, s37, v5
	v_cmp_ne_u32_e64 s[0:1], 0, v7
	v_cndmask_b32_e64 v9, 0, -1, vcc
	v_cmp_le_u32_e32 vcc, s36, v4
	v_cndmask_b32_e64 v7, v14, v12, s[0:1]
	v_cndmask_b32_e64 v12, 0, -1, vcc
	v_cmp_eq_u32_e32 vcc, s37, v5
	v_cndmask_b32_e32 v5, v9, v12, vcc
	v_cmp_ne_u32_e32 vcc, 0, v5
	v_cndmask_b32_e32 v5, v6, v7, vcc
	v_cndmask_b32_e64 v6, v13, v11, s[0:1]
	v_cndmask_b32_e32 v3, v3, v6, vcc
	v_xor_b32_e32 v7, s2, v8
	v_xor_b32_e32 v6, s3, v8
	;; [unrolled: 1-line block ×4, first 2 shown]
	v_sub_co_u32_e64 v14, s[2:3], v3, v7
	v_subb_co_u32_e64 v15, s[2:3], v5, v6, s[2:3]
	v_subrev_co_u32_e64 v3, s[2:3], s36, v10
	v_cndmask_b32_e64 v3, v10, v3, s[0:1]
	v_cndmask_b32_e32 v3, v4, v3, vcc
	v_xor_b32_e32 v3, v3, v8
	v_sub_co_u32_e32 v4, vcc, v3, v8
.LBB33_5:                               ;   in Loop: Header=BB33_3 Depth=1
	s_andn2_saveexec_b64 s[2:3], s[34:35]
	s_cbranch_execz .LBB33_7
; %bb.6:                                ;   in Loop: Header=BB33_3 Depth=1
	s_sub_i32 s0, 0, s43
	v_mul_lo_u32 v3, s0, v22
	v_mul_hi_u32 v3, v22, v3
	v_add_u32_e32 v3, v22, v3
	v_mul_hi_u32 v3, v0, v3
	v_mul_lo_u32 v4, v3, s43
	v_sub_u32_e32 v4, v0, v4
	v_subrev_u32_e32 v5, s43, v4
	v_cmp_le_u32_e32 vcc, s43, v4
	v_cndmask_b32_e32 v4, v4, v5, vcc
	v_subrev_u32_e32 v5, s43, v4
	v_cmp_le_u32_e64 s[0:1], s43, v4
	v_cndmask_b32_e64 v4, v4, v5, s[0:1]
	v_add_u32_e32 v5, 1, v3
	v_cndmask_b32_e32 v3, v3, v5, vcc
	v_add_u32_e32 v5, 1, v3
	v_cndmask_b32_e64 v14, v3, v5, s[0:1]
	v_mov_b32_e32 v15, v2
.LBB33_7:                               ;   in Loop: Header=BB33_3 Depth=1
	s_or_b64 exec, exec, s[2:3]
	v_or_b32_e32 v3, s44, v15
	v_cmp_ne_u64_e32 vcc, 0, v[2:3]
                                        ; implicit-def: $vgpr8_vgpr9
	s_and_saveexec_b64 s[0:1], vcc
	s_xor_b64 s[2:3], exec, s[0:1]
	s_cbranch_execz .LBB33_9
; %bb.8:                                ;   in Loop: Header=BB33_3 Depth=1
	s_add_u32 s34, s12, s44
	s_mov_b32 s0, s44
	s_mov_b32 s1, s44
	s_addc_u32 s35, s44, s44
	s_xor_b64 s[34:35], s[34:35], s[0:1]
	v_cvt_f32_u32_e32 v5, s34
	v_cvt_f32_u32_e32 v6, s35
	s_sub_u32 s0, 0, s34
	s_subb_u32 s1, 0, s35
	v_mac_f32_e32 v5, 0x4f800000, v6
	v_rcp_f32_e32 v5, v5
	v_mul_f32_e32 v5, 0x5f7ffffc, v5
	v_mul_f32_e32 v6, 0x2f800000, v5
	v_trunc_f32_e32 v6, v6
	v_mac_f32_e32 v5, 0xcf800000, v6
	v_cvt_u32_f32_e32 v6, v6
	v_cvt_u32_f32_e32 v5, v5
	v_mul_lo_u32 v7, s0, v6
	v_mul_hi_u32 v9, s0, v5
	v_mul_lo_u32 v8, s1, v5
	v_add_u32_e32 v7, v9, v7
	v_mul_lo_u32 v10, s0, v5
	v_add_u32_e32 v7, v7, v8
	v_mul_lo_u32 v9, v5, v7
	v_mul_hi_u32 v11, v5, v10
	v_mul_hi_u32 v8, v5, v7
	v_add_co_u32_e32 v9, vcc, v11, v9
	v_addc_co_u32_e32 v8, vcc, 0, v8, vcc
	v_mul_hi_u32 v12, v6, v10
	v_mul_lo_u32 v10, v6, v10
	v_add_co_u32_e32 v9, vcc, v9, v10
	v_mul_hi_u32 v11, v6, v7
	v_addc_co_u32_e32 v8, vcc, v8, v12, vcc
	v_addc_co_u32_e32 v9, vcc, 0, v11, vcc
	v_mul_lo_u32 v7, v6, v7
	v_add_co_u32_e32 v7, vcc, v8, v7
	v_addc_co_u32_e32 v8, vcc, 0, v9, vcc
	v_add_co_u32_e32 v5, vcc, v5, v7
	v_addc_co_u32_e32 v6, vcc, v6, v8, vcc
	v_mul_lo_u32 v7, s0, v6
	v_mul_hi_u32 v8, s0, v5
	v_add_u32_e32 v7, v8, v7
	v_mul_lo_u32 v8, s1, v5
	v_add_u32_e32 v7, v7, v8
	v_mul_lo_u32 v9, s0, v5
	v_mul_hi_u32 v10, v6, v9
	v_mul_lo_u32 v11, v6, v9
	v_mul_lo_u32 v13, v5, v7
	v_mul_hi_u32 v9, v5, v9
	v_mul_hi_u32 v12, v5, v7
	v_add_co_u32_e32 v9, vcc, v9, v13
	v_addc_co_u32_e32 v12, vcc, 0, v12, vcc
	v_add_co_u32_e32 v9, vcc, v9, v11
	v_mul_hi_u32 v8, v6, v7
	v_addc_co_u32_e32 v9, vcc, v12, v10, vcc
	v_addc_co_u32_e32 v8, vcc, 0, v8, vcc
	v_mul_lo_u32 v7, v6, v7
	v_add_co_u32_e32 v7, vcc, v9, v7
	v_addc_co_u32_e32 v8, vcc, 0, v8, vcc
	v_add_co_u32_e32 v5, vcc, v5, v7
	v_addc_co_u32_e32 v8, vcc, v6, v8, vcc
	v_ashrrev_i32_e32 v10, 31, v15
	v_add_co_u32_e32 v6, vcc, v14, v10
	v_addc_co_u32_e32 v7, vcc, v15, v10, vcc
	v_xor_b32_e32 v12, v6, v10
	v_xor_b32_e32 v11, v7, v10
	v_mad_u64_u32 v[6:7], s[0:1], v12, v8, 0
	v_mul_hi_u32 v9, v12, v5
	v_add_co_u32_e32 v13, vcc, v9, v6
	v_addc_co_u32_e32 v16, vcc, 0, v7, vcc
	v_mad_u64_u32 v[6:7], s[0:1], v11, v8, 0
	v_mad_u64_u32 v[8:9], s[0:1], v11, v5, 0
	v_add_co_u32_e32 v5, vcc, v13, v8
	v_addc_co_u32_e32 v5, vcc, v16, v9, vcc
	v_addc_co_u32_e32 v7, vcc, 0, v7, vcc
	v_add_co_u32_e32 v5, vcc, v5, v6
	v_addc_co_u32_e32 v6, vcc, 0, v7, vcc
	v_mul_lo_u32 v8, s35, v5
	v_mul_lo_u32 v9, s34, v6
	v_mad_u64_u32 v[6:7], s[0:1], s34, v5, 0
	v_add3_u32 v5, v7, v9, v8
	v_sub_u32_e32 v7, v11, v5
	v_mov_b32_e32 v8, s35
	v_sub_co_u32_e32 v6, vcc, v12, v6
	v_subb_co_u32_e64 v7, s[0:1], v7, v8, vcc
	v_subrev_co_u32_e64 v8, s[0:1], s34, v6
	v_subbrev_co_u32_e64 v7, s[0:1], 0, v7, s[0:1]
	v_cmp_le_u32_e64 s[0:1], s35, v7
	v_subb_co_u32_e32 v5, vcc, v11, v5, vcc
	v_cndmask_b32_e64 v9, 0, -1, s[0:1]
	v_cmp_le_u32_e64 s[0:1], s34, v8
	v_cmp_le_u32_e32 vcc, s35, v5
	v_cndmask_b32_e64 v12, 0, -1, s[0:1]
	v_cmp_eq_u32_e64 s[0:1], s35, v7
	v_cndmask_b32_e64 v11, 0, -1, vcc
	v_cmp_le_u32_e32 vcc, s34, v6
	v_cndmask_b32_e64 v7, v9, v12, s[0:1]
	v_cndmask_b32_e64 v12, 0, -1, vcc
	v_cmp_eq_u32_e32 vcc, s35, v5
	v_subrev_co_u32_e64 v9, s[0:1], s34, v8
	v_cndmask_b32_e32 v5, v11, v12, vcc
	v_cmp_ne_u32_e32 vcc, 0, v7
	v_cndmask_b32_e32 v7, v8, v9, vcc
	v_cmp_ne_u32_e32 vcc, 0, v5
	v_cndmask_b32_e32 v5, v6, v7, vcc
	v_xor_b32_e32 v5, v5, v10
	v_sub_co_u32_e32 v8, vcc, v5, v10
.LBB33_9:                               ;   in Loop: Header=BB33_3 Depth=1
	s_andn2_saveexec_b64 s[0:1], s[2:3]
	s_cbranch_execz .LBB33_11
; %bb.10:                               ;   in Loop: Header=BB33_3 Depth=1
	v_cvt_f32_u32_e32 v5, s12
	s_sub_i32 s2, 0, s12
	v_rcp_iflag_f32_e32 v5, v5
	v_mul_f32_e32 v5, 0x4f7ffffe, v5
	v_cvt_u32_f32_e32 v5, v5
	v_mul_lo_u32 v6, s2, v5
	v_mul_hi_u32 v6, v5, v6
	v_add_u32_e32 v5, v5, v6
	v_mul_hi_u32 v5, v14, v5
	v_mul_lo_u32 v5, v5, s12
	v_sub_u32_e32 v5, v14, v5
	v_subrev_u32_e32 v6, s12, v5
	v_cmp_le_u32_e32 vcc, s12, v5
	v_cndmask_b32_e32 v5, v5, v6, vcc
	v_subrev_u32_e32 v6, s12, v5
	v_cmp_le_u32_e32 vcc, s12, v5
	v_cndmask_b32_e32 v8, v5, v6, vcc
.LBB33_11:                              ;   in Loop: Header=BB33_3 Depth=1
	s_or_b64 exec, exec, s[0:1]
	v_mul_lo_u32 v6, s17, v4
	v_mad_u64_u32 v[10:11], s[0:1], s16, v8, v[6:7]
	v_mul_lo_u32 v6, s19, v4
	s_andn2_b64 vcc, exec, s[14:15]
	v_mad_u64_u32 v[6:7], s[0:1], s18, v8, v[6:7]
	s_cbranch_vccnz .LBB33_41
; %bb.12:                               ;   in Loop: Header=BB33_3 Depth=1
	v_cmp_ne_u64_e32 vcc, 0, v[2:3]
                                        ; implicit-def: $vgpr12_vgpr13
	s_and_saveexec_b64 s[0:1], vcc
	s_xor_b64 s[2:3], exec, s[0:1]
	s_cbranch_execz .LBB33_14
; %bb.13:                               ;   in Loop: Header=BB33_3 Depth=1
	s_add_u32 s0, s12, s44
	s_mov_b32 s34, s44
	s_mov_b32 s35, s44
	s_addc_u32 s1, s44, s44
	s_xor_b64 s[36:37], s[0:1], s[34:35]
	v_cvt_f32_u32_e32 v3, s36
	v_cvt_f32_u32_e32 v5, s37
	s_sub_u32 s0, 0, s36
	s_subb_u32 s1, 0, s37
	v_mac_f32_e32 v3, 0x4f800000, v5
	v_rcp_f32_e32 v3, v3
	v_mul_f32_e32 v3, 0x5f7ffffc, v3
	v_mul_f32_e32 v5, 0x2f800000, v3
	v_trunc_f32_e32 v5, v5
	v_mac_f32_e32 v3, 0xcf800000, v5
	v_cvt_u32_f32_e32 v5, v5
	v_cvt_u32_f32_e32 v3, v3
	v_mul_lo_u32 v7, s0, v5
	v_mul_hi_u32 v11, s0, v3
	v_mul_lo_u32 v9, s1, v3
	v_add_u32_e32 v7, v11, v7
	v_mul_lo_u32 v12, s0, v3
	v_add_u32_e32 v7, v7, v9
	v_mul_lo_u32 v11, v3, v7
	v_mul_hi_u32 v13, v3, v12
	v_mul_hi_u32 v9, v3, v7
	v_add_co_u32_e32 v11, vcc, v13, v11
	v_addc_co_u32_e32 v9, vcc, 0, v9, vcc
	v_mul_hi_u32 v16, v5, v12
	v_mul_lo_u32 v12, v5, v12
	v_add_co_u32_e32 v11, vcc, v11, v12
	v_mul_hi_u32 v13, v5, v7
	v_addc_co_u32_e32 v9, vcc, v9, v16, vcc
	v_addc_co_u32_e32 v11, vcc, 0, v13, vcc
	v_mul_lo_u32 v7, v5, v7
	v_add_co_u32_e32 v7, vcc, v9, v7
	v_addc_co_u32_e32 v9, vcc, 0, v11, vcc
	v_add_co_u32_e32 v3, vcc, v3, v7
	v_addc_co_u32_e32 v5, vcc, v5, v9, vcc
	v_mul_lo_u32 v7, s0, v5
	v_mul_hi_u32 v9, s0, v3
	v_add_u32_e32 v7, v9, v7
	v_mul_lo_u32 v9, s1, v3
	v_add_u32_e32 v7, v7, v9
	v_mul_lo_u32 v11, s0, v3
	v_mul_hi_u32 v12, v5, v11
	v_mul_lo_u32 v13, v5, v11
	v_mul_lo_u32 v17, v3, v7
	v_mul_hi_u32 v11, v3, v11
	v_mul_hi_u32 v16, v3, v7
	v_add_co_u32_e32 v11, vcc, v11, v17
	v_addc_co_u32_e32 v16, vcc, 0, v16, vcc
	v_add_co_u32_e32 v11, vcc, v11, v13
	v_mul_hi_u32 v9, v5, v7
	v_addc_co_u32_e32 v11, vcc, v16, v12, vcc
	v_addc_co_u32_e32 v9, vcc, 0, v9, vcc
	v_mul_lo_u32 v7, v5, v7
	v_add_co_u32_e32 v7, vcc, v11, v7
	v_addc_co_u32_e32 v9, vcc, 0, v9, vcc
	v_add_co_u32_e32 v3, vcc, v3, v7
	v_addc_co_u32_e32 v5, vcc, v5, v9, vcc
	v_ashrrev_i32_e32 v7, 31, v15
	v_add_co_u32_e32 v9, vcc, v14, v7
	v_xor_b32_e32 v9, v9, v7
	v_addc_co_u32_e32 v11, vcc, v15, v7, vcc
	v_mad_u64_u32 v[12:13], s[0:1], v9, v5, 0
	v_mul_hi_u32 v14, v9, v3
	v_xor_b32_e32 v11, v11, v7
	v_add_co_u32_e32 v16, vcc, v14, v12
	v_addc_co_u32_e32 v17, vcc, 0, v13, vcc
	v_mad_u64_u32 v[14:15], s[0:1], v11, v3, 0
	v_add_co_u32_e32 v3, vcc, v16, v14
	v_mad_u64_u32 v[12:13], s[0:1], v11, v5, 0
	v_addc_co_u32_e32 v3, vcc, v17, v15, vcc
	v_addc_co_u32_e32 v5, vcc, 0, v13, vcc
	v_add_co_u32_e32 v3, vcc, v3, v12
	v_addc_co_u32_e32 v5, vcc, 0, v5, vcc
	v_mul_lo_u32 v14, s37, v3
	v_mul_lo_u32 v15, s36, v5
	v_mad_u64_u32 v[12:13], s[0:1], s36, v3, 0
	v_add3_u32 v13, v13, v15, v14
	v_sub_u32_e32 v14, v11, v13
	v_mov_b32_e32 v15, s37
	v_sub_co_u32_e32 v9, vcc, v9, v12
	v_subb_co_u32_e64 v12, s[0:1], v14, v15, vcc
	v_subrev_co_u32_e64 v14, s[0:1], s36, v9
	v_subbrev_co_u32_e64 v12, s[0:1], 0, v12, s[0:1]
	v_cmp_le_u32_e64 s[0:1], s37, v12
	v_cndmask_b32_e64 v15, 0, -1, s[0:1]
	v_cmp_le_u32_e64 s[0:1], s36, v14
	v_cndmask_b32_e64 v14, 0, -1, s[0:1]
	v_cmp_eq_u32_e64 s[0:1], s37, v12
	v_cndmask_b32_e64 v12, v15, v14, s[0:1]
	v_add_co_u32_e64 v14, s[0:1], 2, v3
	v_subb_co_u32_e32 v11, vcc, v11, v13, vcc
	v_addc_co_u32_e64 v15, s[0:1], 0, v5, s[0:1]
	v_cmp_le_u32_e32 vcc, s37, v11
	v_add_co_u32_e64 v16, s[0:1], 1, v3
	v_cndmask_b32_e64 v13, 0, -1, vcc
	v_cmp_le_u32_e32 vcc, s36, v9
	v_addc_co_u32_e64 v17, s[0:1], 0, v5, s[0:1]
	v_cndmask_b32_e64 v9, 0, -1, vcc
	v_cmp_eq_u32_e32 vcc, s37, v11
	v_cmp_ne_u32_e64 s[0:1], 0, v12
	v_cndmask_b32_e32 v9, v13, v9, vcc
	v_cmp_ne_u32_e32 vcc, 0, v9
	v_cndmask_b32_e64 v9, v16, v14, s[0:1]
	v_cndmask_b32_e64 v12, v17, v15, s[0:1]
	v_cndmask_b32_e32 v3, v3, v9, vcc
	v_xor_b32_e32 v9, s35, v7
	v_xor_b32_e32 v7, s34, v7
	v_cndmask_b32_e32 v5, v5, v12, vcc
	v_xor_b32_e32 v3, v3, v7
	v_xor_b32_e32 v5, v5, v9
	v_sub_co_u32_e32 v12, vcc, v3, v7
	v_subb_co_u32_e32 v13, vcc, v5, v9, vcc
                                        ; implicit-def: $vgpr14_vgpr15
.LBB33_14:                              ;   in Loop: Header=BB33_3 Depth=1
	s_andn2_saveexec_b64 s[0:1], s[2:3]
	s_cbranch_execz .LBB33_16
; %bb.15:                               ;   in Loop: Header=BB33_3 Depth=1
	v_cvt_f32_u32_e32 v3, s12
	s_sub_i32 s2, 0, s12
	v_mov_b32_e32 v13, v2
	v_rcp_iflag_f32_e32 v3, v3
	v_mul_f32_e32 v3, 0x4f7ffffe, v3
	v_cvt_u32_f32_e32 v3, v3
	v_mul_lo_u32 v5, s2, v3
	v_mul_hi_u32 v5, v3, v5
	v_add_u32_e32 v3, v3, v5
	v_mul_hi_u32 v3, v14, v3
	v_mul_lo_u32 v5, v3, s12
	v_sub_u32_e32 v5, v14, v5
	v_add_u32_e32 v7, 1, v3
	v_subrev_u32_e32 v9, s12, v5
	v_cmp_le_u32_e32 vcc, s12, v5
	v_cndmask_b32_e32 v5, v5, v9, vcc
	v_cndmask_b32_e32 v3, v3, v7, vcc
	v_add_u32_e32 v7, 1, v3
	v_cmp_le_u32_e32 vcc, s12, v5
	v_cndmask_b32_e32 v12, v3, v7, vcc
.LBB33_16:                              ;   in Loop: Header=BB33_3 Depth=1
	s_or_b64 exec, exec, s[0:1]
	s_andn2_b64 vcc, exec, s[22:23]
	s_mov_b32 s52, 1
	s_mov_b32 s20, s48
	s_cbranch_vccz .LBB33_37
.LBB33_17:                              ;   in Loop: Header=BB33_3 Depth=1
	s_and_b64 vcc, exec, s[24:25]
	s_cbranch_vccz .LBB33_41
.LBB33_18:                              ;   Parent Loop BB33_3 Depth=1
                                        ; =>  This Inner Loop Header: Depth=2
	s_lshl_b64 s[2:3], s[20:21], 2
	s_add_u32 s34, s33, s2
	s_addc_u32 s35, s42, s3
	s_load_dword s52, s[34:35], 0x8
                                        ; implicit-def: $vgpr14_vgpr15
	s_waitcnt lgkmcnt(0)
	s_ashr_i32 s0, s52, 31
	v_or_b32_e32 v3, s0, v13
	v_cmp_ne_u64_e32 vcc, 0, v[2:3]
	s_and_saveexec_b64 s[36:37], vcc
	s_xor_b64 s[36:37], exec, s[36:37]
	s_cbranch_execz .LBB33_20
; %bb.19:                               ;   in Loop: Header=BB33_18 Depth=2
	s_add_u32 s40, s52, s0
	s_mov_b32 s38, s0
	s_mov_b32 s39, s0
	s_addc_u32 s41, s0, s0
	s_xor_b64 s[40:41], s[40:41], s[38:39]
	v_cvt_f32_u32_e32 v3, s40
	v_cvt_f32_u32_e32 v5, s41
	s_sub_u32 s0, 0, s40
	s_subb_u32 s1, 0, s41
	v_mac_f32_e32 v3, 0x4f800000, v5
	v_rcp_f32_e32 v3, v3
	v_mul_f32_e32 v3, 0x5f7ffffc, v3
	v_mul_f32_e32 v5, 0x2f800000, v3
	v_trunc_f32_e32 v5, v5
	v_mac_f32_e32 v3, 0xcf800000, v5
	v_cvt_u32_f32_e32 v5, v5
	v_cvt_u32_f32_e32 v3, v3
	v_mul_lo_u32 v7, s0, v5
	v_mul_hi_u32 v11, s0, v3
	v_mul_lo_u32 v9, s1, v3
	v_add_u32_e32 v7, v11, v7
	v_mul_lo_u32 v14, s0, v3
	v_add_u32_e32 v7, v7, v9
	v_mul_lo_u32 v11, v3, v7
	v_mul_hi_u32 v15, v3, v14
	v_mul_hi_u32 v9, v3, v7
	v_add_co_u32_e32 v11, vcc, v15, v11
	v_addc_co_u32_e32 v9, vcc, 0, v9, vcc
	v_mul_hi_u32 v16, v5, v14
	v_mul_lo_u32 v14, v5, v14
	v_add_co_u32_e32 v11, vcc, v11, v14
	v_mul_hi_u32 v15, v5, v7
	v_addc_co_u32_e32 v9, vcc, v9, v16, vcc
	v_addc_co_u32_e32 v11, vcc, 0, v15, vcc
	v_mul_lo_u32 v7, v5, v7
	v_add_co_u32_e32 v7, vcc, v9, v7
	v_addc_co_u32_e32 v9, vcc, 0, v11, vcc
	v_add_co_u32_e32 v3, vcc, v3, v7
	v_addc_co_u32_e32 v5, vcc, v5, v9, vcc
	v_mul_lo_u32 v7, s0, v5
	v_mul_hi_u32 v9, s0, v3
	v_add_u32_e32 v7, v9, v7
	v_mul_lo_u32 v9, s1, v3
	v_add_u32_e32 v7, v7, v9
	v_mul_lo_u32 v11, s0, v3
	v_mul_hi_u32 v14, v5, v11
	v_mul_lo_u32 v15, v5, v11
	v_mul_lo_u32 v17, v3, v7
	v_mul_hi_u32 v11, v3, v11
	v_mul_hi_u32 v16, v3, v7
	v_add_co_u32_e32 v11, vcc, v11, v17
	v_addc_co_u32_e32 v16, vcc, 0, v16, vcc
	v_add_co_u32_e32 v11, vcc, v11, v15
	v_mul_hi_u32 v9, v5, v7
	v_addc_co_u32_e32 v11, vcc, v16, v14, vcc
	v_addc_co_u32_e32 v9, vcc, 0, v9, vcc
	v_mul_lo_u32 v7, v5, v7
	v_add_co_u32_e32 v7, vcc, v11, v7
	v_addc_co_u32_e32 v9, vcc, 0, v9, vcc
	v_add_co_u32_e32 v3, vcc, v3, v7
	v_addc_co_u32_e32 v5, vcc, v5, v9, vcc
	v_ashrrev_i32_e32 v7, 31, v13
	v_add_co_u32_e32 v9, vcc, v12, v7
	v_xor_b32_e32 v9, v9, v7
	v_addc_co_u32_e32 v11, vcc, v13, v7, vcc
	v_mad_u64_u32 v[14:15], s[0:1], v9, v5, 0
	v_mul_hi_u32 v13, v9, v3
	v_xor_b32_e32 v11, v11, v7
	v_add_co_u32_e32 v13, vcc, v13, v14
	v_addc_co_u32_e32 v18, vcc, 0, v15, vcc
	v_mad_u64_u32 v[16:17], s[0:1], v11, v3, 0
	v_add_co_u32_e32 v3, vcc, v13, v16
	v_mad_u64_u32 v[14:15], s[0:1], v11, v5, 0
	v_addc_co_u32_e32 v3, vcc, v18, v17, vcc
	v_addc_co_u32_e32 v5, vcc, 0, v15, vcc
	v_add_co_u32_e32 v3, vcc, v3, v14
	v_addc_co_u32_e32 v5, vcc, 0, v5, vcc
	v_mul_lo_u32 v13, s41, v3
	v_mul_lo_u32 v16, s40, v5
	v_mad_u64_u32 v[14:15], s[0:1], s40, v3, 0
	v_add3_u32 v13, v15, v16, v13
	v_sub_u32_e32 v15, v11, v13
	v_mov_b32_e32 v16, s41
	v_sub_co_u32_e32 v9, vcc, v9, v14
	v_subb_co_u32_e64 v14, s[0:1], v15, v16, vcc
	v_subrev_co_u32_e64 v15, s[0:1], s40, v9
	v_subbrev_co_u32_e64 v14, s[0:1], 0, v14, s[0:1]
	v_cmp_le_u32_e64 s[0:1], s41, v14
	v_cndmask_b32_e64 v16, 0, -1, s[0:1]
	v_cmp_le_u32_e64 s[0:1], s40, v15
	v_cndmask_b32_e64 v15, 0, -1, s[0:1]
	v_cmp_eq_u32_e64 s[0:1], s41, v14
	v_cndmask_b32_e64 v14, v16, v15, s[0:1]
	v_add_co_u32_e64 v15, s[0:1], 2, v3
	v_subb_co_u32_e32 v11, vcc, v11, v13, vcc
	v_addc_co_u32_e64 v16, s[0:1], 0, v5, s[0:1]
	v_cmp_le_u32_e32 vcc, s41, v11
	v_add_co_u32_e64 v17, s[0:1], 1, v3
	v_cndmask_b32_e64 v13, 0, -1, vcc
	v_cmp_le_u32_e32 vcc, s40, v9
	v_addc_co_u32_e64 v18, s[0:1], 0, v5, s[0:1]
	v_cndmask_b32_e64 v9, 0, -1, vcc
	v_cmp_eq_u32_e32 vcc, s41, v11
	v_cmp_ne_u32_e64 s[0:1], 0, v14
	v_cndmask_b32_e32 v9, v13, v9, vcc
	v_cmp_ne_u32_e32 vcc, 0, v9
	v_cndmask_b32_e64 v9, v17, v15, s[0:1]
	v_cndmask_b32_e64 v14, v18, v16, s[0:1]
	v_cndmask_b32_e32 v3, v3, v9, vcc
	v_xor_b32_e32 v9, s39, v7
	v_xor_b32_e32 v7, s38, v7
	v_cndmask_b32_e32 v5, v5, v14, vcc
	v_xor_b32_e32 v3, v3, v7
	v_xor_b32_e32 v5, v5, v9
	v_sub_co_u32_e32 v14, vcc, v3, v7
	v_subb_co_u32_e32 v15, vcc, v5, v9, vcc
.LBB33_20:                              ;   in Loop: Header=BB33_18 Depth=2
	s_andn2_saveexec_b64 s[0:1], s[36:37]
	s_cbranch_execz .LBB33_22
; %bb.21:                               ;   in Loop: Header=BB33_18 Depth=2
	v_cvt_f32_u32_e32 v3, s52
	s_sub_i32 s36, 0, s52
	v_mov_b32_e32 v15, v2
	v_rcp_iflag_f32_e32 v3, v3
	v_mul_f32_e32 v3, 0x4f7ffffe, v3
	v_cvt_u32_f32_e32 v3, v3
	v_mul_lo_u32 v5, s36, v3
	v_mul_hi_u32 v5, v3, v5
	v_add_u32_e32 v3, v3, v5
	v_mul_hi_u32 v3, v12, v3
	v_mul_lo_u32 v5, v3, s52
	v_sub_u32_e32 v5, v12, v5
	v_add_u32_e32 v7, 1, v3
	v_subrev_u32_e32 v9, s52, v5
	v_cmp_le_u32_e32 vcc, s52, v5
	v_cndmask_b32_e32 v5, v5, v9, vcc
	v_cndmask_b32_e32 v3, v3, v7, vcc
	v_add_u32_e32 v7, 1, v3
	v_cmp_le_u32_e32 vcc, s52, v5
	v_cndmask_b32_e32 v14, v3, v7, vcc
.LBB33_22:                              ;   in Loop: Header=BB33_18 Depth=2
	s_or_b64 exec, exec, s[0:1]
	s_add_u32 s0, s46, s2
	s_addc_u32 s1, s47, s3
	s_add_i32 s2, s20, -1
	s_mov_b32 s3, s21
	s_lshl_b64 s[36:37], s[2:3], 2
	s_add_u32 s2, s33, s36
	s_addc_u32 s3, s42, s37
	s_load_dword s53, s[2:3], 0x8
	s_load_dword s54, s[34:35], 0x6c
	;; [unrolled: 1-line block ×3, first 2 shown]
                                        ; implicit-def: $vgpr16_vgpr17
	s_waitcnt lgkmcnt(0)
	s_ashr_i32 s0, s53, 31
	v_or_b32_e32 v3, s0, v15
	v_cmp_ne_u64_e32 vcc, 0, v[2:3]
	s_and_saveexec_b64 s[34:35], vcc
	s_xor_b64 s[34:35], exec, s[34:35]
	s_cbranch_execz .LBB33_24
; %bb.23:                               ;   in Loop: Header=BB33_18 Depth=2
	s_add_u32 s40, s53, s0
	s_mov_b32 s38, s0
	s_mov_b32 s39, s0
	s_addc_u32 s41, s0, s0
	s_xor_b64 s[40:41], s[40:41], s[38:39]
	v_cvt_f32_u32_e32 v3, s40
	v_cvt_f32_u32_e32 v5, s41
	s_sub_u32 s0, 0, s40
	s_subb_u32 s1, 0, s41
	v_mac_f32_e32 v3, 0x4f800000, v5
	v_rcp_f32_e32 v3, v3
	v_mul_f32_e32 v3, 0x5f7ffffc, v3
	v_mul_f32_e32 v5, 0x2f800000, v3
	v_trunc_f32_e32 v5, v5
	v_mac_f32_e32 v3, 0xcf800000, v5
	v_cvt_u32_f32_e32 v5, v5
	v_cvt_u32_f32_e32 v3, v3
	v_mul_lo_u32 v7, s0, v5
	v_mul_hi_u32 v11, s0, v3
	v_mul_lo_u32 v9, s1, v3
	v_add_u32_e32 v7, v11, v7
	v_mul_lo_u32 v13, s0, v3
	v_add_u32_e32 v7, v7, v9
	v_mul_lo_u32 v11, v3, v7
	v_mul_hi_u32 v16, v3, v13
	v_mul_hi_u32 v9, v3, v7
	v_add_co_u32_e32 v11, vcc, v16, v11
	v_addc_co_u32_e32 v9, vcc, 0, v9, vcc
	v_mul_hi_u32 v17, v5, v13
	v_mul_lo_u32 v13, v5, v13
	v_add_co_u32_e32 v11, vcc, v11, v13
	v_mul_hi_u32 v16, v5, v7
	v_addc_co_u32_e32 v9, vcc, v9, v17, vcc
	v_addc_co_u32_e32 v11, vcc, 0, v16, vcc
	v_mul_lo_u32 v7, v5, v7
	v_add_co_u32_e32 v7, vcc, v9, v7
	v_addc_co_u32_e32 v9, vcc, 0, v11, vcc
	v_add_co_u32_e32 v3, vcc, v3, v7
	v_addc_co_u32_e32 v5, vcc, v5, v9, vcc
	v_mul_lo_u32 v7, s0, v5
	v_mul_hi_u32 v9, s0, v3
	v_add_u32_e32 v7, v9, v7
	v_mul_lo_u32 v9, s1, v3
	v_add_u32_e32 v7, v7, v9
	v_mul_lo_u32 v11, s0, v3
	v_mul_hi_u32 v13, v5, v11
	v_mul_lo_u32 v16, v5, v11
	v_mul_lo_u32 v18, v3, v7
	v_mul_hi_u32 v11, v3, v11
	v_mul_hi_u32 v17, v3, v7
	v_add_co_u32_e32 v11, vcc, v11, v18
	v_addc_co_u32_e32 v17, vcc, 0, v17, vcc
	v_add_co_u32_e32 v11, vcc, v11, v16
	v_mul_hi_u32 v9, v5, v7
	v_addc_co_u32_e32 v11, vcc, v17, v13, vcc
	v_addc_co_u32_e32 v9, vcc, 0, v9, vcc
	v_mul_lo_u32 v7, v5, v7
	v_add_co_u32_e32 v7, vcc, v11, v7
	v_addc_co_u32_e32 v9, vcc, 0, v9, vcc
	v_add_co_u32_e32 v3, vcc, v3, v7
	v_addc_co_u32_e32 v5, vcc, v5, v9, vcc
	v_ashrrev_i32_e32 v7, 31, v15
	v_add_co_u32_e32 v9, vcc, v14, v7
	v_xor_b32_e32 v9, v9, v7
	v_addc_co_u32_e32 v11, vcc, v15, v7, vcc
	v_mad_u64_u32 v[16:17], s[0:1], v9, v5, 0
	v_mul_hi_u32 v13, v9, v3
	v_xor_b32_e32 v11, v11, v7
	v_add_co_u32_e32 v13, vcc, v13, v16
	v_addc_co_u32_e32 v15, vcc, 0, v17, vcc
	v_mad_u64_u32 v[18:19], s[0:1], v11, v3, 0
	v_add_co_u32_e32 v3, vcc, v13, v18
	v_mad_u64_u32 v[16:17], s[0:1], v11, v5, 0
	v_addc_co_u32_e32 v3, vcc, v15, v19, vcc
	v_addc_co_u32_e32 v5, vcc, 0, v17, vcc
	v_add_co_u32_e32 v3, vcc, v3, v16
	v_addc_co_u32_e32 v5, vcc, 0, v5, vcc
	v_mul_lo_u32 v13, s41, v3
	v_mul_lo_u32 v15, s40, v5
	v_mad_u64_u32 v[16:17], s[0:1], s40, v3, 0
	v_add3_u32 v13, v17, v15, v13
	v_sub_u32_e32 v15, v11, v13
	v_mov_b32_e32 v17, s41
	v_sub_co_u32_e32 v9, vcc, v9, v16
	v_subb_co_u32_e64 v15, s[0:1], v15, v17, vcc
	v_subrev_co_u32_e64 v16, s[0:1], s40, v9
	v_subbrev_co_u32_e64 v15, s[0:1], 0, v15, s[0:1]
	v_cmp_le_u32_e64 s[0:1], s41, v15
	v_cndmask_b32_e64 v17, 0, -1, s[0:1]
	v_cmp_le_u32_e64 s[0:1], s40, v16
	v_cndmask_b32_e64 v16, 0, -1, s[0:1]
	v_cmp_eq_u32_e64 s[0:1], s41, v15
	v_cndmask_b32_e64 v15, v17, v16, s[0:1]
	v_add_co_u32_e64 v16, s[0:1], 2, v3
	v_subb_co_u32_e32 v11, vcc, v11, v13, vcc
	v_addc_co_u32_e64 v17, s[0:1], 0, v5, s[0:1]
	v_cmp_le_u32_e32 vcc, s41, v11
	v_add_co_u32_e64 v18, s[0:1], 1, v3
	v_cndmask_b32_e64 v13, 0, -1, vcc
	v_cmp_le_u32_e32 vcc, s40, v9
	v_addc_co_u32_e64 v19, s[0:1], 0, v5, s[0:1]
	v_cndmask_b32_e64 v9, 0, -1, vcc
	v_cmp_eq_u32_e32 vcc, s41, v11
	v_cmp_ne_u32_e64 s[0:1], 0, v15
	v_cndmask_b32_e32 v9, v13, v9, vcc
	v_cmp_ne_u32_e32 vcc, 0, v9
	v_cndmask_b32_e64 v9, v18, v16, s[0:1]
	v_cndmask_b32_e64 v15, v19, v17, s[0:1]
	v_cndmask_b32_e32 v3, v3, v9, vcc
	v_xor_b32_e32 v9, s39, v7
	v_xor_b32_e32 v7, s38, v7
	v_cndmask_b32_e32 v5, v5, v15, vcc
	v_xor_b32_e32 v3, v3, v7
	v_xor_b32_e32 v5, v5, v9
	v_sub_co_u32_e32 v16, vcc, v3, v7
	v_subb_co_u32_e32 v17, vcc, v5, v9, vcc
.LBB33_24:                              ;   in Loop: Header=BB33_18 Depth=2
	s_andn2_saveexec_b64 s[0:1], s[34:35]
	s_cbranch_execz .LBB33_26
; %bb.25:                               ;   in Loop: Header=BB33_18 Depth=2
	v_cvt_f32_u32_e32 v3, s53
	s_sub_i32 s34, 0, s53
	v_mov_b32_e32 v17, v2
	v_rcp_iflag_f32_e32 v3, v3
	v_mul_f32_e32 v3, 0x4f7ffffe, v3
	v_cvt_u32_f32_e32 v3, v3
	v_mul_lo_u32 v5, s34, v3
	v_mul_hi_u32 v5, v3, v5
	v_add_u32_e32 v3, v3, v5
	v_mul_hi_u32 v3, v14, v3
	v_mul_lo_u32 v5, v3, s53
	v_sub_u32_e32 v5, v14, v5
	v_add_u32_e32 v7, 1, v3
	v_subrev_u32_e32 v9, s53, v5
	v_cmp_le_u32_e32 vcc, s53, v5
	v_cndmask_b32_e32 v5, v5, v9, vcc
	v_cndmask_b32_e32 v3, v3, v7, vcc
	v_add_u32_e32 v7, 1, v3
	v_cmp_le_u32_e32 vcc, s53, v5
	v_cndmask_b32_e32 v16, v3, v7, vcc
.LBB33_26:                              ;   in Loop: Header=BB33_18 Depth=2
	s_or_b64 exec, exec, s[0:1]
	s_add_u32 s0, s46, s36
	s_addc_u32 s1, s47, s37
	s_add_i32 s34, s20, -2
	s_mov_b32 s35, s21
	s_lshl_b64 s[34:35], s[34:35], 2
	s_add_u32 s36, s33, s34
	s_addc_u32 s37, s42, s35
	s_load_dword s56, s[36:37], 0x8
	s_load_dword s58, s[2:3], 0x6c
	;; [unrolled: 1-line block ×3, first 2 shown]
                                        ; implicit-def: $vgpr18_vgpr19
	s_waitcnt lgkmcnt(0)
	s_ashr_i32 s0, s56, 31
	v_or_b32_e32 v3, s0, v17
	v_cmp_ne_u64_e32 vcc, 0, v[2:3]
	s_and_saveexec_b64 s[2:3], vcc
	s_xor_b64 s[2:3], exec, s[2:3]
	s_cbranch_execz .LBB33_28
; %bb.27:                               ;   in Loop: Header=BB33_18 Depth=2
	s_add_u32 s40, s56, s0
	s_mov_b32 s38, s0
	s_mov_b32 s39, s0
	s_addc_u32 s41, s0, s0
	s_xor_b64 s[40:41], s[40:41], s[38:39]
	v_cvt_f32_u32_e32 v3, s40
	v_cvt_f32_u32_e32 v5, s41
	s_sub_u32 s0, 0, s40
	s_subb_u32 s1, 0, s41
	v_mac_f32_e32 v3, 0x4f800000, v5
	v_rcp_f32_e32 v3, v3
	v_mul_f32_e32 v3, 0x5f7ffffc, v3
	v_mul_f32_e32 v5, 0x2f800000, v3
	v_trunc_f32_e32 v5, v5
	v_mac_f32_e32 v3, 0xcf800000, v5
	v_cvt_u32_f32_e32 v5, v5
	v_cvt_u32_f32_e32 v3, v3
	v_mul_lo_u32 v7, s0, v5
	v_mul_hi_u32 v11, s0, v3
	v_mul_lo_u32 v9, s1, v3
	v_add_u32_e32 v7, v11, v7
	v_mul_lo_u32 v13, s0, v3
	v_add_u32_e32 v7, v7, v9
	v_mul_lo_u32 v11, v3, v7
	v_mul_hi_u32 v15, v3, v13
	v_mul_hi_u32 v9, v3, v7
	v_add_co_u32_e32 v11, vcc, v15, v11
	v_addc_co_u32_e32 v9, vcc, 0, v9, vcc
	v_mul_hi_u32 v18, v5, v13
	v_mul_lo_u32 v13, v5, v13
	v_add_co_u32_e32 v11, vcc, v11, v13
	v_mul_hi_u32 v15, v5, v7
	v_addc_co_u32_e32 v9, vcc, v9, v18, vcc
	v_addc_co_u32_e32 v11, vcc, 0, v15, vcc
	v_mul_lo_u32 v7, v5, v7
	v_add_co_u32_e32 v7, vcc, v9, v7
	v_addc_co_u32_e32 v9, vcc, 0, v11, vcc
	v_add_co_u32_e32 v3, vcc, v3, v7
	v_addc_co_u32_e32 v5, vcc, v5, v9, vcc
	v_mul_lo_u32 v7, s0, v5
	v_mul_hi_u32 v9, s0, v3
	v_add_u32_e32 v7, v9, v7
	v_mul_lo_u32 v9, s1, v3
	v_add_u32_e32 v7, v7, v9
	v_mul_lo_u32 v11, s0, v3
	v_mul_hi_u32 v13, v5, v11
	v_mul_lo_u32 v15, v5, v11
	v_mul_lo_u32 v19, v3, v7
	v_mul_hi_u32 v11, v3, v11
	v_mul_hi_u32 v18, v3, v7
	v_add_co_u32_e32 v11, vcc, v11, v19
	v_addc_co_u32_e32 v18, vcc, 0, v18, vcc
	v_add_co_u32_e32 v11, vcc, v11, v15
	v_mul_hi_u32 v9, v5, v7
	v_addc_co_u32_e32 v11, vcc, v18, v13, vcc
	v_addc_co_u32_e32 v9, vcc, 0, v9, vcc
	v_mul_lo_u32 v7, v5, v7
	v_add_co_u32_e32 v7, vcc, v11, v7
	v_addc_co_u32_e32 v9, vcc, 0, v9, vcc
	v_add_co_u32_e32 v3, vcc, v3, v7
	v_addc_co_u32_e32 v5, vcc, v5, v9, vcc
	v_ashrrev_i32_e32 v7, 31, v17
	v_add_co_u32_e32 v9, vcc, v16, v7
	v_xor_b32_e32 v9, v9, v7
	v_addc_co_u32_e32 v11, vcc, v17, v7, vcc
	v_mad_u64_u32 v[18:19], s[0:1], v9, v5, 0
	v_mul_hi_u32 v13, v9, v3
	v_xor_b32_e32 v11, v11, v7
	v_add_co_u32_e32 v13, vcc, v13, v18
	v_addc_co_u32_e32 v15, vcc, 0, v19, vcc
	v_mad_u64_u32 v[20:21], s[0:1], v11, v3, 0
	v_add_co_u32_e32 v3, vcc, v13, v20
	v_mad_u64_u32 v[18:19], s[0:1], v11, v5, 0
	v_addc_co_u32_e32 v3, vcc, v15, v21, vcc
	v_addc_co_u32_e32 v5, vcc, 0, v19, vcc
	v_add_co_u32_e32 v3, vcc, v3, v18
	v_addc_co_u32_e32 v5, vcc, 0, v5, vcc
	v_mul_lo_u32 v13, s41, v3
	v_mul_lo_u32 v15, s40, v5
	v_mad_u64_u32 v[18:19], s[0:1], s40, v3, 0
	v_add3_u32 v13, v19, v15, v13
	v_sub_u32_e32 v15, v11, v13
	v_mov_b32_e32 v17, s41
	v_sub_co_u32_e32 v9, vcc, v9, v18
	v_subb_co_u32_e64 v15, s[0:1], v15, v17, vcc
	v_subrev_co_u32_e64 v17, s[0:1], s40, v9
	v_subbrev_co_u32_e64 v15, s[0:1], 0, v15, s[0:1]
	v_cmp_le_u32_e64 s[0:1], s41, v15
	v_cndmask_b32_e64 v18, 0, -1, s[0:1]
	v_cmp_le_u32_e64 s[0:1], s40, v17
	v_cndmask_b32_e64 v17, 0, -1, s[0:1]
	v_cmp_eq_u32_e64 s[0:1], s41, v15
	v_cndmask_b32_e64 v15, v18, v17, s[0:1]
	v_add_co_u32_e64 v17, s[0:1], 2, v3
	v_subb_co_u32_e32 v11, vcc, v11, v13, vcc
	v_addc_co_u32_e64 v18, s[0:1], 0, v5, s[0:1]
	v_cmp_le_u32_e32 vcc, s41, v11
	v_add_co_u32_e64 v19, s[0:1], 1, v3
	v_cndmask_b32_e64 v13, 0, -1, vcc
	v_cmp_le_u32_e32 vcc, s40, v9
	v_addc_co_u32_e64 v20, s[0:1], 0, v5, s[0:1]
	v_cndmask_b32_e64 v9, 0, -1, vcc
	v_cmp_eq_u32_e32 vcc, s41, v11
	v_cmp_ne_u32_e64 s[0:1], 0, v15
	v_cndmask_b32_e32 v9, v13, v9, vcc
	v_cmp_ne_u32_e32 vcc, 0, v9
	v_cndmask_b32_e64 v9, v19, v17, s[0:1]
	v_cndmask_b32_e64 v15, v20, v18, s[0:1]
	v_cndmask_b32_e32 v3, v3, v9, vcc
	v_xor_b32_e32 v9, s39, v7
	v_xor_b32_e32 v7, s38, v7
	v_cndmask_b32_e32 v5, v5, v15, vcc
	v_xor_b32_e32 v3, v3, v7
	v_xor_b32_e32 v5, v5, v9
	v_sub_co_u32_e32 v18, vcc, v3, v7
	v_subb_co_u32_e32 v19, vcc, v5, v9, vcc
.LBB33_28:                              ;   in Loop: Header=BB33_18 Depth=2
	s_andn2_saveexec_b64 s[0:1], s[2:3]
	s_cbranch_execz .LBB33_30
; %bb.29:                               ;   in Loop: Header=BB33_18 Depth=2
	v_cvt_f32_u32_e32 v3, s56
	s_sub_i32 s2, 0, s56
	v_mov_b32_e32 v19, v2
	v_rcp_iflag_f32_e32 v3, v3
	v_mul_f32_e32 v3, 0x4f7ffffe, v3
	v_cvt_u32_f32_e32 v3, v3
	v_mul_lo_u32 v5, s2, v3
	v_mul_hi_u32 v5, v3, v5
	v_add_u32_e32 v3, v3, v5
	v_mul_hi_u32 v3, v16, v3
	v_mul_lo_u32 v5, v3, s56
	v_sub_u32_e32 v5, v16, v5
	v_add_u32_e32 v7, 1, v3
	v_subrev_u32_e32 v9, s56, v5
	v_cmp_le_u32_e32 vcc, s56, v5
	v_cndmask_b32_e32 v5, v5, v9, vcc
	v_cndmask_b32_e32 v3, v3, v7, vcc
	v_add_u32_e32 v7, 1, v3
	v_cmp_le_u32_e32 vcc, s56, v5
	v_cndmask_b32_e32 v18, v3, v7, vcc
.LBB33_30:                              ;   in Loop: Header=BB33_18 Depth=2
	s_or_b64 exec, exec, s[0:1]
	s_add_u32 s0, s46, s34
	s_addc_u32 s1, s47, s35
	s_add_i32 s2, s20, -3
	s_mov_b32 s3, s21
	s_lshl_b64 s[2:3], s[2:3], 2
	s_add_u32 s34, s33, s2
	s_addc_u32 s35, s42, s3
	s_load_dword s59, s[34:35], 0x8
	s_load_dword s60, s[36:37], 0x6c
	;; [unrolled: 1-line block ×3, first 2 shown]
                                        ; implicit-def: $vgpr20_vgpr21
	s_waitcnt lgkmcnt(0)
	s_ashr_i32 s0, s59, 31
	v_or_b32_e32 v3, s0, v19
	v_cmp_ne_u64_e32 vcc, 0, v[2:3]
	s_and_saveexec_b64 s[36:37], vcc
	s_xor_b64 s[36:37], exec, s[36:37]
	s_cbranch_execz .LBB33_32
; %bb.31:                               ;   in Loop: Header=BB33_18 Depth=2
	s_add_u32 s40, s59, s0
	s_mov_b32 s38, s0
	s_mov_b32 s39, s0
	s_addc_u32 s41, s0, s0
	s_xor_b64 s[40:41], s[40:41], s[38:39]
	v_cvt_f32_u32_e32 v3, s40
	v_cvt_f32_u32_e32 v5, s41
	s_sub_u32 s0, 0, s40
	s_subb_u32 s1, 0, s41
	v_mac_f32_e32 v3, 0x4f800000, v5
	v_rcp_f32_e32 v3, v3
	v_mul_f32_e32 v3, 0x5f7ffffc, v3
	v_mul_f32_e32 v5, 0x2f800000, v3
	v_trunc_f32_e32 v5, v5
	v_mac_f32_e32 v3, 0xcf800000, v5
	v_cvt_u32_f32_e32 v5, v5
	v_cvt_u32_f32_e32 v3, v3
	v_mul_lo_u32 v7, s0, v5
	v_mul_hi_u32 v11, s0, v3
	v_mul_lo_u32 v9, s1, v3
	v_add_u32_e32 v7, v11, v7
	v_mul_lo_u32 v13, s0, v3
	v_add_u32_e32 v7, v7, v9
	v_mul_lo_u32 v11, v3, v7
	v_mul_hi_u32 v15, v3, v13
	v_mul_hi_u32 v9, v3, v7
	v_add_co_u32_e32 v11, vcc, v15, v11
	v_addc_co_u32_e32 v9, vcc, 0, v9, vcc
	v_mul_hi_u32 v17, v5, v13
	v_mul_lo_u32 v13, v5, v13
	v_add_co_u32_e32 v11, vcc, v11, v13
	v_mul_hi_u32 v15, v5, v7
	v_addc_co_u32_e32 v9, vcc, v9, v17, vcc
	v_addc_co_u32_e32 v11, vcc, 0, v15, vcc
	v_mul_lo_u32 v7, v5, v7
	v_add_co_u32_e32 v7, vcc, v9, v7
	v_addc_co_u32_e32 v9, vcc, 0, v11, vcc
	v_add_co_u32_e32 v3, vcc, v3, v7
	v_addc_co_u32_e32 v5, vcc, v5, v9, vcc
	v_mul_lo_u32 v7, s0, v5
	v_mul_hi_u32 v9, s0, v3
	v_add_u32_e32 v7, v9, v7
	v_mul_lo_u32 v9, s1, v3
	v_add_u32_e32 v7, v7, v9
	v_mul_lo_u32 v11, s0, v3
	v_mul_hi_u32 v13, v5, v11
	v_mul_lo_u32 v15, v5, v11
	v_mul_lo_u32 v20, v3, v7
	v_mul_hi_u32 v11, v3, v11
	v_mul_hi_u32 v17, v3, v7
	v_add_co_u32_e32 v11, vcc, v11, v20
	v_addc_co_u32_e32 v17, vcc, 0, v17, vcc
	v_add_co_u32_e32 v11, vcc, v11, v15
	v_mul_hi_u32 v9, v5, v7
	v_addc_co_u32_e32 v11, vcc, v17, v13, vcc
	v_addc_co_u32_e32 v9, vcc, 0, v9, vcc
	v_mul_lo_u32 v7, v5, v7
	v_add_co_u32_e32 v7, vcc, v11, v7
	v_addc_co_u32_e32 v9, vcc, 0, v9, vcc
	v_add_co_u32_e32 v3, vcc, v3, v7
	v_addc_co_u32_e32 v5, vcc, v5, v9, vcc
	v_ashrrev_i32_e32 v7, 31, v19
	v_add_co_u32_e32 v9, vcc, v18, v7
	v_xor_b32_e32 v9, v9, v7
	v_addc_co_u32_e32 v11, vcc, v19, v7, vcc
	v_mad_u64_u32 v[20:21], s[0:1], v9, v5, 0
	v_mul_hi_u32 v13, v9, v3
	v_xor_b32_e32 v11, v11, v7
	v_add_co_u32_e32 v13, vcc, v13, v20
	v_addc_co_u32_e32 v15, vcc, 0, v21, vcc
	v_mad_u64_u32 v[24:25], s[0:1], v11, v3, 0
	v_add_co_u32_e32 v3, vcc, v13, v24
	v_mad_u64_u32 v[20:21], s[0:1], v11, v5, 0
	v_addc_co_u32_e32 v3, vcc, v15, v25, vcc
	v_addc_co_u32_e32 v5, vcc, 0, v21, vcc
	v_add_co_u32_e32 v3, vcc, v3, v20
	v_addc_co_u32_e32 v5, vcc, 0, v5, vcc
	v_mul_lo_u32 v13, s41, v3
	v_mul_lo_u32 v15, s40, v5
	v_mad_u64_u32 v[20:21], s[0:1], s40, v3, 0
	v_add3_u32 v13, v21, v15, v13
	v_sub_u32_e32 v15, v11, v13
	v_mov_b32_e32 v17, s41
	v_sub_co_u32_e32 v9, vcc, v9, v20
	v_subb_co_u32_e64 v15, s[0:1], v15, v17, vcc
	v_subrev_co_u32_e64 v17, s[0:1], s40, v9
	v_subbrev_co_u32_e64 v15, s[0:1], 0, v15, s[0:1]
	v_cmp_le_u32_e64 s[0:1], s41, v15
	v_cndmask_b32_e64 v19, 0, -1, s[0:1]
	v_cmp_le_u32_e64 s[0:1], s40, v17
	v_cndmask_b32_e64 v17, 0, -1, s[0:1]
	v_cmp_eq_u32_e64 s[0:1], s41, v15
	v_cndmask_b32_e64 v15, v19, v17, s[0:1]
	v_add_co_u32_e64 v17, s[0:1], 2, v3
	v_subb_co_u32_e32 v11, vcc, v11, v13, vcc
	v_addc_co_u32_e64 v19, s[0:1], 0, v5, s[0:1]
	v_cmp_le_u32_e32 vcc, s41, v11
	v_add_co_u32_e64 v20, s[0:1], 1, v3
	v_cndmask_b32_e64 v13, 0, -1, vcc
	v_cmp_le_u32_e32 vcc, s40, v9
	v_addc_co_u32_e64 v21, s[0:1], 0, v5, s[0:1]
	v_cndmask_b32_e64 v9, 0, -1, vcc
	v_cmp_eq_u32_e32 vcc, s41, v11
	v_cmp_ne_u32_e64 s[0:1], 0, v15
	v_cndmask_b32_e32 v9, v13, v9, vcc
	v_cmp_ne_u32_e32 vcc, 0, v9
	v_cndmask_b32_e64 v9, v20, v17, s[0:1]
	v_cndmask_b32_e64 v15, v21, v19, s[0:1]
	v_cndmask_b32_e32 v3, v3, v9, vcc
	v_xor_b32_e32 v9, s39, v7
	v_xor_b32_e32 v7, s38, v7
	v_cndmask_b32_e32 v5, v5, v15, vcc
	v_xor_b32_e32 v3, v3, v7
	v_xor_b32_e32 v5, v5, v9
	v_sub_co_u32_e32 v20, vcc, v3, v7
	v_subb_co_u32_e32 v21, vcc, v5, v9, vcc
.LBB33_32:                              ;   in Loop: Header=BB33_18 Depth=2
	s_andn2_saveexec_b64 s[0:1], s[36:37]
	s_cbranch_execz .LBB33_34
; %bb.33:                               ;   in Loop: Header=BB33_18 Depth=2
	v_cvt_f32_u32_e32 v3, s59
	s_sub_i32 s36, 0, s59
	v_mov_b32_e32 v21, v2
	v_rcp_iflag_f32_e32 v3, v3
	v_mul_f32_e32 v3, 0x4f7ffffe, v3
	v_cvt_u32_f32_e32 v3, v3
	v_mul_lo_u32 v5, s36, v3
	v_mul_hi_u32 v5, v3, v5
	v_add_u32_e32 v3, v3, v5
	v_mul_hi_u32 v3, v18, v3
	v_mul_lo_u32 v5, v3, s59
	v_sub_u32_e32 v5, v18, v5
	v_add_u32_e32 v7, 1, v3
	v_subrev_u32_e32 v9, s59, v5
	v_cmp_le_u32_e32 vcc, s59, v5
	v_cndmask_b32_e32 v5, v5, v9, vcc
	v_cndmask_b32_e32 v3, v3, v7, vcc
	v_add_u32_e32 v7, 1, v3
	v_cmp_le_u32_e32 vcc, s59, v5
	v_cndmask_b32_e32 v20, v3, v7, vcc
.LBB33_34:                              ;   in Loop: Header=BB33_18 Depth=2
	s_or_b64 exec, exec, s[0:1]
	s_add_u32 s0, s46, s2
	v_mul_lo_u32 v3, v14, s52
	v_mul_lo_u32 v7, v16, s53
	s_load_dword s2, s[34:35], 0x6c
	s_addc_u32 s1, s47, s3
	s_load_dword s0, s[0:1], 0x0
	v_sub_u32_e32 v3, v12, v3
	v_sub_u32_e32 v7, v14, v7
	v_mul_lo_u32 v5, s54, v3
	v_mul_lo_u32 v3, s55, v3
	;; [unrolled: 1-line block ×4, first 2 shown]
	v_add3_u32 v5, v5, v10, v9
	v_add3_u32 v3, v3, v6, v7
	v_mul_lo_u32 v6, v18, s56
	v_mul_lo_u32 v9, v20, s59
	v_sub_u32_e32 v6, v16, v6
	v_sub_u32_e32 v9, v18, v9
	v_mul_lo_u32 v7, s60, v6
	s_waitcnt lgkmcnt(0)
	v_mul_lo_u32 v10, s2, v9
	v_mul_lo_u32 v6, s61, v6
	v_add3_u32 v10, v7, v5, v10
	v_mul_lo_u32 v5, s0, v9
	s_add_i32 s20, s20, -4
	s_cmp_eq_u32 s20, -1
	v_add3_u32 v6, v6, v3, v5
	s_cbranch_scc1 .LBB33_41
; %bb.35:                               ;   in Loop: Header=BB33_18 Depth=2
	v_pk_mov_b32 v[12:13], v[20:21], v[20:21] op_sel:[0,1]
	s_branch .LBB33_18
.LBB33_36:                              ;   in Loop: Header=BB33_37 Depth=2
	s_or_b64 exec, exec, s[0:1]
	s_load_dword s34, s[34:35], 0x6c
	s_add_u32 s0, s46, s2
	s_addc_u32 s1, s47, s3
	s_load_dword s2, s[0:1], 0x0
	v_mul_lo_u32 v3, v12, s53
	v_sub_u32_e32 v3, v14, v3
	s_waitcnt lgkmcnt(0)
	v_mad_u64_u32 v[10:11], s[0:1], s34, v3, v[10:11]
	s_add_i32 s20, s20, -1
	s_xor_b32 s0, s51, s52
	s_add_i32 s52, s52, 1
	s_cmp_lg_u32 s0, 2
	v_mad_u64_u32 v[6:7], s[0:1], s2, v3, v[6:7]
	s_cbranch_scc0 .LBB33_17
.LBB33_37:                              ;   Parent Loop BB33_3 Depth=1
                                        ; =>  This Inner Loop Header: Depth=2
	s_lshl_b64 s[2:3], s[20:21], 2
	s_add_u32 s34, s33, s2
	s_addc_u32 s35, s42, s3
	s_load_dword s53, s[34:35], 0x8
	v_pk_mov_b32 v[14:15], v[12:13], v[12:13] op_sel:[0,1]
                                        ; implicit-def: $vgpr12_vgpr13
	s_waitcnt lgkmcnt(0)
	s_ashr_i32 s0, s53, 31
	v_or_b32_e32 v3, s0, v15
	v_cmp_ne_u64_e32 vcc, 0, v[2:3]
	s_and_saveexec_b64 s[36:37], vcc
	s_xor_b64 s[36:37], exec, s[36:37]
	s_cbranch_execz .LBB33_39
; %bb.38:                               ;   in Loop: Header=BB33_37 Depth=2
	s_add_u32 s40, s53, s0
	s_mov_b32 s38, s0
	s_mov_b32 s39, s0
	s_addc_u32 s41, s0, s0
	s_xor_b64 s[40:41], s[40:41], s[38:39]
	v_cvt_f32_u32_e32 v3, s40
	v_cvt_f32_u32_e32 v5, s41
	s_sub_u32 s0, 0, s40
	s_subb_u32 s1, 0, s41
	v_mac_f32_e32 v3, 0x4f800000, v5
	v_rcp_f32_e32 v3, v3
	v_mul_f32_e32 v3, 0x5f7ffffc, v3
	v_mul_f32_e32 v5, 0x2f800000, v3
	v_trunc_f32_e32 v5, v5
	v_mac_f32_e32 v3, 0xcf800000, v5
	v_cvt_u32_f32_e32 v5, v5
	v_cvt_u32_f32_e32 v3, v3
	v_mul_lo_u32 v7, s0, v5
	v_mul_hi_u32 v11, s0, v3
	v_mul_lo_u32 v9, s1, v3
	v_add_u32_e32 v7, v11, v7
	v_mul_lo_u32 v12, s0, v3
	v_add_u32_e32 v7, v7, v9
	v_mul_lo_u32 v11, v3, v7
	v_mul_hi_u32 v13, v3, v12
	v_mul_hi_u32 v9, v3, v7
	v_add_co_u32_e32 v11, vcc, v13, v11
	v_addc_co_u32_e32 v9, vcc, 0, v9, vcc
	v_mul_hi_u32 v16, v5, v12
	v_mul_lo_u32 v12, v5, v12
	v_add_co_u32_e32 v11, vcc, v11, v12
	v_mul_hi_u32 v13, v5, v7
	v_addc_co_u32_e32 v9, vcc, v9, v16, vcc
	v_addc_co_u32_e32 v11, vcc, 0, v13, vcc
	v_mul_lo_u32 v7, v5, v7
	v_add_co_u32_e32 v7, vcc, v9, v7
	v_addc_co_u32_e32 v9, vcc, 0, v11, vcc
	v_add_co_u32_e32 v3, vcc, v3, v7
	v_addc_co_u32_e32 v5, vcc, v5, v9, vcc
	v_mul_lo_u32 v7, s0, v5
	v_mul_hi_u32 v9, s0, v3
	v_add_u32_e32 v7, v9, v7
	v_mul_lo_u32 v9, s1, v3
	v_add_u32_e32 v7, v7, v9
	v_mul_lo_u32 v11, s0, v3
	v_mul_hi_u32 v12, v5, v11
	v_mul_lo_u32 v13, v5, v11
	v_mul_lo_u32 v17, v3, v7
	v_mul_hi_u32 v11, v3, v11
	v_mul_hi_u32 v16, v3, v7
	v_add_co_u32_e32 v11, vcc, v11, v17
	v_addc_co_u32_e32 v16, vcc, 0, v16, vcc
	v_add_co_u32_e32 v11, vcc, v11, v13
	v_mul_hi_u32 v9, v5, v7
	v_addc_co_u32_e32 v11, vcc, v16, v12, vcc
	v_addc_co_u32_e32 v9, vcc, 0, v9, vcc
	v_mul_lo_u32 v7, v5, v7
	v_add_co_u32_e32 v7, vcc, v11, v7
	v_addc_co_u32_e32 v9, vcc, 0, v9, vcc
	v_add_co_u32_e32 v3, vcc, v3, v7
	v_addc_co_u32_e32 v5, vcc, v5, v9, vcc
	v_ashrrev_i32_e32 v7, 31, v15
	v_add_co_u32_e32 v9, vcc, v14, v7
	v_xor_b32_e32 v9, v9, v7
	v_addc_co_u32_e32 v11, vcc, v15, v7, vcc
	v_mad_u64_u32 v[12:13], s[0:1], v9, v5, 0
	v_mul_hi_u32 v15, v9, v3
	v_xor_b32_e32 v11, v11, v7
	v_add_co_u32_e32 v15, vcc, v15, v12
	v_addc_co_u32_e32 v18, vcc, 0, v13, vcc
	v_mad_u64_u32 v[16:17], s[0:1], v11, v3, 0
	v_add_co_u32_e32 v3, vcc, v15, v16
	v_mad_u64_u32 v[12:13], s[0:1], v11, v5, 0
	v_addc_co_u32_e32 v3, vcc, v18, v17, vcc
	v_addc_co_u32_e32 v5, vcc, 0, v13, vcc
	v_add_co_u32_e32 v3, vcc, v3, v12
	v_addc_co_u32_e32 v5, vcc, 0, v5, vcc
	v_mul_lo_u32 v15, s41, v3
	v_mul_lo_u32 v16, s40, v5
	v_mad_u64_u32 v[12:13], s[0:1], s40, v3, 0
	v_add3_u32 v13, v13, v16, v15
	v_sub_u32_e32 v15, v11, v13
	v_mov_b32_e32 v16, s41
	v_sub_co_u32_e32 v9, vcc, v9, v12
	v_subb_co_u32_e64 v12, s[0:1], v15, v16, vcc
	v_subrev_co_u32_e64 v15, s[0:1], s40, v9
	v_subbrev_co_u32_e64 v12, s[0:1], 0, v12, s[0:1]
	v_cmp_le_u32_e64 s[0:1], s41, v12
	v_cndmask_b32_e64 v16, 0, -1, s[0:1]
	v_cmp_le_u32_e64 s[0:1], s40, v15
	v_cndmask_b32_e64 v15, 0, -1, s[0:1]
	v_cmp_eq_u32_e64 s[0:1], s41, v12
	v_cndmask_b32_e64 v12, v16, v15, s[0:1]
	v_add_co_u32_e64 v15, s[0:1], 2, v3
	v_subb_co_u32_e32 v11, vcc, v11, v13, vcc
	v_addc_co_u32_e64 v16, s[0:1], 0, v5, s[0:1]
	v_cmp_le_u32_e32 vcc, s41, v11
	v_add_co_u32_e64 v17, s[0:1], 1, v3
	v_cndmask_b32_e64 v13, 0, -1, vcc
	v_cmp_le_u32_e32 vcc, s40, v9
	v_addc_co_u32_e64 v18, s[0:1], 0, v5, s[0:1]
	v_cndmask_b32_e64 v9, 0, -1, vcc
	v_cmp_eq_u32_e32 vcc, s41, v11
	v_cmp_ne_u32_e64 s[0:1], 0, v12
	v_cndmask_b32_e32 v9, v13, v9, vcc
	v_cmp_ne_u32_e32 vcc, 0, v9
	v_cndmask_b32_e64 v9, v17, v15, s[0:1]
	v_cndmask_b32_e64 v12, v18, v16, s[0:1]
	v_cndmask_b32_e32 v3, v3, v9, vcc
	v_xor_b32_e32 v9, s39, v7
	v_xor_b32_e32 v7, s38, v7
	v_cndmask_b32_e32 v5, v5, v12, vcc
	v_xor_b32_e32 v3, v3, v7
	v_xor_b32_e32 v5, v5, v9
	v_sub_co_u32_e32 v12, vcc, v3, v7
	v_subb_co_u32_e32 v13, vcc, v5, v9, vcc
.LBB33_39:                              ;   in Loop: Header=BB33_37 Depth=2
	s_andn2_saveexec_b64 s[0:1], s[36:37]
	s_cbranch_execz .LBB33_36
; %bb.40:                               ;   in Loop: Header=BB33_37 Depth=2
	v_cvt_f32_u32_e32 v3, s53
	s_sub_i32 s36, 0, s53
	v_mov_b32_e32 v13, v2
	v_rcp_iflag_f32_e32 v3, v3
	v_mul_f32_e32 v3, 0x4f7ffffe, v3
	v_cvt_u32_f32_e32 v3, v3
	v_mul_lo_u32 v5, s36, v3
	v_mul_hi_u32 v5, v3, v5
	v_add_u32_e32 v3, v3, v5
	v_mul_hi_u32 v3, v14, v3
	v_mul_lo_u32 v5, v3, s53
	v_sub_u32_e32 v5, v14, v5
	v_add_u32_e32 v7, 1, v3
	v_subrev_u32_e32 v9, s53, v5
	v_cmp_le_u32_e32 vcc, s53, v5
	v_cndmask_b32_e32 v5, v5, v9, vcc
	v_cndmask_b32_e32 v3, v3, v7, vcc
	v_add_u32_e32 v7, 1, v3
	v_cmp_le_u32_e32 vcc, s53, v5
	v_cndmask_b32_e32 v12, v3, v7, vcc
	s_branch .LBB33_36
.LBB33_41:                              ;   in Loop: Header=BB33_3 Depth=1
	v_mov_b32_e32 v3, v4
	v_sub_u32_e32 v4, v4, v8
	v_ashrrev_i32_e32 v5, 31, v4
	v_cmp_ge_i64_e32 vcc, s[8:9], v[4:5]
                                        ; implicit-def: $vgpr4
                                        ; implicit-def: $vgpr12
	s_and_saveexec_b64 s[0:1], vcc
	s_xor_b64 s[0:1], exec, s[0:1]
	s_cbranch_execnz .LBB33_44
; %bb.42:                               ;   in Loop: Header=BB33_3 Depth=1
	s_andn2_saveexec_b64 s[0:1], s[0:1]
	s_cbranch_execnz .LBB33_49
.LBB33_43:                              ;   in Loop: Header=BB33_3 Depth=1
	s_or_b64 exec, exec, s[0:1]
	v_cmp_gt_i32_e32 vcc, s13, v3
	s_and_saveexec_b64 s[0:1], vcc
	s_cbranch_execz .LBB33_2
	s_branch .LBB33_50
.LBB33_44:                              ;   in Loop: Header=BB33_3 Depth=1
	v_cmp_gt_i32_e32 vcc, s13, v3
	v_mov_b32_e32 v4, 0
	v_mov_b32_e32 v5, 0
	;; [unrolled: 1-line block ×4, first 2 shown]
	s_and_saveexec_b64 s[2:3], vcc
	s_cbranch_execz .LBB33_48
; %bb.45:                               ;   in Loop: Header=BB33_3 Depth=1
	v_ashrrev_i32_e32 v11, 31, v10
	v_lshlrev_b64 v[4:5], 3, v[10:11]
	v_mov_b32_e32 v7, s7
	v_add_co_u32_e32 v10, vcc, s6, v4
	v_addc_co_u32_e32 v11, vcc, v7, v5, vcc
	global_load_dwordx2 v[4:5], v[10:11], off
	v_add_u32_e32 v7, 1, v3
	v_cmp_gt_i32_e32 vcc, s13, v7
	v_mov_b32_e32 v15, 0
	v_mov_b32_e32 v14, 0
	s_and_saveexec_b64 s[34:35], vcc
	s_xor_b64 s[34:35], exec, s[34:35]
	s_cbranch_execz .LBB33_47
; %bb.46:                               ;   in Loop: Header=BB33_3 Depth=1
	v_mov_b32_e32 v7, s29
	v_add_co_u32_e32 v10, vcc, s28, v10
	v_addc_co_u32_e32 v11, vcc, v11, v7, vcc
	global_load_dwordx2 v[14:15], v[10:11], off
.LBB33_47:                              ;   in Loop: Header=BB33_3 Depth=1
	s_or_b64 exec, exec, s[34:35]
.LBB33_48:                              ;   in Loop: Header=BB33_3 Depth=1
	s_or_b64 exec, exec, s[2:3]
	v_sub_u32_e32 v8, v3, v8
	v_ashrrev_i32_e32 v9, 31, v8
	v_cmp_lt_i64_e32 vcc, s[8:9], v[8:9]
	s_waitcnt vmcnt(0)
	v_cndmask_b32_e64 v12, v4, 0, vcc
	v_add_u32_e32 v4, 1, v8
	v_cndmask_b32_e64 v13, v5, 0, vcc
	v_ashrrev_i32_e32 v5, 31, v4
	v_cmp_lt_i64_e32 vcc, s[8:9], v[4:5]
	v_cndmask_b32_e64 v4, v14, 0, vcc
	v_cndmask_b32_e64 v5, v15, 0, vcc
	s_andn2_saveexec_b64 s[0:1], s[0:1]
	s_cbranch_execz .LBB33_43
.LBB33_49:                              ;   in Loop: Header=BB33_3 Depth=1
	v_mov_b32_e32 v13, 0
	v_mov_b32_e32 v12, v13
	;; [unrolled: 1-line block ×4, first 2 shown]
	s_or_b64 exec, exec, s[0:1]
	v_cmp_gt_i32_e32 vcc, s13, v3
	s_and_saveexec_b64 s[0:1], vcc
	s_cbranch_execz .LBB33_2
.LBB33_50:                              ;   in Loop: Header=BB33_3 Depth=1
	v_ashrrev_i32_e32 v7, 31, v6
	v_lshlrev_b64 v[6:7], 3, v[6:7]
	v_mov_b32_e32 v8, s5
	v_add_co_u32_e32 v6, vcc, s4, v6
	v_addc_co_u32_e32 v7, vcc, v8, v7, vcc
	v_add_u32_e32 v3, 1, v3
	v_cmp_gt_i32_e32 vcc, s13, v3
	global_store_dwordx2 v[6:7], v[12:13], off
	s_and_saveexec_b64 s[2:3], vcc
	s_xor_b64 s[2:3], exec, s[2:3]
	s_cbranch_execz .LBB33_2
; %bb.51:                               ;   in Loop: Header=BB33_3 Depth=1
	v_mov_b32_e32 v3, s31
	v_add_co_u32_e32 v6, vcc, s30, v6
	v_addc_co_u32_e32 v7, vcc, v7, v3, vcc
	global_store_dwordx2 v[6:7], v[4:5], off
	s_branch .LBB33_2
.LBB33_52:
	s_endpgm
	.section	.rodata,"a",@progbits
	.p2align	6, 0x0
	.amdhsa_kernel _ZN2at6native16triu_tril_kernelIN3c107complexIfEEiLb0ELi2ELb0EEEvNS_4cuda6detail10TensorInfoIT_T0_EENS7_IKS8_S9_EEllS9_
		.amdhsa_group_segment_fixed_size 0
		.amdhsa_private_segment_fixed_size 0
		.amdhsa_kernarg_size 712
		.amdhsa_user_sgpr_count 6
		.amdhsa_user_sgpr_private_segment_buffer 1
		.amdhsa_user_sgpr_dispatch_ptr 0
		.amdhsa_user_sgpr_queue_ptr 0
		.amdhsa_user_sgpr_kernarg_segment_ptr 1
		.amdhsa_user_sgpr_dispatch_id 0
		.amdhsa_user_sgpr_flat_scratch_init 0
		.amdhsa_user_sgpr_kernarg_preload_length 0
		.amdhsa_user_sgpr_kernarg_preload_offset 0
		.amdhsa_user_sgpr_private_segment_size 0
		.amdhsa_uses_dynamic_stack 0
		.amdhsa_system_sgpr_private_segment_wavefront_offset 0
		.amdhsa_system_sgpr_workgroup_id_x 1
		.amdhsa_system_sgpr_workgroup_id_y 0
		.amdhsa_system_sgpr_workgroup_id_z 0
		.amdhsa_system_sgpr_workgroup_info 0
		.amdhsa_system_vgpr_workitem_id 0
		.amdhsa_next_free_vgpr 26
		.amdhsa_next_free_sgpr 62
		.amdhsa_accum_offset 28
		.amdhsa_reserve_vcc 1
		.amdhsa_reserve_flat_scratch 0
		.amdhsa_float_round_mode_32 0
		.amdhsa_float_round_mode_16_64 0
		.amdhsa_float_denorm_mode_32 3
		.amdhsa_float_denorm_mode_16_64 3
		.amdhsa_dx10_clamp 1
		.amdhsa_ieee_mode 1
		.amdhsa_fp16_overflow 0
		.amdhsa_tg_split 0
		.amdhsa_exception_fp_ieee_invalid_op 0
		.amdhsa_exception_fp_denorm_src 0
		.amdhsa_exception_fp_ieee_div_zero 0
		.amdhsa_exception_fp_ieee_overflow 0
		.amdhsa_exception_fp_ieee_underflow 0
		.amdhsa_exception_fp_ieee_inexact 0
		.amdhsa_exception_int_div_zero 0
	.end_amdhsa_kernel
	.section	.text._ZN2at6native16triu_tril_kernelIN3c107complexIfEEiLb0ELi2ELb0EEEvNS_4cuda6detail10TensorInfoIT_T0_EENS7_IKS8_S9_EEllS9_,"axG",@progbits,_ZN2at6native16triu_tril_kernelIN3c107complexIfEEiLb0ELi2ELb0EEEvNS_4cuda6detail10TensorInfoIT_T0_EENS7_IKS8_S9_EEllS9_,comdat
.Lfunc_end33:
	.size	_ZN2at6native16triu_tril_kernelIN3c107complexIfEEiLb0ELi2ELb0EEEvNS_4cuda6detail10TensorInfoIT_T0_EENS7_IKS8_S9_EEllS9_, .Lfunc_end33-_ZN2at6native16triu_tril_kernelIN3c107complexIfEEiLb0ELi2ELb0EEEvNS_4cuda6detail10TensorInfoIT_T0_EENS7_IKS8_S9_EEllS9_
                                        ; -- End function
	.section	.AMDGPU.csdata,"",@progbits
; Kernel info:
; codeLenInByte = 7680
; NumSgprs: 66
; NumVgprs: 26
; NumAgprs: 0
; TotalNumVgprs: 26
; ScratchSize: 0
; MemoryBound: 0
; FloatMode: 240
; IeeeMode: 1
; LDSByteSize: 0 bytes/workgroup (compile time only)
; SGPRBlocks: 8
; VGPRBlocks: 3
; NumSGPRsForWavesPerEU: 66
; NumVGPRsForWavesPerEU: 26
; AccumOffset: 28
; Occupancy: 8
; WaveLimiterHint : 0
; COMPUTE_PGM_RSRC2:SCRATCH_EN: 0
; COMPUTE_PGM_RSRC2:USER_SGPR: 6
; COMPUTE_PGM_RSRC2:TRAP_HANDLER: 0
; COMPUTE_PGM_RSRC2:TGID_X_EN: 1
; COMPUTE_PGM_RSRC2:TGID_Y_EN: 0
; COMPUTE_PGM_RSRC2:TGID_Z_EN: 0
; COMPUTE_PGM_RSRC2:TIDIG_COMP_CNT: 0
; COMPUTE_PGM_RSRC3_GFX90A:ACCUM_OFFSET: 6
; COMPUTE_PGM_RSRC3_GFX90A:TG_SPLIT: 0
	.section	.text._ZN2at6native16triu_tril_kernelIN3c107complexIfEElLb0ELi2ELb1EEEvNS_4cuda6detail10TensorInfoIT_T0_EENS7_IKS8_S9_EEllS9_,"axG",@progbits,_ZN2at6native16triu_tril_kernelIN3c107complexIfEElLb0ELi2ELb1EEEvNS_4cuda6detail10TensorInfoIT_T0_EENS7_IKS8_S9_EEllS9_,comdat
	.protected	_ZN2at6native16triu_tril_kernelIN3c107complexIfEElLb0ELi2ELb1EEEvNS_4cuda6detail10TensorInfoIT_T0_EENS7_IKS8_S9_EEllS9_ ; -- Begin function _ZN2at6native16triu_tril_kernelIN3c107complexIfEElLb0ELi2ELb1EEEvNS_4cuda6detail10TensorInfoIT_T0_EENS7_IKS8_S9_EEllS9_
	.globl	_ZN2at6native16triu_tril_kernelIN3c107complexIfEElLb0ELi2ELb1EEEvNS_4cuda6detail10TensorInfoIT_T0_EENS7_IKS8_S9_EEllS9_
	.p2align	8
	.type	_ZN2at6native16triu_tril_kernelIN3c107complexIfEElLb0ELi2ELb1EEEvNS_4cuda6detail10TensorInfoIT_T0_EENS7_IKS8_S9_EEllS9_,@function
_ZN2at6native16triu_tril_kernelIN3c107complexIfEElLb0ELi2ELb1EEEvNS_4cuda6detail10TensorInfoIT_T0_EENS7_IKS8_S9_EEllS9_: ; @_ZN2at6native16triu_tril_kernelIN3c107complexIfEElLb0ELi2ELb1EEEvNS_4cuda6detail10TensorInfoIT_T0_EENS7_IKS8_S9_EEllS9_
; %bb.0:
	s_load_dword s2, s[4:5], 0x364
	s_load_dwordx4 s[8:11], s[4:5], 0x340
	s_add_u32 s0, s4, 0x358
	v_mov_b32_e32 v2, 0
	s_addc_u32 s1, s5, 0
	s_waitcnt lgkmcnt(0)
	s_and_b32 s12, s2, 0xffff
	v_mov_b32_e32 v1, v2
	v_mov_b32_e32 v3, s6
	v_mad_u64_u32 v[0:1], s[2:3], s12, v3, v[0:1]
	v_lshlrev_b64 v[0:1], 1, v[0:1]
	v_cmp_gt_i64_e32 vcc, s[10:11], v[0:1]
	s_and_saveexec_b64 s[2:3], vcc
	s_cbranch_execz .LBB34_23
; %bb.1:
	s_load_dword s13, s[0:1], 0x0
	s_load_dword s18, s[4:5], 0x338
	s_load_dwordx2 s[2:3], s[4:5], 0x350
	s_load_dwordx2 s[6:7], s[4:5], 0x0
	s_mov_b32 s48, 0
	s_waitcnt lgkmcnt(0)
	s_mul_i32 s20, s13, s12
	s_ashr_i32 s19, s18, 31
	s_add_u32 s24, s4, 0x1a8
	s_addc_u32 s25, s5, 0
	s_lshl_b64 s[0:1], s[18:19], 3
	s_add_u32 s16, s0, -16
	s_addc_u32 s17, s1, -1
	s_add_u32 s14, s24, s16
	s_addc_u32 s15, s25, s17
	v_cmp_gt_i64_e64 s[12:13], s[18:19], 2
	s_add_u32 s19, s0, -8
	s_addc_u32 s21, s1, -1
	s_add_u32 s26, s4, 0xd0
	s_addc_u32 s27, s5, 0
	s_add_u32 s4, s26, s19
	v_cvt_f32_u32_e32 v3, s2
	s_addc_u32 s5, s27, s21
	s_add_u32 s16, s26, s16
	s_addc_u32 s17, s27, s17
	s_add_i32 s0, s18, -3
	s_ashr_i32 s1, s0, 31
	v_rcp_iflag_f32_e32 v3, v3
	s_add_u32 s18, s24, s19
	s_addc_u32 s19, s25, s21
	s_lshl_b32 s33, s20, 1
	s_lshl_b64 s[22:23], s[0:1], 3
	s_add_u32 s20, s26, s22
	s_load_dwordx2 s[14:15], s[14:15], 0x0
	s_addc_u32 s21, s27, s23
	v_mul_f32_e32 v3, 0x4f7ffffe, v3
	s_add_u32 s22, s24, s22
	v_cvt_u32_f32_e32 v14, v3
	s_addc_u32 s23, s25, s23
	s_add_u32 s24, s0, 1
	s_addc_u32 s25, s1, 0
	s_mov_b64 s[26:27], 0
	s_branch .LBB34_3
.LBB34_2:                               ;   in Loop: Header=BB34_3 Depth=1
	s_or_b64 exec, exec, s[28:29]
	v_mov_b32_e32 v3, s48
	v_add_co_u32_e32 v0, vcc, s33, v0
	v_addc_co_u32_e32 v1, vcc, v1, v3, vcc
	v_cmp_le_i64_e32 vcc, s[10:11], v[0:1]
	s_or_b64 s[26:27], vcc, s[26:27]
	s_andn2_b64 exec, exec, s[26:27]
	s_cbranch_execz .LBB34_23
.LBB34_3:                               ; =>This Loop Header: Depth=1
                                        ;     Child Loop BB34_19 Depth 2
	v_or_b32_e32 v3, s3, v1
	v_cmp_ne_u64_e32 vcc, 0, v[2:3]
                                        ; implicit-def: $vgpr6_vgpr7
	s_and_saveexec_b64 s[0:1], vcc
	s_xor_b64 s[28:29], exec, s[0:1]
	s_cbranch_execz .LBB34_5
; %bb.4:                                ;   in Loop: Header=BB34_3 Depth=1
	s_ashr_i32 s30, s3, 31
	s_add_u32 s0, s2, s30
	s_mov_b32 s31, s30
	s_addc_u32 s1, s3, s30
	s_xor_b64 s[34:35], s[0:1], s[30:31]
	v_cvt_f32_u32_e32 v3, s34
	v_cvt_f32_u32_e32 v4, s35
	s_sub_u32 s0, 0, s34
	s_subb_u32 s1, 0, s35
	v_mac_f32_e32 v3, 0x4f800000, v4
	v_rcp_f32_e32 v3, v3
	v_mul_f32_e32 v3, 0x5f7ffffc, v3
	v_mul_f32_e32 v4, 0x2f800000, v3
	v_trunc_f32_e32 v4, v4
	v_mac_f32_e32 v3, 0xcf800000, v4
	v_cvt_u32_f32_e32 v4, v4
	v_cvt_u32_f32_e32 v3, v3
	v_mul_lo_u32 v5, s0, v4
	v_mul_hi_u32 v7, s0, v3
	v_mul_lo_u32 v6, s1, v3
	v_add_u32_e32 v5, v7, v5
	v_mul_lo_u32 v8, s0, v3
	v_add_u32_e32 v5, v5, v6
	v_mul_lo_u32 v7, v3, v5
	v_mul_hi_u32 v9, v3, v8
	v_mul_hi_u32 v6, v3, v5
	v_add_co_u32_e32 v7, vcc, v9, v7
	v_addc_co_u32_e32 v6, vcc, 0, v6, vcc
	v_mul_hi_u32 v10, v4, v8
	v_mul_lo_u32 v8, v4, v8
	v_add_co_u32_e32 v7, vcc, v7, v8
	v_mul_hi_u32 v9, v4, v5
	v_addc_co_u32_e32 v6, vcc, v6, v10, vcc
	v_addc_co_u32_e32 v7, vcc, 0, v9, vcc
	v_mul_lo_u32 v5, v4, v5
	v_add_co_u32_e32 v5, vcc, v6, v5
	v_addc_co_u32_e32 v6, vcc, 0, v7, vcc
	v_add_co_u32_e32 v3, vcc, v3, v5
	v_addc_co_u32_e32 v4, vcc, v4, v6, vcc
	v_mul_lo_u32 v5, s0, v4
	v_mul_hi_u32 v6, s0, v3
	v_add_u32_e32 v5, v6, v5
	v_mul_lo_u32 v6, s1, v3
	v_add_u32_e32 v5, v5, v6
	v_mul_lo_u32 v7, s0, v3
	v_mul_hi_u32 v8, v4, v7
	v_mul_lo_u32 v9, v4, v7
	v_mul_lo_u32 v11, v3, v5
	v_mul_hi_u32 v7, v3, v7
	v_mul_hi_u32 v10, v3, v5
	v_add_co_u32_e32 v7, vcc, v7, v11
	v_addc_co_u32_e32 v10, vcc, 0, v10, vcc
	v_add_co_u32_e32 v7, vcc, v7, v9
	v_mul_hi_u32 v6, v4, v5
	v_addc_co_u32_e32 v7, vcc, v10, v8, vcc
	v_addc_co_u32_e32 v6, vcc, 0, v6, vcc
	v_mul_lo_u32 v5, v4, v5
	v_add_co_u32_e32 v5, vcc, v7, v5
	v_addc_co_u32_e32 v6, vcc, 0, v6, vcc
	v_add_co_u32_e32 v3, vcc, v3, v5
	v_addc_co_u32_e32 v6, vcc, v4, v6, vcc
	v_ashrrev_i32_e32 v8, 31, v1
	v_add_co_u32_e32 v4, vcc, v0, v8
	v_addc_co_u32_e32 v5, vcc, v1, v8, vcc
	v_xor_b32_e32 v10, v4, v8
	v_xor_b32_e32 v9, v5, v8
	v_mad_u64_u32 v[4:5], s[0:1], v10, v6, 0
	v_mul_hi_u32 v7, v10, v3
	v_add_co_u32_e32 v11, vcc, v7, v4
	v_addc_co_u32_e32 v12, vcc, 0, v5, vcc
	v_mad_u64_u32 v[4:5], s[0:1], v9, v6, 0
	v_mad_u64_u32 v[6:7], s[0:1], v9, v3, 0
	v_add_co_u32_e32 v3, vcc, v11, v6
	v_addc_co_u32_e32 v3, vcc, v12, v7, vcc
	v_addc_co_u32_e32 v5, vcc, 0, v5, vcc
	v_add_co_u32_e32 v3, vcc, v3, v4
	v_addc_co_u32_e32 v6, vcc, 0, v5, vcc
	v_mul_lo_u32 v7, s35, v3
	v_mul_lo_u32 v11, s34, v6
	v_mad_u64_u32 v[4:5], s[0:1], s34, v3, 0
	v_add3_u32 v5, v5, v11, v7
	v_sub_u32_e32 v7, v9, v5
	v_mov_b32_e32 v11, s35
	v_sub_co_u32_e32 v4, vcc, v10, v4
	v_subb_co_u32_e64 v7, s[0:1], v7, v11, vcc
	v_subrev_co_u32_e64 v10, s[0:1], s34, v4
	v_subbrev_co_u32_e64 v7, s[0:1], 0, v7, s[0:1]
	v_cmp_le_u32_e64 s[0:1], s35, v7
	v_cndmask_b32_e64 v11, 0, -1, s[0:1]
	v_cmp_le_u32_e64 s[0:1], s34, v10
	v_cndmask_b32_e64 v10, 0, -1, s[0:1]
	v_cmp_eq_u32_e64 s[0:1], s35, v7
	v_cndmask_b32_e64 v7, v11, v10, s[0:1]
	v_add_co_u32_e64 v10, s[0:1], 2, v3
	v_subb_co_u32_e32 v5, vcc, v9, v5, vcc
	v_addc_co_u32_e64 v11, s[0:1], 0, v6, s[0:1]
	v_cmp_le_u32_e32 vcc, s35, v5
	v_add_co_u32_e64 v12, s[0:1], 1, v3
	v_cndmask_b32_e64 v9, 0, -1, vcc
	v_cmp_le_u32_e32 vcc, s34, v4
	v_addc_co_u32_e64 v13, s[0:1], 0, v6, s[0:1]
	v_cndmask_b32_e64 v4, 0, -1, vcc
	v_cmp_eq_u32_e32 vcc, s35, v5
	v_cmp_ne_u32_e64 s[0:1], 0, v7
	v_cndmask_b32_e32 v4, v9, v4, vcc
	v_cmp_ne_u32_e32 vcc, 0, v4
	v_cndmask_b32_e64 v5, v12, v10, s[0:1]
	v_cndmask_b32_e64 v7, v13, v11, s[0:1]
	v_cndmask_b32_e32 v3, v3, v5, vcc
	v_xor_b32_e32 v5, s30, v8
	v_cndmask_b32_e32 v4, v6, v7, vcc
	v_xor_b32_e32 v3, v3, v5
	v_xor_b32_e32 v4, v4, v5
	v_sub_co_u32_e32 v6, vcc, v3, v5
	v_subb_co_u32_e32 v7, vcc, v4, v5, vcc
.LBB34_5:                               ;   in Loop: Header=BB34_3 Depth=1
	s_andn2_saveexec_b64 s[0:1], s[28:29]
	s_cbranch_execz .LBB34_7
; %bb.6:                                ;   in Loop: Header=BB34_3 Depth=1
	s_sub_i32 s28, 0, s2
	v_mul_lo_u32 v3, s28, v14
	v_mul_hi_u32 v3, v14, v3
	v_add_u32_e32 v3, v14, v3
	v_mul_hi_u32 v3, v0, v3
	v_mul_lo_u32 v4, v3, s2
	v_sub_u32_e32 v4, v0, v4
	v_subrev_u32_e32 v5, s2, v4
	v_cmp_le_u32_e32 vcc, s2, v4
	v_cndmask_b32_e32 v4, v4, v5, vcc
	v_add_u32_e32 v5, 1, v3
	v_cndmask_b32_e32 v3, v3, v5, vcc
	v_add_u32_e32 v5, 1, v3
	v_cmp_le_u32_e32 vcc, s2, v4
	v_cndmask_b32_e32 v6, v3, v5, vcc
	v_mov_b32_e32 v7, v2
.LBB34_7:                               ;   in Loop: Header=BB34_3 Depth=1
	s_or_b64 exec, exec, s[0:1]
	s_waitcnt lgkmcnt(0)
	v_or_b32_e32 v3, s15, v7
	v_cmp_ne_u64_e32 vcc, 0, v[2:3]
                                        ; implicit-def: $vgpr8_vgpr9
	s_and_saveexec_b64 s[0:1], vcc
	s_xor_b64 s[28:29], exec, s[0:1]
	s_cbranch_execz .LBB34_9
; %bb.8:                                ;   in Loop: Header=BB34_3 Depth=1
	s_ashr_i32 s30, s15, 31
	s_add_u32 s0, s14, s30
	s_mov_b32 s31, s30
	s_addc_u32 s1, s15, s30
	s_xor_b64 s[34:35], s[0:1], s[30:31]
	v_cvt_f32_u32_e32 v3, s34
	v_cvt_f32_u32_e32 v4, s35
	s_sub_u32 s0, 0, s34
	s_subb_u32 s1, 0, s35
	v_mac_f32_e32 v3, 0x4f800000, v4
	v_rcp_f32_e32 v3, v3
	v_mul_f32_e32 v3, 0x5f7ffffc, v3
	v_mul_f32_e32 v4, 0x2f800000, v3
	v_trunc_f32_e32 v4, v4
	v_mac_f32_e32 v3, 0xcf800000, v4
	v_cvt_u32_f32_e32 v4, v4
	v_cvt_u32_f32_e32 v3, v3
	v_mul_lo_u32 v5, s0, v4
	v_mul_hi_u32 v9, s0, v3
	v_mul_lo_u32 v8, s1, v3
	v_add_u32_e32 v5, v9, v5
	v_mul_lo_u32 v10, s0, v3
	v_add_u32_e32 v5, v5, v8
	v_mul_lo_u32 v9, v3, v5
	v_mul_hi_u32 v11, v3, v10
	v_mul_hi_u32 v8, v3, v5
	v_add_co_u32_e32 v9, vcc, v11, v9
	v_addc_co_u32_e32 v8, vcc, 0, v8, vcc
	v_mul_hi_u32 v12, v4, v10
	v_mul_lo_u32 v10, v4, v10
	v_add_co_u32_e32 v9, vcc, v9, v10
	v_mul_hi_u32 v11, v4, v5
	v_addc_co_u32_e32 v8, vcc, v8, v12, vcc
	v_addc_co_u32_e32 v9, vcc, 0, v11, vcc
	v_mul_lo_u32 v5, v4, v5
	v_add_co_u32_e32 v5, vcc, v8, v5
	v_addc_co_u32_e32 v8, vcc, 0, v9, vcc
	v_add_co_u32_e32 v3, vcc, v3, v5
	v_addc_co_u32_e32 v4, vcc, v4, v8, vcc
	v_mul_lo_u32 v5, s0, v4
	v_mul_hi_u32 v8, s0, v3
	v_add_u32_e32 v5, v8, v5
	v_mul_lo_u32 v8, s1, v3
	v_add_u32_e32 v5, v5, v8
	v_mul_lo_u32 v9, s0, v3
	v_mul_hi_u32 v10, v4, v9
	v_mul_lo_u32 v11, v4, v9
	v_mul_lo_u32 v13, v3, v5
	v_mul_hi_u32 v9, v3, v9
	v_mul_hi_u32 v12, v3, v5
	v_add_co_u32_e32 v9, vcc, v9, v13
	v_addc_co_u32_e32 v12, vcc, 0, v12, vcc
	v_add_co_u32_e32 v9, vcc, v9, v11
	v_mul_hi_u32 v8, v4, v5
	v_addc_co_u32_e32 v9, vcc, v12, v10, vcc
	v_addc_co_u32_e32 v8, vcc, 0, v8, vcc
	v_mul_lo_u32 v5, v4, v5
	v_add_co_u32_e32 v5, vcc, v9, v5
	v_addc_co_u32_e32 v8, vcc, 0, v8, vcc
	v_add_co_u32_e32 v3, vcc, v3, v5
	v_addc_co_u32_e32 v8, vcc, v4, v8, vcc
	v_ashrrev_i32_e32 v10, 31, v7
	v_add_co_u32_e32 v4, vcc, v6, v10
	v_addc_co_u32_e32 v5, vcc, v7, v10, vcc
	v_xor_b32_e32 v12, v4, v10
	v_xor_b32_e32 v11, v5, v10
	v_mad_u64_u32 v[4:5], s[0:1], v12, v8, 0
	v_mul_hi_u32 v9, v12, v3
	v_add_co_u32_e32 v13, vcc, v9, v4
	v_addc_co_u32_e32 v15, vcc, 0, v5, vcc
	v_mad_u64_u32 v[4:5], s[0:1], v11, v8, 0
	v_mad_u64_u32 v[8:9], s[0:1], v11, v3, 0
	v_add_co_u32_e32 v3, vcc, v13, v8
	v_addc_co_u32_e32 v3, vcc, v15, v9, vcc
	v_addc_co_u32_e32 v5, vcc, 0, v5, vcc
	v_add_co_u32_e32 v3, vcc, v3, v4
	v_addc_co_u32_e32 v8, vcc, 0, v5, vcc
	v_mul_lo_u32 v9, s35, v3
	v_mul_lo_u32 v13, s34, v8
	v_mad_u64_u32 v[4:5], s[0:1], s34, v3, 0
	v_add3_u32 v5, v5, v13, v9
	v_sub_u32_e32 v9, v11, v5
	v_mov_b32_e32 v13, s35
	v_sub_co_u32_e32 v4, vcc, v12, v4
	v_subb_co_u32_e64 v9, s[0:1], v9, v13, vcc
	v_subrev_co_u32_e64 v12, s[0:1], s34, v4
	v_subbrev_co_u32_e64 v9, s[0:1], 0, v9, s[0:1]
	v_cmp_le_u32_e64 s[0:1], s35, v9
	v_cndmask_b32_e64 v13, 0, -1, s[0:1]
	v_cmp_le_u32_e64 s[0:1], s34, v12
	v_cndmask_b32_e64 v12, 0, -1, s[0:1]
	v_cmp_eq_u32_e64 s[0:1], s35, v9
	v_cndmask_b32_e64 v9, v13, v12, s[0:1]
	v_add_co_u32_e64 v12, s[0:1], 2, v3
	v_subb_co_u32_e32 v5, vcc, v11, v5, vcc
	v_addc_co_u32_e64 v13, s[0:1], 0, v8, s[0:1]
	v_cmp_le_u32_e32 vcc, s35, v5
	v_add_co_u32_e64 v15, s[0:1], 1, v3
	v_cndmask_b32_e64 v11, 0, -1, vcc
	v_cmp_le_u32_e32 vcc, s34, v4
	v_addc_co_u32_e64 v16, s[0:1], 0, v8, s[0:1]
	v_cndmask_b32_e64 v4, 0, -1, vcc
	v_cmp_eq_u32_e32 vcc, s35, v5
	v_cmp_ne_u32_e64 s[0:1], 0, v9
	v_cndmask_b32_e32 v4, v11, v4, vcc
	v_cmp_ne_u32_e32 vcc, 0, v4
	v_cndmask_b32_e64 v5, v15, v12, s[0:1]
	v_cndmask_b32_e64 v9, v16, v13, s[0:1]
	v_cndmask_b32_e32 v3, v3, v5, vcc
	v_xor_b32_e32 v5, s30, v10
	v_cndmask_b32_e32 v4, v8, v9, vcc
	v_xor_b32_e32 v3, v3, v5
	v_xor_b32_e32 v4, v4, v5
	v_sub_co_u32_e32 v8, vcc, v3, v5
	v_subb_co_u32_e32 v9, vcc, v4, v5, vcc
.LBB34_9:                               ;   in Loop: Header=BB34_3 Depth=1
	s_andn2_saveexec_b64 s[0:1], s[28:29]
	s_cbranch_execz .LBB34_11
; %bb.10:                               ;   in Loop: Header=BB34_3 Depth=1
	v_cvt_f32_u32_e32 v3, s14
	s_sub_i32 s28, 0, s14
	v_mov_b32_e32 v9, v2
	v_rcp_iflag_f32_e32 v3, v3
	v_mul_f32_e32 v3, 0x4f7ffffe, v3
	v_cvt_u32_f32_e32 v3, v3
	v_mul_lo_u32 v4, s28, v3
	v_mul_hi_u32 v4, v3, v4
	v_add_u32_e32 v3, v3, v4
	v_mul_hi_u32 v3, v6, v3
	v_mul_lo_u32 v4, v3, s14
	v_sub_u32_e32 v4, v6, v4
	v_add_u32_e32 v5, 1, v3
	v_subrev_u32_e32 v8, s14, v4
	v_cmp_le_u32_e32 vcc, s14, v4
	v_cndmask_b32_e32 v4, v4, v8, vcc
	v_cndmask_b32_e32 v3, v3, v5, vcc
	v_add_u32_e32 v5, 1, v3
	v_cmp_le_u32_e32 vcc, s14, v4
	v_cndmask_b32_e32 v8, v3, v5, vcc
.LBB34_11:                              ;   in Loop: Header=BB34_3 Depth=1
	s_or_b64 exec, exec, s[0:1]
	v_mul_lo_u32 v3, v7, s2
	v_mul_lo_u32 v10, v6, s3
	v_mad_u64_u32 v[4:5], s[0:1], v6, s2, 0
	v_add3_u32 v3, v5, v10, v3
	v_sub_co_u32_e32 v4, vcc, v0, v4
	v_subb_co_u32_e32 v5, vcc, v1, v3, vcc
	v_mul_lo_u32 v3, v9, s14
	v_mul_lo_u32 v12, v8, s15
	v_mad_u64_u32 v[10:11], s[0:1], v8, s14, 0
	v_add3_u32 v3, v11, v12, v3
	v_sub_co_u32_e32 v15, vcc, v6, v10
	v_subb_co_u32_e32 v16, vcc, v7, v3, vcc
	v_sub_co_u32_e32 v6, vcc, v4, v15
	v_subb_co_u32_e32 v7, vcc, v5, v16, vcc
	v_add_co_u32_e32 v10, vcc, 2, v6
	v_addc_co_u32_e32 v11, vcc, 0, v7, vcc
	v_cmp_lt_i64_e32 vcc, s[8:9], v[10:11]
	s_and_saveexec_b64 s[28:29], vcc
	s_cbranch_execz .LBB34_2
; %bb.12:                               ;   in Loop: Header=BB34_3 Depth=1
	s_load_dwordx2 s[30:31], s[4:5], 0x0
	s_load_dwordx2 s[0:1], s[16:17], 0x0
	s_and_b64 vcc, exec, s[12:13]
	s_mov_b64 s[36:37], s[22:23]
	s_mov_b64 s[38:39], s[20:21]
	s_waitcnt lgkmcnt(0)
	v_mul_lo_u32 v3, s31, v4
	v_mul_lo_u32 v12, s30, v5
	v_mad_u64_u32 v[10:11], s[34:35], s30, v4, 0
	v_add3_u32 v11, v11, v12, v3
	v_mad_u64_u32 v[10:11], s[34:35], s0, v15, v[10:11]
	v_mul_lo_u32 v3, s0, v16
	v_mul_lo_u32 v12, s1, v15
	v_add3_u32 v11, v12, v11, v3
	s_mov_b64 s[34:35], s[24:25]
	s_cbranch_vccnz .LBB34_19
.LBB34_13:                              ;   in Loop: Header=BB34_3 Depth=1
	s_load_dwordx2 s[0:1], s[18:19], 0x0
	s_waitcnt lgkmcnt(0)
	v_cmp_gt_i64_e32 vcc, s[0:1], v[4:5]
	s_and_b64 exec, exec, vcc
	s_cbranch_execz .LBB34_2
; %bb.14:                               ;   in Loop: Header=BB34_3 Depth=1
	v_lshlrev_b64 v[8:9], 3, v[10:11]
	v_mov_b32_e32 v3, s7
	v_add_co_u32_e32 v8, vcc, s6, v8
	v_addc_co_u32_e32 v9, vcc, v3, v9, vcc
	v_cmp_lt_i64_e32 vcc, s[8:9], v[6:7]
	s_and_saveexec_b64 s[34:35], vcc
	s_cbranch_execz .LBB34_16
; %bb.15:                               ;   in Loop: Header=BB34_3 Depth=1
	v_mov_b32_e32 v3, v2
	global_store_dwordx2 v[8:9], v[2:3], off
.LBB34_16:                              ;   in Loop: Header=BB34_3 Depth=1
	s_or_b64 exec, exec, s[34:35]
	v_add_co_u32_e32 v4, vcc, 1, v4
	v_addc_co_u32_e32 v5, vcc, 0, v5, vcc
	v_cmp_gt_i64_e32 vcc, s[0:1], v[4:5]
	v_sub_co_u32_e64 v4, s[0:1], v4, v15
	v_subb_co_u32_e64 v5, s[0:1], v5, v16, s[0:1]
	v_cmp_lt_i64_e64 s[0:1], s[8:9], v[4:5]
	s_and_b64 s[0:1], vcc, s[0:1]
	s_and_b64 exec, exec, s[0:1]
	s_cbranch_execz .LBB34_2
; %bb.17:                               ;   in Loop: Header=BB34_3 Depth=1
	s_lshl_b64 s[0:1], s[30:31], 3
	v_mov_b32_e32 v3, s1
	v_add_co_u32_e32 v4, vcc, s0, v8
	v_addc_co_u32_e32 v5, vcc, v9, v3, vcc
	v_mov_b32_e32 v3, v2
	global_store_dwordx2 v[4:5], v[2:3], off
	s_branch .LBB34_2
.LBB34_18:                              ;   in Loop: Header=BB34_19 Depth=2
	s_or_b64 exec, exec, s[0:1]
	v_mad_u64_u32 v[18:19], s[0:1], v12, s40, 0
	s_load_dwordx2 s[0:1], s[38:39], 0x0
	s_add_u32 s38, s38, -8
	s_addc_u32 s39, s39, -1
	v_mul_lo_u32 v3, v13, s40
	v_mul_lo_u32 v17, v12, s41
	s_add_u32 s36, s36, -8
	v_add3_u32 v3, v19, v17, v3
	v_sub_co_u32_e32 v8, vcc, v8, v18
	s_addc_u32 s37, s37, -1
	v_subb_co_u32_e32 v3, vcc, v9, v3, vcc
	s_add_u32 s34, s34, -1
	s_waitcnt lgkmcnt(0)
	v_mul_lo_u32 v3, s0, v3
	v_mul_lo_u32 v9, s1, v8
	v_mad_u64_u32 v[10:11], s[0:1], s0, v8, v[10:11]
	s_addc_u32 s35, s35, -1
	v_cmp_lt_i64_e64 s[0:1], s[34:35], 1
	v_add3_u32 v11, v9, v11, v3
	s_and_b64 vcc, exec, s[0:1]
	v_pk_mov_b32 v[8:9], v[12:13], v[12:13] op_sel:[0,1]
	s_cbranch_vccnz .LBB34_13
.LBB34_19:                              ;   Parent Loop BB34_3 Depth=1
                                        ; =>  This Inner Loop Header: Depth=2
	s_load_dwordx2 s[40:41], s[36:37], 0x0
                                        ; implicit-def: $vgpr12_vgpr13
	s_waitcnt lgkmcnt(0)
	v_or_b32_e32 v3, s41, v9
	v_cmp_ne_u64_e32 vcc, 0, v[2:3]
	s_and_saveexec_b64 s[0:1], vcc
	s_xor_b64 s[42:43], exec, s[0:1]
	s_cbranch_execz .LBB34_21
; %bb.20:                               ;   in Loop: Header=BB34_19 Depth=2
	s_ashr_i32 s44, s41, 31
	s_add_u32 s0, s40, s44
	s_mov_b32 s45, s44
	s_addc_u32 s1, s41, s44
	s_xor_b64 s[46:47], s[0:1], s[44:45]
	v_cvt_f32_u32_e32 v3, s46
	v_cvt_f32_u32_e32 v12, s47
	s_sub_u32 s0, 0, s46
	s_subb_u32 s1, 0, s47
	v_mac_f32_e32 v3, 0x4f800000, v12
	v_rcp_f32_e32 v3, v3
	v_mul_f32_e32 v3, 0x5f7ffffc, v3
	v_mul_f32_e32 v12, 0x2f800000, v3
	v_trunc_f32_e32 v12, v12
	v_mac_f32_e32 v3, 0xcf800000, v12
	v_cvt_u32_f32_e32 v12, v12
	v_cvt_u32_f32_e32 v3, v3
	v_mul_lo_u32 v13, s0, v12
	v_mul_hi_u32 v18, s0, v3
	v_mul_lo_u32 v17, s1, v3
	v_add_u32_e32 v13, v18, v13
	v_mul_lo_u32 v19, s0, v3
	v_add_u32_e32 v13, v13, v17
	v_mul_lo_u32 v18, v3, v13
	v_mul_hi_u32 v20, v3, v19
	v_mul_hi_u32 v17, v3, v13
	v_add_co_u32_e32 v18, vcc, v20, v18
	v_addc_co_u32_e32 v17, vcc, 0, v17, vcc
	v_mul_hi_u32 v21, v12, v19
	v_mul_lo_u32 v19, v12, v19
	v_add_co_u32_e32 v18, vcc, v18, v19
	v_mul_hi_u32 v20, v12, v13
	v_addc_co_u32_e32 v17, vcc, v17, v21, vcc
	v_addc_co_u32_e32 v18, vcc, 0, v20, vcc
	v_mul_lo_u32 v13, v12, v13
	v_add_co_u32_e32 v13, vcc, v17, v13
	v_addc_co_u32_e32 v17, vcc, 0, v18, vcc
	v_add_co_u32_e32 v3, vcc, v3, v13
	v_addc_co_u32_e32 v12, vcc, v12, v17, vcc
	v_mul_lo_u32 v13, s0, v12
	v_mul_hi_u32 v17, s0, v3
	v_add_u32_e32 v13, v17, v13
	v_mul_lo_u32 v17, s1, v3
	v_add_u32_e32 v13, v13, v17
	v_mul_lo_u32 v18, s0, v3
	v_mul_hi_u32 v19, v12, v18
	v_mul_lo_u32 v20, v12, v18
	v_mul_lo_u32 v22, v3, v13
	v_mul_hi_u32 v18, v3, v18
	v_mul_hi_u32 v21, v3, v13
	v_add_co_u32_e32 v18, vcc, v18, v22
	v_addc_co_u32_e32 v21, vcc, 0, v21, vcc
	v_add_co_u32_e32 v18, vcc, v18, v20
	v_mul_hi_u32 v17, v12, v13
	v_addc_co_u32_e32 v18, vcc, v21, v19, vcc
	v_addc_co_u32_e32 v17, vcc, 0, v17, vcc
	v_mul_lo_u32 v13, v12, v13
	v_add_co_u32_e32 v13, vcc, v18, v13
	v_addc_co_u32_e32 v17, vcc, 0, v17, vcc
	v_add_co_u32_e32 v3, vcc, v3, v13
	v_addc_co_u32_e32 v17, vcc, v12, v17, vcc
	v_ashrrev_i32_e32 v20, 31, v9
	v_add_co_u32_e32 v12, vcc, v8, v20
	v_addc_co_u32_e32 v13, vcc, v9, v20, vcc
	v_xor_b32_e32 v22, v12, v20
	v_xor_b32_e32 v21, v13, v20
	v_mad_u64_u32 v[12:13], s[0:1], v22, v17, 0
	v_mul_hi_u32 v18, v22, v3
	v_add_co_u32_e32 v23, vcc, v18, v12
	v_addc_co_u32_e32 v24, vcc, 0, v13, vcc
	v_mad_u64_u32 v[18:19], s[0:1], v21, v3, 0
	v_add_co_u32_e32 v3, vcc, v23, v18
	v_mad_u64_u32 v[12:13], s[0:1], v21, v17, 0
	v_addc_co_u32_e32 v3, vcc, v24, v19, vcc
	v_addc_co_u32_e32 v13, vcc, 0, v13, vcc
	v_add_co_u32_e32 v3, vcc, v3, v12
	v_addc_co_u32_e32 v17, vcc, 0, v13, vcc
	v_mul_lo_u32 v18, s47, v3
	v_mul_lo_u32 v19, s46, v17
	v_mad_u64_u32 v[12:13], s[0:1], s46, v3, 0
	v_add3_u32 v13, v13, v19, v18
	v_sub_u32_e32 v18, v21, v13
	v_mov_b32_e32 v19, s47
	v_sub_co_u32_e32 v12, vcc, v22, v12
	v_subb_co_u32_e64 v18, s[0:1], v18, v19, vcc
	v_subrev_co_u32_e64 v19, s[0:1], s46, v12
	v_subbrev_co_u32_e64 v18, s[0:1], 0, v18, s[0:1]
	v_cmp_le_u32_e64 s[0:1], s47, v18
	v_cndmask_b32_e64 v22, 0, -1, s[0:1]
	v_cmp_le_u32_e64 s[0:1], s46, v19
	v_cndmask_b32_e64 v19, 0, -1, s[0:1]
	v_cmp_eq_u32_e64 s[0:1], s47, v18
	v_cndmask_b32_e64 v18, v22, v19, s[0:1]
	v_add_co_u32_e64 v19, s[0:1], 2, v3
	v_subb_co_u32_e32 v13, vcc, v21, v13, vcc
	v_addc_co_u32_e64 v22, s[0:1], 0, v17, s[0:1]
	v_cmp_le_u32_e32 vcc, s47, v13
	v_add_co_u32_e64 v23, s[0:1], 1, v3
	v_cndmask_b32_e64 v21, 0, -1, vcc
	v_cmp_le_u32_e32 vcc, s46, v12
	v_addc_co_u32_e64 v24, s[0:1], 0, v17, s[0:1]
	v_cndmask_b32_e64 v12, 0, -1, vcc
	v_cmp_eq_u32_e32 vcc, s47, v13
	v_cmp_ne_u32_e64 s[0:1], 0, v18
	v_cndmask_b32_e32 v12, v21, v12, vcc
	v_cmp_ne_u32_e32 vcc, 0, v12
	v_cndmask_b32_e64 v13, v23, v19, s[0:1]
	v_cndmask_b32_e64 v18, v24, v22, s[0:1]
	v_cndmask_b32_e32 v3, v3, v13, vcc
	v_xor_b32_e32 v13, s44, v20
	v_cndmask_b32_e32 v12, v17, v18, vcc
	v_xor_b32_e32 v3, v3, v13
	v_xor_b32_e32 v17, v12, v13
	v_sub_co_u32_e32 v12, vcc, v3, v13
	v_subb_co_u32_e32 v13, vcc, v17, v13, vcc
.LBB34_21:                              ;   in Loop: Header=BB34_19 Depth=2
	s_andn2_saveexec_b64 s[0:1], s[42:43]
	s_cbranch_execz .LBB34_18
; %bb.22:                               ;   in Loop: Header=BB34_19 Depth=2
	v_cvt_f32_u32_e32 v3, s40
	s_sub_i32 s42, 0, s40
	v_rcp_iflag_f32_e32 v3, v3
	v_mul_f32_e32 v3, 0x4f7ffffe, v3
	v_cvt_u32_f32_e32 v3, v3
	v_mul_lo_u32 v12, s42, v3
	v_mul_hi_u32 v12, v3, v12
	v_add_u32_e32 v3, v3, v12
	v_mul_hi_u32 v3, v8, v3
	v_mul_lo_u32 v12, v3, s40
	v_sub_u32_e32 v12, v8, v12
	v_add_u32_e32 v13, 1, v3
	v_subrev_u32_e32 v17, s40, v12
	v_cmp_le_u32_e32 vcc, s40, v12
	v_cndmask_b32_e32 v12, v12, v17, vcc
	v_cndmask_b32_e32 v3, v3, v13, vcc
	v_add_u32_e32 v13, 1, v3
	v_cmp_le_u32_e32 vcc, s40, v12
	v_cndmask_b32_e32 v12, v3, v13, vcc
	v_mov_b32_e32 v13, v2
	s_branch .LBB34_18
.LBB34_23:
	s_endpgm
	.section	.rodata,"a",@progbits
	.p2align	6, 0x0
	.amdhsa_kernel _ZN2at6native16triu_tril_kernelIN3c107complexIfEElLb0ELi2ELb1EEEvNS_4cuda6detail10TensorInfoIT_T0_EENS7_IKS8_S9_EEllS9_
		.amdhsa_group_segment_fixed_size 0
		.amdhsa_private_segment_fixed_size 0
		.amdhsa_kernarg_size 1112
		.amdhsa_user_sgpr_count 6
		.amdhsa_user_sgpr_private_segment_buffer 1
		.amdhsa_user_sgpr_dispatch_ptr 0
		.amdhsa_user_sgpr_queue_ptr 0
		.amdhsa_user_sgpr_kernarg_segment_ptr 1
		.amdhsa_user_sgpr_dispatch_id 0
		.amdhsa_user_sgpr_flat_scratch_init 0
		.amdhsa_user_sgpr_kernarg_preload_length 0
		.amdhsa_user_sgpr_kernarg_preload_offset 0
		.amdhsa_user_sgpr_private_segment_size 0
		.amdhsa_uses_dynamic_stack 0
		.amdhsa_system_sgpr_private_segment_wavefront_offset 0
		.amdhsa_system_sgpr_workgroup_id_x 1
		.amdhsa_system_sgpr_workgroup_id_y 0
		.amdhsa_system_sgpr_workgroup_id_z 0
		.amdhsa_system_sgpr_workgroup_info 0
		.amdhsa_system_vgpr_workitem_id 0
		.amdhsa_next_free_vgpr 25
		.amdhsa_next_free_sgpr 49
		.amdhsa_accum_offset 28
		.amdhsa_reserve_vcc 1
		.amdhsa_reserve_flat_scratch 0
		.amdhsa_float_round_mode_32 0
		.amdhsa_float_round_mode_16_64 0
		.amdhsa_float_denorm_mode_32 3
		.amdhsa_float_denorm_mode_16_64 3
		.amdhsa_dx10_clamp 1
		.amdhsa_ieee_mode 1
		.amdhsa_fp16_overflow 0
		.amdhsa_tg_split 0
		.amdhsa_exception_fp_ieee_invalid_op 0
		.amdhsa_exception_fp_denorm_src 0
		.amdhsa_exception_fp_ieee_div_zero 0
		.amdhsa_exception_fp_ieee_overflow 0
		.amdhsa_exception_fp_ieee_underflow 0
		.amdhsa_exception_fp_ieee_inexact 0
		.amdhsa_exception_int_div_zero 0
	.end_amdhsa_kernel
	.section	.text._ZN2at6native16triu_tril_kernelIN3c107complexIfEElLb0ELi2ELb1EEEvNS_4cuda6detail10TensorInfoIT_T0_EENS7_IKS8_S9_EEllS9_,"axG",@progbits,_ZN2at6native16triu_tril_kernelIN3c107complexIfEElLb0ELi2ELb1EEEvNS_4cuda6detail10TensorInfoIT_T0_EENS7_IKS8_S9_EEllS9_,comdat
.Lfunc_end34:
	.size	_ZN2at6native16triu_tril_kernelIN3c107complexIfEElLb0ELi2ELb1EEEvNS_4cuda6detail10TensorInfoIT_T0_EENS7_IKS8_S9_EEllS9_, .Lfunc_end34-_ZN2at6native16triu_tril_kernelIN3c107complexIfEElLb0ELi2ELb1EEEvNS_4cuda6detail10TensorInfoIT_T0_EENS7_IKS8_S9_EEllS9_
                                        ; -- End function
	.section	.AMDGPU.csdata,"",@progbits
; Kernel info:
; codeLenInByte = 3220
; NumSgprs: 53
; NumVgprs: 25
; NumAgprs: 0
; TotalNumVgprs: 25
; ScratchSize: 0
; MemoryBound: 0
; FloatMode: 240
; IeeeMode: 1
; LDSByteSize: 0 bytes/workgroup (compile time only)
; SGPRBlocks: 6
; VGPRBlocks: 3
; NumSGPRsForWavesPerEU: 53
; NumVGPRsForWavesPerEU: 25
; AccumOffset: 28
; Occupancy: 8
; WaveLimiterHint : 0
; COMPUTE_PGM_RSRC2:SCRATCH_EN: 0
; COMPUTE_PGM_RSRC2:USER_SGPR: 6
; COMPUTE_PGM_RSRC2:TRAP_HANDLER: 0
; COMPUTE_PGM_RSRC2:TGID_X_EN: 1
; COMPUTE_PGM_RSRC2:TGID_Y_EN: 0
; COMPUTE_PGM_RSRC2:TGID_Z_EN: 0
; COMPUTE_PGM_RSRC2:TIDIG_COMP_CNT: 0
; COMPUTE_PGM_RSRC3_GFX90A:ACCUM_OFFSET: 6
; COMPUTE_PGM_RSRC3_GFX90A:TG_SPLIT: 0
	.section	.text._ZN2at6native16triu_tril_kernelIN3c107complexIfEElLb0ELi2ELb0EEEvNS_4cuda6detail10TensorInfoIT_T0_EENS7_IKS8_S9_EEllS9_,"axG",@progbits,_ZN2at6native16triu_tril_kernelIN3c107complexIfEElLb0ELi2ELb0EEEvNS_4cuda6detail10TensorInfoIT_T0_EENS7_IKS8_S9_EEllS9_,comdat
	.protected	_ZN2at6native16triu_tril_kernelIN3c107complexIfEElLb0ELi2ELb0EEEvNS_4cuda6detail10TensorInfoIT_T0_EENS7_IKS8_S9_EEllS9_ ; -- Begin function _ZN2at6native16triu_tril_kernelIN3c107complexIfEElLb0ELi2ELb0EEEvNS_4cuda6detail10TensorInfoIT_T0_EENS7_IKS8_S9_EEllS9_
	.globl	_ZN2at6native16triu_tril_kernelIN3c107complexIfEElLb0ELi2ELb0EEEvNS_4cuda6detail10TensorInfoIT_T0_EENS7_IKS8_S9_EEllS9_
	.p2align	8
	.type	_ZN2at6native16triu_tril_kernelIN3c107complexIfEElLb0ELi2ELb0EEEvNS_4cuda6detail10TensorInfoIT_T0_EENS7_IKS8_S9_EEllS9_,@function
_ZN2at6native16triu_tril_kernelIN3c107complexIfEElLb0ELi2ELb0EEEvNS_4cuda6detail10TensorInfoIT_T0_EENS7_IKS8_S9_EEllS9_: ; @_ZN2at6native16triu_tril_kernelIN3c107complexIfEElLb0ELi2ELb0EEEvNS_4cuda6detail10TensorInfoIT_T0_EENS7_IKS8_S9_EEllS9_
; %bb.0:
	s_load_dword s2, s[4:5], 0x364
	s_load_dwordx4 s[8:11], s[4:5], 0x340
	s_add_u32 s0, s4, 0x358
	v_mov_b32_e32 v2, 0
	s_addc_u32 s1, s5, 0
	s_waitcnt lgkmcnt(0)
	s_and_b32 s7, s2, 0xffff
	v_mov_b32_e32 v1, v2
	v_mov_b32_e32 v3, s6
	v_mad_u64_u32 v[0:1], s[2:3], s7, v3, v[0:1]
	v_lshlrev_b64 v[0:1], 1, v[0:1]
	v_cmp_gt_i64_e32 vcc, s[10:11], v[0:1]
	s_and_saveexec_b64 s[2:3], vcc
	s_cbranch_execz .LBB35_26
; %bb.1:
	s_load_dword s6, s[0:1], 0x0
	s_load_dwordx2 s[2:3], s[4:5], 0x350
	s_load_dword s26, s[4:5], 0x338
	s_add_u32 s12, s4, 0x1a0
	s_addc_u32 s13, s5, 0
	s_waitcnt lgkmcnt(0)
	s_mul_i32 s28, s6, s7
	v_cvt_f32_u32_e32 v3, s2
	s_ashr_i32 s27, s26, 31
	s_add_u32 s30, s4, 0x1a8
	s_addc_u32 s31, s5, 0
	s_lshl_b64 s[0:1], s[26:27], 3
	s_add_u32 s22, s0, -16
	s_addc_u32 s23, s1, -1
	s_add_u32 s0, s30, s22
	s_addc_u32 s1, s31, s23
	s_add_u32 s20, s12, s22
	s_addc_u32 s21, s13, s23
	v_cmp_gt_i64_e64 s[24:25], s[26:27], 2
	s_add_u32 s27, s4, 0xd0
	s_addc_u32 s34, s5, 0
	s_load_dwordx4 s[12:15], s[0:1], 0x0
	s_load_dwordx4 s[16:19], s[20:21], 0xd0
	s_add_u32 s0, s27, s22
	s_addc_u32 s1, s34, s23
	s_load_dwordx2 s[6:7], s[4:5], 0x1a0
	s_load_dwordx4 s[20:23], s[0:1], 0x0
	v_rcp_iflag_f32_e32 v3, v3
	s_load_dwordx2 s[4:5], s[4:5], 0x0
	s_add_i32 s0, s26, -3
	s_ashr_i32 s1, s0, 31
	s_lshl_b32 s33, s28, 1
	s_lshl_b64 s[28:29], s[0:1], 3
	s_add_u32 s26, s27, s28
	s_addc_u32 s27, s34, s29
	v_mul_f32_e32 v3, 0x4f7ffffe, v3
	s_add_u32 s28, s30, s28
	v_cvt_u32_f32_e32 v16, v3
	s_addc_u32 s29, s31, s29
	s_add_u32 s30, s0, 1
	s_mov_b32 s50, 0
	s_addc_u32 s31, s1, 0
	s_mov_b64 s[34:35], 0
	s_branch .LBB35_3
.LBB35_2:                               ;   in Loop: Header=BB35_3 Depth=1
	s_or_b64 exec, exec, s[0:1]
	v_mov_b32_e32 v3, s50
	v_add_co_u32_e32 v0, vcc, s33, v0
	v_addc_co_u32_e32 v1, vcc, v1, v3, vcc
	v_cmp_le_i64_e32 vcc, s[10:11], v[0:1]
	s_or_b64 s[34:35], vcc, s[34:35]
	s_andn2_b64 exec, exec, s[34:35]
	s_cbranch_execz .LBB35_26
.LBB35_3:                               ; =>This Loop Header: Depth=1
                                        ;     Child Loop BB35_22 Depth 2
	v_or_b32_e32 v3, s3, v1
	v_cmp_ne_u64_e32 vcc, 0, v[2:3]
                                        ; implicit-def: $vgpr6_vgpr7
	s_and_saveexec_b64 s[0:1], vcc
	s_xor_b64 s[36:37], exec, s[0:1]
	s_cbranch_execz .LBB35_5
; %bb.4:                                ;   in Loop: Header=BB35_3 Depth=1
	s_ashr_i32 s38, s3, 31
	s_add_u32 s0, s2, s38
	s_mov_b32 s39, s38
	s_addc_u32 s1, s3, s38
	s_xor_b64 s[40:41], s[0:1], s[38:39]
	v_cvt_f32_u32_e32 v3, s40
	v_cvt_f32_u32_e32 v4, s41
	s_sub_u32 s0, 0, s40
	s_subb_u32 s1, 0, s41
	v_mac_f32_e32 v3, 0x4f800000, v4
	v_rcp_f32_e32 v3, v3
	v_mul_f32_e32 v3, 0x5f7ffffc, v3
	v_mul_f32_e32 v4, 0x2f800000, v3
	v_trunc_f32_e32 v4, v4
	v_mac_f32_e32 v3, 0xcf800000, v4
	v_cvt_u32_f32_e32 v4, v4
	v_cvt_u32_f32_e32 v3, v3
	v_mul_lo_u32 v5, s0, v4
	v_mul_hi_u32 v7, s0, v3
	v_mul_lo_u32 v6, s1, v3
	v_add_u32_e32 v5, v7, v5
	v_mul_lo_u32 v8, s0, v3
	v_add_u32_e32 v5, v5, v6
	v_mul_lo_u32 v7, v3, v5
	v_mul_hi_u32 v9, v3, v8
	v_mul_hi_u32 v6, v3, v5
	v_add_co_u32_e32 v7, vcc, v9, v7
	v_addc_co_u32_e32 v6, vcc, 0, v6, vcc
	v_mul_hi_u32 v10, v4, v8
	v_mul_lo_u32 v8, v4, v8
	v_add_co_u32_e32 v7, vcc, v7, v8
	v_mul_hi_u32 v9, v4, v5
	v_addc_co_u32_e32 v6, vcc, v6, v10, vcc
	v_addc_co_u32_e32 v7, vcc, 0, v9, vcc
	v_mul_lo_u32 v5, v4, v5
	v_add_co_u32_e32 v5, vcc, v6, v5
	v_addc_co_u32_e32 v6, vcc, 0, v7, vcc
	v_add_co_u32_e32 v3, vcc, v3, v5
	v_addc_co_u32_e32 v4, vcc, v4, v6, vcc
	v_mul_lo_u32 v5, s0, v4
	v_mul_hi_u32 v6, s0, v3
	v_add_u32_e32 v5, v6, v5
	v_mul_lo_u32 v6, s1, v3
	v_add_u32_e32 v5, v5, v6
	v_mul_lo_u32 v7, s0, v3
	v_mul_hi_u32 v8, v4, v7
	v_mul_lo_u32 v9, v4, v7
	v_mul_lo_u32 v11, v3, v5
	v_mul_hi_u32 v7, v3, v7
	v_mul_hi_u32 v10, v3, v5
	v_add_co_u32_e32 v7, vcc, v7, v11
	v_addc_co_u32_e32 v10, vcc, 0, v10, vcc
	v_add_co_u32_e32 v7, vcc, v7, v9
	v_mul_hi_u32 v6, v4, v5
	v_addc_co_u32_e32 v7, vcc, v10, v8, vcc
	v_addc_co_u32_e32 v6, vcc, 0, v6, vcc
	v_mul_lo_u32 v5, v4, v5
	v_add_co_u32_e32 v5, vcc, v7, v5
	v_addc_co_u32_e32 v6, vcc, 0, v6, vcc
	v_add_co_u32_e32 v3, vcc, v3, v5
	v_addc_co_u32_e32 v6, vcc, v4, v6, vcc
	v_ashrrev_i32_e32 v8, 31, v1
	v_add_co_u32_e32 v4, vcc, v0, v8
	v_addc_co_u32_e32 v5, vcc, v1, v8, vcc
	v_xor_b32_e32 v10, v4, v8
	v_xor_b32_e32 v9, v5, v8
	v_mad_u64_u32 v[4:5], s[0:1], v10, v6, 0
	v_mul_hi_u32 v7, v10, v3
	v_add_co_u32_e32 v11, vcc, v7, v4
	v_addc_co_u32_e32 v12, vcc, 0, v5, vcc
	v_mad_u64_u32 v[4:5], s[0:1], v9, v6, 0
	v_mad_u64_u32 v[6:7], s[0:1], v9, v3, 0
	v_add_co_u32_e32 v3, vcc, v11, v6
	v_addc_co_u32_e32 v3, vcc, v12, v7, vcc
	v_addc_co_u32_e32 v5, vcc, 0, v5, vcc
	v_add_co_u32_e32 v3, vcc, v3, v4
	v_addc_co_u32_e32 v6, vcc, 0, v5, vcc
	v_mul_lo_u32 v7, s41, v3
	v_mul_lo_u32 v11, s40, v6
	v_mad_u64_u32 v[4:5], s[0:1], s40, v3, 0
	v_add3_u32 v5, v5, v11, v7
	v_sub_u32_e32 v7, v9, v5
	v_mov_b32_e32 v11, s41
	v_sub_co_u32_e32 v4, vcc, v10, v4
	v_subb_co_u32_e64 v7, s[0:1], v7, v11, vcc
	v_subrev_co_u32_e64 v10, s[0:1], s40, v4
	v_subbrev_co_u32_e64 v7, s[0:1], 0, v7, s[0:1]
	v_cmp_le_u32_e64 s[0:1], s41, v7
	v_cndmask_b32_e64 v11, 0, -1, s[0:1]
	v_cmp_le_u32_e64 s[0:1], s40, v10
	v_cndmask_b32_e64 v10, 0, -1, s[0:1]
	v_cmp_eq_u32_e64 s[0:1], s41, v7
	v_cndmask_b32_e64 v7, v11, v10, s[0:1]
	v_add_co_u32_e64 v10, s[0:1], 2, v3
	v_subb_co_u32_e32 v5, vcc, v9, v5, vcc
	v_addc_co_u32_e64 v11, s[0:1], 0, v6, s[0:1]
	v_cmp_le_u32_e32 vcc, s41, v5
	v_add_co_u32_e64 v12, s[0:1], 1, v3
	v_cndmask_b32_e64 v9, 0, -1, vcc
	v_cmp_le_u32_e32 vcc, s40, v4
	v_addc_co_u32_e64 v13, s[0:1], 0, v6, s[0:1]
	v_cndmask_b32_e64 v4, 0, -1, vcc
	v_cmp_eq_u32_e32 vcc, s41, v5
	v_cmp_ne_u32_e64 s[0:1], 0, v7
	v_cndmask_b32_e32 v4, v9, v4, vcc
	v_cmp_ne_u32_e32 vcc, 0, v4
	v_cndmask_b32_e64 v5, v12, v10, s[0:1]
	v_cndmask_b32_e64 v7, v13, v11, s[0:1]
	v_cndmask_b32_e32 v3, v3, v5, vcc
	v_xor_b32_e32 v5, s38, v8
	v_cndmask_b32_e32 v4, v6, v7, vcc
	v_xor_b32_e32 v3, v3, v5
	v_xor_b32_e32 v4, v4, v5
	v_sub_co_u32_e32 v6, vcc, v3, v5
	v_subb_co_u32_e32 v7, vcc, v4, v5, vcc
.LBB35_5:                               ;   in Loop: Header=BB35_3 Depth=1
	s_andn2_saveexec_b64 s[0:1], s[36:37]
	s_cbranch_execz .LBB35_7
; %bb.6:                                ;   in Loop: Header=BB35_3 Depth=1
	s_sub_i32 s36, 0, s2
	v_mul_lo_u32 v3, s36, v16
	v_mul_hi_u32 v3, v16, v3
	v_add_u32_e32 v3, v16, v3
	v_mul_hi_u32 v3, v0, v3
	v_mul_lo_u32 v4, v3, s2
	v_sub_u32_e32 v4, v0, v4
	v_subrev_u32_e32 v5, s2, v4
	v_cmp_le_u32_e32 vcc, s2, v4
	v_cndmask_b32_e32 v4, v4, v5, vcc
	v_add_u32_e32 v5, 1, v3
	v_cndmask_b32_e32 v3, v3, v5, vcc
	v_add_u32_e32 v5, 1, v3
	v_cmp_le_u32_e32 vcc, s2, v4
	v_cndmask_b32_e32 v6, v3, v5, vcc
	v_mov_b32_e32 v7, v2
.LBB35_7:                               ;   in Loop: Header=BB35_3 Depth=1
	s_or_b64 exec, exec, s[0:1]
	s_waitcnt lgkmcnt(0)
	v_or_b32_e32 v3, s13, v7
	v_cmp_ne_u64_e32 vcc, 0, v[2:3]
                                        ; implicit-def: $vgpr10_vgpr11
	s_and_saveexec_b64 s[0:1], vcc
	s_xor_b64 s[36:37], exec, s[0:1]
	s_cbranch_execz .LBB35_9
; %bb.8:                                ;   in Loop: Header=BB35_3 Depth=1
	s_ashr_i32 s38, s13, 31
	s_add_u32 s0, s12, s38
	s_mov_b32 s39, s38
	s_addc_u32 s1, s13, s38
	s_xor_b64 s[40:41], s[0:1], s[38:39]
	v_cvt_f32_u32_e32 v3, s40
	v_cvt_f32_u32_e32 v4, s41
	s_sub_u32 s0, 0, s40
	s_subb_u32 s1, 0, s41
	v_mac_f32_e32 v3, 0x4f800000, v4
	v_rcp_f32_e32 v3, v3
	v_mul_f32_e32 v3, 0x5f7ffffc, v3
	v_mul_f32_e32 v4, 0x2f800000, v3
	v_trunc_f32_e32 v4, v4
	v_mac_f32_e32 v3, 0xcf800000, v4
	v_cvt_u32_f32_e32 v4, v4
	v_cvt_u32_f32_e32 v3, v3
	v_mul_lo_u32 v5, s0, v4
	v_mul_hi_u32 v9, s0, v3
	v_mul_lo_u32 v8, s1, v3
	v_add_u32_e32 v5, v9, v5
	v_mul_lo_u32 v10, s0, v3
	v_add_u32_e32 v5, v5, v8
	v_mul_lo_u32 v9, v3, v5
	v_mul_hi_u32 v11, v3, v10
	v_mul_hi_u32 v8, v3, v5
	v_add_co_u32_e32 v9, vcc, v11, v9
	v_addc_co_u32_e32 v8, vcc, 0, v8, vcc
	v_mul_hi_u32 v12, v4, v10
	v_mul_lo_u32 v10, v4, v10
	v_add_co_u32_e32 v9, vcc, v9, v10
	v_mul_hi_u32 v11, v4, v5
	v_addc_co_u32_e32 v8, vcc, v8, v12, vcc
	v_addc_co_u32_e32 v9, vcc, 0, v11, vcc
	v_mul_lo_u32 v5, v4, v5
	v_add_co_u32_e32 v5, vcc, v8, v5
	v_addc_co_u32_e32 v8, vcc, 0, v9, vcc
	v_add_co_u32_e32 v3, vcc, v3, v5
	v_addc_co_u32_e32 v4, vcc, v4, v8, vcc
	v_mul_lo_u32 v5, s0, v4
	v_mul_hi_u32 v8, s0, v3
	v_add_u32_e32 v5, v8, v5
	v_mul_lo_u32 v8, s1, v3
	v_add_u32_e32 v5, v5, v8
	v_mul_lo_u32 v9, s0, v3
	v_mul_hi_u32 v10, v4, v9
	v_mul_lo_u32 v11, v4, v9
	v_mul_lo_u32 v13, v3, v5
	v_mul_hi_u32 v9, v3, v9
	v_mul_hi_u32 v12, v3, v5
	v_add_co_u32_e32 v9, vcc, v9, v13
	v_addc_co_u32_e32 v12, vcc, 0, v12, vcc
	v_add_co_u32_e32 v9, vcc, v9, v11
	v_mul_hi_u32 v8, v4, v5
	v_addc_co_u32_e32 v9, vcc, v12, v10, vcc
	v_addc_co_u32_e32 v8, vcc, 0, v8, vcc
	v_mul_lo_u32 v5, v4, v5
	v_add_co_u32_e32 v5, vcc, v9, v5
	v_addc_co_u32_e32 v8, vcc, 0, v8, vcc
	v_add_co_u32_e32 v3, vcc, v3, v5
	v_addc_co_u32_e32 v8, vcc, v4, v8, vcc
	v_ashrrev_i32_e32 v10, 31, v7
	v_add_co_u32_e32 v4, vcc, v6, v10
	v_addc_co_u32_e32 v5, vcc, v7, v10, vcc
	v_xor_b32_e32 v12, v4, v10
	v_xor_b32_e32 v11, v5, v10
	v_mad_u64_u32 v[4:5], s[0:1], v12, v8, 0
	v_mul_hi_u32 v9, v12, v3
	v_add_co_u32_e32 v13, vcc, v9, v4
	v_addc_co_u32_e32 v14, vcc, 0, v5, vcc
	v_mad_u64_u32 v[4:5], s[0:1], v11, v8, 0
	v_mad_u64_u32 v[8:9], s[0:1], v11, v3, 0
	v_add_co_u32_e32 v3, vcc, v13, v8
	v_addc_co_u32_e32 v3, vcc, v14, v9, vcc
	v_addc_co_u32_e32 v5, vcc, 0, v5, vcc
	v_add_co_u32_e32 v3, vcc, v3, v4
	v_addc_co_u32_e32 v8, vcc, 0, v5, vcc
	v_mul_lo_u32 v9, s41, v3
	v_mul_lo_u32 v13, s40, v8
	v_mad_u64_u32 v[4:5], s[0:1], s40, v3, 0
	v_add3_u32 v5, v5, v13, v9
	v_sub_u32_e32 v9, v11, v5
	v_mov_b32_e32 v13, s41
	v_sub_co_u32_e32 v4, vcc, v12, v4
	v_subb_co_u32_e64 v9, s[0:1], v9, v13, vcc
	v_subrev_co_u32_e64 v12, s[0:1], s40, v4
	v_subbrev_co_u32_e64 v9, s[0:1], 0, v9, s[0:1]
	v_cmp_le_u32_e64 s[0:1], s41, v9
	v_cndmask_b32_e64 v13, 0, -1, s[0:1]
	v_cmp_le_u32_e64 s[0:1], s40, v12
	v_cndmask_b32_e64 v12, 0, -1, s[0:1]
	v_cmp_eq_u32_e64 s[0:1], s41, v9
	v_cndmask_b32_e64 v9, v13, v12, s[0:1]
	v_add_co_u32_e64 v12, s[0:1], 2, v3
	v_subb_co_u32_e32 v5, vcc, v11, v5, vcc
	v_addc_co_u32_e64 v13, s[0:1], 0, v8, s[0:1]
	v_cmp_le_u32_e32 vcc, s41, v5
	v_add_co_u32_e64 v14, s[0:1], 1, v3
	v_cndmask_b32_e64 v11, 0, -1, vcc
	v_cmp_le_u32_e32 vcc, s40, v4
	v_addc_co_u32_e64 v15, s[0:1], 0, v8, s[0:1]
	v_cndmask_b32_e64 v4, 0, -1, vcc
	v_cmp_eq_u32_e32 vcc, s41, v5
	v_cmp_ne_u32_e64 s[0:1], 0, v9
	v_cndmask_b32_e32 v4, v11, v4, vcc
	v_cmp_ne_u32_e32 vcc, 0, v4
	v_cndmask_b32_e64 v5, v14, v12, s[0:1]
	v_cndmask_b32_e64 v9, v15, v13, s[0:1]
	v_cndmask_b32_e32 v3, v3, v5, vcc
	v_xor_b32_e32 v5, s38, v10
	v_cndmask_b32_e32 v4, v8, v9, vcc
	v_xor_b32_e32 v3, v3, v5
	v_xor_b32_e32 v4, v4, v5
	v_sub_co_u32_e32 v10, vcc, v3, v5
	v_subb_co_u32_e32 v11, vcc, v4, v5, vcc
.LBB35_9:                               ;   in Loop: Header=BB35_3 Depth=1
	s_andn2_saveexec_b64 s[0:1], s[36:37]
	s_cbranch_execz .LBB35_11
; %bb.10:                               ;   in Loop: Header=BB35_3 Depth=1
	v_cvt_f32_u32_e32 v3, s12
	s_sub_i32 s36, 0, s12
	v_mov_b32_e32 v11, v2
	v_rcp_iflag_f32_e32 v3, v3
	v_mul_f32_e32 v3, 0x4f7ffffe, v3
	v_cvt_u32_f32_e32 v3, v3
	v_mul_lo_u32 v4, s36, v3
	v_mul_hi_u32 v4, v3, v4
	v_add_u32_e32 v3, v3, v4
	v_mul_hi_u32 v3, v6, v3
	v_mul_lo_u32 v4, v3, s12
	v_sub_u32_e32 v4, v6, v4
	v_add_u32_e32 v5, 1, v3
	v_subrev_u32_e32 v8, s12, v4
	v_cmp_le_u32_e32 vcc, s12, v4
	v_cndmask_b32_e32 v4, v4, v8, vcc
	v_cndmask_b32_e32 v3, v3, v5, vcc
	v_add_u32_e32 v5, 1, v3
	v_cmp_le_u32_e32 vcc, s12, v4
	v_cndmask_b32_e32 v10, v3, v5, vcc
.LBB35_11:                              ;   in Loop: Header=BB35_3 Depth=1
	s_or_b64 exec, exec, s[0:1]
	v_mul_lo_u32 v3, v7, s2
	v_mul_lo_u32 v8, v6, s3
	v_mad_u64_u32 v[4:5], s[0:1], v6, s2, 0
	v_add3_u32 v3, v5, v8, v3
	v_sub_co_u32_e32 v4, vcc, v0, v4
	v_subb_co_u32_e32 v5, vcc, v1, v3, vcc
	v_mul_lo_u32 v3, v11, s12
	v_mul_lo_u32 v12, v10, s13
	v_mad_u64_u32 v[8:9], s[0:1], v10, s12, 0
	v_add3_u32 v3, v9, v12, v3
	v_sub_co_u32_e32 v14, vcc, v6, v8
	v_subb_co_u32_e32 v15, vcc, v7, v3, vcc
	v_mul_lo_u32 v3, s19, v4
	v_mul_lo_u32 v8, s18, v5
	v_mad_u64_u32 v[6:7], s[0:1], s18, v4, 0
	v_add3_u32 v7, v7, v8, v3
	v_mul_lo_u32 v3, s23, v4
	v_mul_lo_u32 v8, s22, v5
	v_mad_u64_u32 v[12:13], s[0:1], s22, v4, 0
	v_add3_u32 v13, v13, v8, v3
	v_mad_u64_u32 v[8:9], s[0:1], s16, v14, v[6:7]
	v_mul_lo_u32 v3, s16, v15
	v_mul_lo_u32 v6, s17, v14
	v_add3_u32 v9, v6, v9, v3
	v_mad_u64_u32 v[6:7], s[0:1], s20, v14, v[12:13]
	v_mul_lo_u32 v3, s20, v15
	v_mul_lo_u32 v12, s21, v14
	v_add3_u32 v7, v12, v7, v3
	s_and_b64 vcc, exec, s[24:25]
	s_mov_b64 s[36:37], s[30:31]
	s_mov_b64 s[38:39], s[28:29]
	;; [unrolled: 1-line block ×3, first 2 shown]
	s_cbranch_vccnz .LBB35_22
.LBB35_12:                              ;   in Loop: Header=BB35_3 Depth=1
	v_sub_co_u32_e32 v12, vcc, v4, v14
	v_subb_co_u32_e32 v13, vcc, v5, v15, vcc
	v_cmp_ge_i64_e32 vcc, s[8:9], v[12:13]
	v_mov_b32_e32 v11, 0
	v_mov_b32_e32 v10, 0
	;; [unrolled: 1-line block ×4, first 2 shown]
	s_and_saveexec_b64 s[0:1], vcc
	s_cbranch_execz .LBB35_18
; %bb.13:                               ;   in Loop: Header=BB35_3 Depth=1
	v_cmp_gt_i64_e32 vcc, s[14:15], v[4:5]
	v_mov_b32_e32 v10, 0
	v_mov_b32_e32 v11, 0
	;; [unrolled: 1-line block ×4, first 2 shown]
	s_and_saveexec_b64 s[36:37], vcc
	s_cbranch_execz .LBB35_17
; %bb.14:                               ;   in Loop: Header=BB35_3 Depth=1
	v_lshlrev_b64 v[8:9], 3, v[8:9]
	v_mov_b32_e32 v3, s7
	v_add_co_u32_e32 v8, vcc, s6, v8
	v_addc_co_u32_e32 v9, vcc, v3, v9, vcc
	global_load_dwordx2 v[10:11], v[8:9], off
	v_add_co_u32_e32 v14, vcc, 1, v4
	v_addc_co_u32_e32 v15, vcc, 0, v5, vcc
	v_cmp_gt_i64_e32 vcc, s[14:15], v[14:15]
	v_mov_b32_e32 v15, 0
	v_mov_b32_e32 v14, 0
	s_and_saveexec_b64 s[38:39], vcc
	s_cbranch_execz .LBB35_16
; %bb.15:                               ;   in Loop: Header=BB35_3 Depth=1
	s_lshl_b64 s[40:41], s[18:19], 3
	v_mov_b32_e32 v3, s41
	v_add_co_u32_e32 v8, vcc, s40, v8
	v_addc_co_u32_e32 v9, vcc, v9, v3, vcc
	global_load_dwordx2 v[14:15], v[8:9], off
.LBB35_16:                              ;   in Loop: Header=BB35_3 Depth=1
	s_or_b64 exec, exec, s[38:39]
.LBB35_17:                              ;   in Loop: Header=BB35_3 Depth=1
	s_or_b64 exec, exec, s[36:37]
	v_add_co_u32_e32 v8, vcc, 1, v12
	v_addc_co_u32_e32 v9, vcc, 0, v13, vcc
	v_cmp_lt_i64_e32 vcc, s[8:9], v[8:9]
	s_waitcnt vmcnt(0)
	v_cndmask_b32_e64 v14, v14, 0, vcc
	v_cndmask_b32_e64 v15, v15, 0, vcc
.LBB35_18:                              ;   in Loop: Header=BB35_3 Depth=1
	s_or_b64 exec, exec, s[0:1]
	v_cmp_gt_i64_e32 vcc, s[14:15], v[4:5]
	s_and_saveexec_b64 s[0:1], vcc
	s_cbranch_execz .LBB35_2
; %bb.19:                               ;   in Loop: Header=BB35_3 Depth=1
	v_lshlrev_b64 v[6:7], 3, v[6:7]
	v_mov_b32_e32 v3, s5
	v_add_co_u32_e32 v6, vcc, s4, v6
	v_addc_co_u32_e32 v7, vcc, v3, v7, vcc
	v_add_co_u32_e32 v4, vcc, 1, v4
	v_addc_co_u32_e32 v5, vcc, 0, v5, vcc
	v_cmp_gt_i64_e32 vcc, s[14:15], v[4:5]
	global_store_dwordx2 v[6:7], v[10:11], off
	s_and_saveexec_b64 s[36:37], vcc
	s_xor_b64 s[36:37], exec, s[36:37]
	s_cbranch_execz .LBB35_2
; %bb.20:                               ;   in Loop: Header=BB35_3 Depth=1
	s_lshl_b64 s[36:37], s[22:23], 3
	v_mov_b32_e32 v3, s37
	v_add_co_u32_e32 v4, vcc, s36, v6
	v_addc_co_u32_e32 v5, vcc, v7, v3, vcc
	global_store_dwordx2 v[4:5], v[14:15], off
	s_branch .LBB35_2
.LBB35_21:                              ;   in Loop: Header=BB35_22 Depth=2
	s_or_b64 exec, exec, s[0:1]
	v_mad_u64_u32 v[18:19], s[0:1], v12, s42, 0
	v_mul_lo_u32 v3, v13, s42
	v_mul_lo_u32 v17, v12, s43
	s_load_dwordx2 s[0:1], s[38:39], 0xc8
	s_load_dwordx2 s[42:43], s[40:41], 0x0
	s_add_u32 s40, s40, -8
	s_addc_u32 s41, s41, -1
	s_add_u32 s38, s38, -8
	v_add3_u32 v3, v19, v17, v3
	v_sub_co_u32_e32 v10, vcc, v10, v18
	s_addc_u32 s39, s39, -1
	v_subb_co_u32_e32 v3, vcc, v11, v3, vcc
	s_add_u32 s36, s36, -1
	s_waitcnt lgkmcnt(0)
	v_mul_lo_u32 v11, s0, v3
	v_mul_lo_u32 v17, s1, v10
	v_mad_u64_u32 v[8:9], s[0:1], s0, v10, v[8:9]
	v_mad_u64_u32 v[6:7], s[0:1], s42, v10, v[6:7]
	s_addc_u32 s37, s37, -1
	v_add3_u32 v9, v17, v9, v11
	v_mul_lo_u32 v3, s42, v3
	v_mul_lo_u32 v11, s43, v10
	v_cmp_lt_i64_e64 s[0:1], s[36:37], 1
	v_add3_u32 v7, v11, v7, v3
	s_and_b64 vcc, exec, s[0:1]
	v_pk_mov_b32 v[10:11], v[12:13], v[12:13] op_sel:[0,1]
	s_cbranch_vccnz .LBB35_12
.LBB35_22:                              ;   Parent Loop BB35_3 Depth=1
                                        ; =>  This Inner Loop Header: Depth=2
	s_load_dwordx2 s[42:43], s[38:39], 0x0
                                        ; implicit-def: $vgpr12_vgpr13
	s_waitcnt lgkmcnt(0)
	v_or_b32_e32 v3, s43, v11
	v_cmp_ne_u64_e32 vcc, 0, v[2:3]
	s_and_saveexec_b64 s[0:1], vcc
	s_xor_b64 s[44:45], exec, s[0:1]
	s_cbranch_execz .LBB35_24
; %bb.23:                               ;   in Loop: Header=BB35_22 Depth=2
	s_ashr_i32 s46, s43, 31
	s_add_u32 s0, s42, s46
	s_mov_b32 s47, s46
	s_addc_u32 s1, s43, s46
	s_xor_b64 s[48:49], s[0:1], s[46:47]
	v_cvt_f32_u32_e32 v3, s48
	v_cvt_f32_u32_e32 v12, s49
	s_sub_u32 s0, 0, s48
	s_subb_u32 s1, 0, s49
	v_mac_f32_e32 v3, 0x4f800000, v12
	v_rcp_f32_e32 v3, v3
	v_mul_f32_e32 v3, 0x5f7ffffc, v3
	v_mul_f32_e32 v12, 0x2f800000, v3
	v_trunc_f32_e32 v12, v12
	v_mac_f32_e32 v3, 0xcf800000, v12
	v_cvt_u32_f32_e32 v12, v12
	v_cvt_u32_f32_e32 v3, v3
	v_mul_lo_u32 v13, s0, v12
	v_mul_hi_u32 v18, s0, v3
	v_mul_lo_u32 v17, s1, v3
	v_add_u32_e32 v13, v18, v13
	v_mul_lo_u32 v19, s0, v3
	v_add_u32_e32 v13, v13, v17
	v_mul_lo_u32 v18, v3, v13
	v_mul_hi_u32 v20, v3, v19
	v_mul_hi_u32 v17, v3, v13
	v_add_co_u32_e32 v18, vcc, v20, v18
	v_addc_co_u32_e32 v17, vcc, 0, v17, vcc
	v_mul_hi_u32 v21, v12, v19
	v_mul_lo_u32 v19, v12, v19
	v_add_co_u32_e32 v18, vcc, v18, v19
	v_mul_hi_u32 v20, v12, v13
	v_addc_co_u32_e32 v17, vcc, v17, v21, vcc
	v_addc_co_u32_e32 v18, vcc, 0, v20, vcc
	v_mul_lo_u32 v13, v12, v13
	v_add_co_u32_e32 v13, vcc, v17, v13
	v_addc_co_u32_e32 v17, vcc, 0, v18, vcc
	v_add_co_u32_e32 v3, vcc, v3, v13
	v_addc_co_u32_e32 v12, vcc, v12, v17, vcc
	v_mul_lo_u32 v13, s0, v12
	v_mul_hi_u32 v17, s0, v3
	v_add_u32_e32 v13, v17, v13
	v_mul_lo_u32 v17, s1, v3
	v_add_u32_e32 v13, v13, v17
	v_mul_lo_u32 v18, s0, v3
	v_mul_hi_u32 v19, v12, v18
	v_mul_lo_u32 v20, v12, v18
	v_mul_lo_u32 v22, v3, v13
	v_mul_hi_u32 v18, v3, v18
	v_mul_hi_u32 v21, v3, v13
	v_add_co_u32_e32 v18, vcc, v18, v22
	v_addc_co_u32_e32 v21, vcc, 0, v21, vcc
	v_add_co_u32_e32 v18, vcc, v18, v20
	v_mul_hi_u32 v17, v12, v13
	v_addc_co_u32_e32 v18, vcc, v21, v19, vcc
	v_addc_co_u32_e32 v17, vcc, 0, v17, vcc
	v_mul_lo_u32 v13, v12, v13
	v_add_co_u32_e32 v13, vcc, v18, v13
	v_addc_co_u32_e32 v17, vcc, 0, v17, vcc
	v_add_co_u32_e32 v3, vcc, v3, v13
	v_addc_co_u32_e32 v17, vcc, v12, v17, vcc
	v_ashrrev_i32_e32 v20, 31, v11
	v_add_co_u32_e32 v12, vcc, v10, v20
	v_addc_co_u32_e32 v13, vcc, v11, v20, vcc
	v_xor_b32_e32 v22, v12, v20
	v_xor_b32_e32 v21, v13, v20
	v_mad_u64_u32 v[12:13], s[0:1], v22, v17, 0
	v_mul_hi_u32 v18, v22, v3
	v_add_co_u32_e32 v23, vcc, v18, v12
	v_addc_co_u32_e32 v24, vcc, 0, v13, vcc
	v_mad_u64_u32 v[18:19], s[0:1], v21, v3, 0
	v_add_co_u32_e32 v3, vcc, v23, v18
	v_mad_u64_u32 v[12:13], s[0:1], v21, v17, 0
	v_addc_co_u32_e32 v3, vcc, v24, v19, vcc
	v_addc_co_u32_e32 v13, vcc, 0, v13, vcc
	v_add_co_u32_e32 v3, vcc, v3, v12
	v_addc_co_u32_e32 v17, vcc, 0, v13, vcc
	v_mul_lo_u32 v18, s49, v3
	v_mul_lo_u32 v19, s48, v17
	v_mad_u64_u32 v[12:13], s[0:1], s48, v3, 0
	v_add3_u32 v13, v13, v19, v18
	v_sub_u32_e32 v18, v21, v13
	v_mov_b32_e32 v19, s49
	v_sub_co_u32_e32 v12, vcc, v22, v12
	v_subb_co_u32_e64 v18, s[0:1], v18, v19, vcc
	v_subrev_co_u32_e64 v19, s[0:1], s48, v12
	v_subbrev_co_u32_e64 v18, s[0:1], 0, v18, s[0:1]
	v_cmp_le_u32_e64 s[0:1], s49, v18
	v_cndmask_b32_e64 v22, 0, -1, s[0:1]
	v_cmp_le_u32_e64 s[0:1], s48, v19
	v_cndmask_b32_e64 v19, 0, -1, s[0:1]
	v_cmp_eq_u32_e64 s[0:1], s49, v18
	v_cndmask_b32_e64 v18, v22, v19, s[0:1]
	v_add_co_u32_e64 v19, s[0:1], 2, v3
	v_subb_co_u32_e32 v13, vcc, v21, v13, vcc
	v_addc_co_u32_e64 v22, s[0:1], 0, v17, s[0:1]
	v_cmp_le_u32_e32 vcc, s49, v13
	v_add_co_u32_e64 v23, s[0:1], 1, v3
	v_cndmask_b32_e64 v21, 0, -1, vcc
	v_cmp_le_u32_e32 vcc, s48, v12
	v_addc_co_u32_e64 v24, s[0:1], 0, v17, s[0:1]
	v_cndmask_b32_e64 v12, 0, -1, vcc
	v_cmp_eq_u32_e32 vcc, s49, v13
	v_cmp_ne_u32_e64 s[0:1], 0, v18
	v_cndmask_b32_e32 v12, v21, v12, vcc
	v_cmp_ne_u32_e32 vcc, 0, v12
	v_cndmask_b32_e64 v13, v23, v19, s[0:1]
	v_cndmask_b32_e64 v18, v24, v22, s[0:1]
	v_cndmask_b32_e32 v3, v3, v13, vcc
	v_xor_b32_e32 v13, s46, v20
	v_cndmask_b32_e32 v12, v17, v18, vcc
	v_xor_b32_e32 v3, v3, v13
	v_xor_b32_e32 v17, v12, v13
	v_sub_co_u32_e32 v12, vcc, v3, v13
	v_subb_co_u32_e32 v13, vcc, v17, v13, vcc
.LBB35_24:                              ;   in Loop: Header=BB35_22 Depth=2
	s_andn2_saveexec_b64 s[0:1], s[44:45]
	s_cbranch_execz .LBB35_21
; %bb.25:                               ;   in Loop: Header=BB35_22 Depth=2
	v_cvt_f32_u32_e32 v3, s42
	s_sub_i32 s44, 0, s42
	v_rcp_iflag_f32_e32 v3, v3
	v_mul_f32_e32 v3, 0x4f7ffffe, v3
	v_cvt_u32_f32_e32 v3, v3
	v_mul_lo_u32 v12, s44, v3
	v_mul_hi_u32 v12, v3, v12
	v_add_u32_e32 v3, v3, v12
	v_mul_hi_u32 v3, v10, v3
	v_mul_lo_u32 v12, v3, s42
	v_sub_u32_e32 v12, v10, v12
	v_add_u32_e32 v13, 1, v3
	v_subrev_u32_e32 v17, s42, v12
	v_cmp_le_u32_e32 vcc, s42, v12
	v_cndmask_b32_e32 v12, v12, v17, vcc
	v_cndmask_b32_e32 v3, v3, v13, vcc
	v_add_u32_e32 v13, 1, v3
	v_cmp_le_u32_e32 vcc, s42, v12
	v_cndmask_b32_e32 v12, v3, v13, vcc
	v_mov_b32_e32 v13, v2
	s_branch .LBB35_21
.LBB35_26:
	s_endpgm
	.section	.rodata,"a",@progbits
	.p2align	6, 0x0
	.amdhsa_kernel _ZN2at6native16triu_tril_kernelIN3c107complexIfEElLb0ELi2ELb0EEEvNS_4cuda6detail10TensorInfoIT_T0_EENS7_IKS8_S9_EEllS9_
		.amdhsa_group_segment_fixed_size 0
		.amdhsa_private_segment_fixed_size 0
		.amdhsa_kernarg_size 1112
		.amdhsa_user_sgpr_count 6
		.amdhsa_user_sgpr_private_segment_buffer 1
		.amdhsa_user_sgpr_dispatch_ptr 0
		.amdhsa_user_sgpr_queue_ptr 0
		.amdhsa_user_sgpr_kernarg_segment_ptr 1
		.amdhsa_user_sgpr_dispatch_id 0
		.amdhsa_user_sgpr_flat_scratch_init 0
		.amdhsa_user_sgpr_kernarg_preload_length 0
		.amdhsa_user_sgpr_kernarg_preload_offset 0
		.amdhsa_user_sgpr_private_segment_size 0
		.amdhsa_uses_dynamic_stack 0
		.amdhsa_system_sgpr_private_segment_wavefront_offset 0
		.amdhsa_system_sgpr_workgroup_id_x 1
		.amdhsa_system_sgpr_workgroup_id_y 0
		.amdhsa_system_sgpr_workgroup_id_z 0
		.amdhsa_system_sgpr_workgroup_info 0
		.amdhsa_system_vgpr_workitem_id 0
		.amdhsa_next_free_vgpr 25
		.amdhsa_next_free_sgpr 51
		.amdhsa_accum_offset 28
		.amdhsa_reserve_vcc 1
		.amdhsa_reserve_flat_scratch 0
		.amdhsa_float_round_mode_32 0
		.amdhsa_float_round_mode_16_64 0
		.amdhsa_float_denorm_mode_32 3
		.amdhsa_float_denorm_mode_16_64 3
		.amdhsa_dx10_clamp 1
		.amdhsa_ieee_mode 1
		.amdhsa_fp16_overflow 0
		.amdhsa_tg_split 0
		.amdhsa_exception_fp_ieee_invalid_op 0
		.amdhsa_exception_fp_denorm_src 0
		.amdhsa_exception_fp_ieee_div_zero 0
		.amdhsa_exception_fp_ieee_overflow 0
		.amdhsa_exception_fp_ieee_underflow 0
		.amdhsa_exception_fp_ieee_inexact 0
		.amdhsa_exception_int_div_zero 0
	.end_amdhsa_kernel
	.section	.text._ZN2at6native16triu_tril_kernelIN3c107complexIfEElLb0ELi2ELb0EEEvNS_4cuda6detail10TensorInfoIT_T0_EENS7_IKS8_S9_EEllS9_,"axG",@progbits,_ZN2at6native16triu_tril_kernelIN3c107complexIfEElLb0ELi2ELb0EEEvNS_4cuda6detail10TensorInfoIT_T0_EENS7_IKS8_S9_EEllS9_,comdat
.Lfunc_end35:
	.size	_ZN2at6native16triu_tril_kernelIN3c107complexIfEElLb0ELi2ELb0EEEvNS_4cuda6detail10TensorInfoIT_T0_EENS7_IKS8_S9_EEllS9_, .Lfunc_end35-_ZN2at6native16triu_tril_kernelIN3c107complexIfEElLb0ELi2ELb0EEEvNS_4cuda6detail10TensorInfoIT_T0_EENS7_IKS8_S9_EEllS9_
                                        ; -- End function
	.section	.AMDGPU.csdata,"",@progbits
; Kernel info:
; codeLenInByte = 3424
; NumSgprs: 55
; NumVgprs: 25
; NumAgprs: 0
; TotalNumVgprs: 25
; ScratchSize: 0
; MemoryBound: 0
; FloatMode: 240
; IeeeMode: 1
; LDSByteSize: 0 bytes/workgroup (compile time only)
; SGPRBlocks: 6
; VGPRBlocks: 3
; NumSGPRsForWavesPerEU: 55
; NumVGPRsForWavesPerEU: 25
; AccumOffset: 28
; Occupancy: 8
; WaveLimiterHint : 0
; COMPUTE_PGM_RSRC2:SCRATCH_EN: 0
; COMPUTE_PGM_RSRC2:USER_SGPR: 6
; COMPUTE_PGM_RSRC2:TRAP_HANDLER: 0
; COMPUTE_PGM_RSRC2:TGID_X_EN: 1
; COMPUTE_PGM_RSRC2:TGID_Y_EN: 0
; COMPUTE_PGM_RSRC2:TGID_Z_EN: 0
; COMPUTE_PGM_RSRC2:TIDIG_COMP_CNT: 0
; COMPUTE_PGM_RSRC3_GFX90A:ACCUM_OFFSET: 6
; COMPUTE_PGM_RSRC3_GFX90A:TG_SPLIT: 0
	.section	.text._ZN2at6native16triu_tril_kernelIN3c107complexINS2_4HalfEEEiLb0ELi2ELb1EEEvNS_4cuda6detail10TensorInfoIT_T0_EENS8_IKS9_SA_EEllSA_,"axG",@progbits,_ZN2at6native16triu_tril_kernelIN3c107complexINS2_4HalfEEEiLb0ELi2ELb1EEEvNS_4cuda6detail10TensorInfoIT_T0_EENS8_IKS9_SA_EEllSA_,comdat
	.protected	_ZN2at6native16triu_tril_kernelIN3c107complexINS2_4HalfEEEiLb0ELi2ELb1EEEvNS_4cuda6detail10TensorInfoIT_T0_EENS8_IKS9_SA_EEllSA_ ; -- Begin function _ZN2at6native16triu_tril_kernelIN3c107complexINS2_4HalfEEEiLb0ELi2ELb1EEEvNS_4cuda6detail10TensorInfoIT_T0_EENS8_IKS9_SA_EEllSA_
	.globl	_ZN2at6native16triu_tril_kernelIN3c107complexINS2_4HalfEEEiLb0ELi2ELb1EEEvNS_4cuda6detail10TensorInfoIT_T0_EENS8_IKS9_SA_EEllSA_
	.p2align	8
	.type	_ZN2at6native16triu_tril_kernelIN3c107complexINS2_4HalfEEEiLb0ELi2ELb1EEEvNS_4cuda6detail10TensorInfoIT_T0_EENS8_IKS9_SA_EEllSA_,@function
_ZN2at6native16triu_tril_kernelIN3c107complexINS2_4HalfEEEiLb0ELi2ELb1EEEvNS_4cuda6detail10TensorInfoIT_T0_EENS8_IKS9_SA_EEllSA_: ; @_ZN2at6native16triu_tril_kernelIN3c107complexINS2_4HalfEEEiLb0ELi2ELb1EEEvNS_4cuda6detail10TensorInfoIT_T0_EENS8_IKS9_SA_EEllSA_
; %bb.0:
	s_load_dword s2, s[4:5], 0x1d4
	s_load_dwordx4 s[8:11], s[4:5], 0x1b0
	s_add_u32 s0, s4, 0x1c8
	v_mov_b32_e32 v2, 0
	s_addc_u32 s1, s5, 0
	s_waitcnt lgkmcnt(0)
	s_and_b32 s7, s2, 0xffff
	v_mov_b32_e32 v1, v2
	v_mov_b32_e32 v3, s6
	v_mad_u64_u32 v[0:1], s[2:3], s7, v3, v[0:1]
	v_lshlrev_b64 v[0:1], 1, v[0:1]
	v_cmp_gt_i64_e32 vcc, s[10:11], v[0:1]
	s_and_saveexec_b64 s[2:3], vcc
	s_cbranch_execz .LBB36_63
; %bb.1:
	s_load_dword s33, s[4:5], 0x1c0
	s_load_dword s16, s[4:5], 0x1a8
	;; [unrolled: 1-line block ×3, first 2 shown]
	s_load_dwordx2 s[2:3], s[4:5], 0x0
	s_mov_b64 s[22:23], 0
	s_waitcnt lgkmcnt(0)
	s_ashr_i32 s38, s33, 31
	s_ashr_i32 s17, s16, 31
	s_add_u32 s39, s4, 0xe0
	s_addc_u32 s40, s5, 0
	s_lshl_b64 s[0:1], s[16:17], 2
	s_add_u32 s14, s0, -8
	s_addc_u32 s15, s1, -1
	s_add_u32 s12, s39, s14
	s_addc_u32 s13, s40, s15
	s_load_dword s41, s[12:13], 0x0
	v_cvt_f32_u32_e32 v3, s33
	s_mul_i32 s18, s6, s7
	v_cmp_gt_i64_e64 s[6:7], s[16:17], 2
	s_mov_b32 s17, 0
	s_waitcnt lgkmcnt(0)
	s_ashr_i32 s42, s41, 31
	s_add_u32 s0, s0, -4
	s_addc_u32 s1, s1, -1
	s_add_u32 s43, s4, 0x6c
	s_addc_u32 s44, s5, 0
	s_add_u32 s4, s43, s0
	s_addc_u32 s5, s44, s1
	v_rcp_iflag_f32_e32 v3, v3
	s_add_u32 s12, s43, s14
	s_addc_u32 s13, s44, s15
	s_add_i32 s45, s16, -3
	s_add_u32 s14, s39, s0
	s_addc_u32 s15, s40, s1
	s_add_i32 s0, s16, 6
	v_mul_f32_e32 v3, 0x4f7ffffe, v3
	s_lshl_b32 s46, s18, 1
	s_and_b32 s48, s0, 7
	v_cvt_u32_f32_e32 v26, v3
	s_cmp_lg_u32 s48, 0
	s_cselect_b64 s[18:19], -1, 0
	s_cmp_gt_u32 s45, 6
	s_mov_b32 s47, s17
	s_cselect_b64 s[20:21], -1, 0
	s_branch .LBB36_3
.LBB36_2:                               ;   in Loop: Header=BB36_3 Depth=1
	s_or_b64 exec, exec, s[24:25]
	v_mov_b32_e32 v3, s47
	v_add_co_u32_e32 v0, vcc, s46, v0
	v_addc_co_u32_e32 v1, vcc, v1, v3, vcc
	v_cmp_le_i64_e32 vcc, s[10:11], v[0:1]
	s_or_b64 s[22:23], vcc, s[22:23]
	s_andn2_b64 exec, exec, s[22:23]
	s_cbranch_execz .LBB36_63
.LBB36_3:                               ; =>This Loop Header: Depth=1
                                        ;     Child Loop BB36_16 Depth 2
                                        ;     Child Loop BB36_23 Depth 2
	v_or_b32_e32 v3, s38, v1
	v_cmp_ne_u64_e32 vcc, 0, v[2:3]
                                        ; implicit-def: $vgpr4_vgpr5
	s_and_saveexec_b64 s[0:1], vcc
	s_xor_b64 s[24:25], exec, s[0:1]
	s_cbranch_execz .LBB36_5
; %bb.4:                                ;   in Loop: Header=BB36_3 Depth=1
	s_add_u32 s0, s33, s38
	s_mov_b32 s26, s38
	s_mov_b32 s27, s38
	s_addc_u32 s1, s38, s38
	s_xor_b64 s[28:29], s[0:1], s[26:27]
	v_cvt_f32_u32_e32 v3, s28
	v_cvt_f32_u32_e32 v4, s29
	s_sub_u32 s0, 0, s28
	s_subb_u32 s1, 0, s29
	v_mac_f32_e32 v3, 0x4f800000, v4
	v_rcp_f32_e32 v3, v3
	v_mul_f32_e32 v3, 0x5f7ffffc, v3
	v_mul_f32_e32 v4, 0x2f800000, v3
	v_trunc_f32_e32 v4, v4
	v_mac_f32_e32 v3, 0xcf800000, v4
	v_cvt_u32_f32_e32 v4, v4
	v_cvt_u32_f32_e32 v3, v3
	v_mul_lo_u32 v5, s0, v4
	v_mul_hi_u32 v7, s0, v3
	v_mul_lo_u32 v6, s1, v3
	v_add_u32_e32 v5, v7, v5
	v_mul_lo_u32 v8, s0, v3
	v_add_u32_e32 v5, v5, v6
	v_mul_lo_u32 v7, v3, v5
	v_mul_hi_u32 v9, v3, v8
	v_mul_hi_u32 v6, v3, v5
	v_add_co_u32_e32 v7, vcc, v9, v7
	v_addc_co_u32_e32 v6, vcc, 0, v6, vcc
	v_mul_hi_u32 v10, v4, v8
	v_mul_lo_u32 v8, v4, v8
	v_add_co_u32_e32 v7, vcc, v7, v8
	v_mul_hi_u32 v9, v4, v5
	v_addc_co_u32_e32 v6, vcc, v6, v10, vcc
	v_addc_co_u32_e32 v7, vcc, 0, v9, vcc
	v_mul_lo_u32 v5, v4, v5
	v_add_co_u32_e32 v5, vcc, v6, v5
	v_addc_co_u32_e32 v6, vcc, 0, v7, vcc
	v_add_co_u32_e32 v3, vcc, v3, v5
	v_addc_co_u32_e32 v4, vcc, v4, v6, vcc
	v_mul_lo_u32 v5, s0, v4
	v_mul_hi_u32 v6, s0, v3
	v_add_u32_e32 v5, v6, v5
	v_mul_lo_u32 v6, s1, v3
	v_add_u32_e32 v5, v5, v6
	v_mul_lo_u32 v7, s0, v3
	v_mul_hi_u32 v8, v4, v7
	v_mul_lo_u32 v9, v4, v7
	v_mul_lo_u32 v11, v3, v5
	v_mul_hi_u32 v7, v3, v7
	v_mul_hi_u32 v10, v3, v5
	v_add_co_u32_e32 v7, vcc, v7, v11
	v_addc_co_u32_e32 v10, vcc, 0, v10, vcc
	v_add_co_u32_e32 v7, vcc, v7, v9
	v_mul_hi_u32 v6, v4, v5
	v_addc_co_u32_e32 v7, vcc, v10, v8, vcc
	v_addc_co_u32_e32 v6, vcc, 0, v6, vcc
	v_mul_lo_u32 v5, v4, v5
	v_add_co_u32_e32 v5, vcc, v7, v5
	v_addc_co_u32_e32 v6, vcc, 0, v6, vcc
	v_add_co_u32_e32 v3, vcc, v3, v5
	v_addc_co_u32_e32 v6, vcc, v4, v6, vcc
	v_ashrrev_i32_e32 v8, 31, v1
	v_add_co_u32_e32 v4, vcc, v0, v8
	v_addc_co_u32_e32 v5, vcc, v1, v8, vcc
	v_xor_b32_e32 v10, v4, v8
	v_xor_b32_e32 v9, v5, v8
	v_mad_u64_u32 v[4:5], s[0:1], v10, v6, 0
	v_mul_hi_u32 v7, v10, v3
	v_add_co_u32_e32 v11, vcc, v7, v4
	v_addc_co_u32_e32 v12, vcc, 0, v5, vcc
	v_mad_u64_u32 v[4:5], s[0:1], v9, v6, 0
	v_mad_u64_u32 v[6:7], s[0:1], v9, v3, 0
	v_add_co_u32_e32 v3, vcc, v11, v6
	v_addc_co_u32_e32 v3, vcc, v12, v7, vcc
	v_addc_co_u32_e32 v5, vcc, 0, v5, vcc
	v_add_co_u32_e32 v3, vcc, v3, v4
	v_addc_co_u32_e32 v6, vcc, 0, v5, vcc
	v_mul_lo_u32 v7, s29, v3
	v_mul_lo_u32 v11, s28, v6
	v_mad_u64_u32 v[4:5], s[0:1], s28, v3, 0
	v_add3_u32 v5, v5, v11, v7
	v_sub_u32_e32 v7, v9, v5
	v_mov_b32_e32 v11, s29
	v_sub_co_u32_e32 v4, vcc, v10, v4
	v_subb_co_u32_e64 v7, s[0:1], v7, v11, vcc
	v_subrev_co_u32_e64 v10, s[0:1], s28, v4
	v_subbrev_co_u32_e64 v7, s[0:1], 0, v7, s[0:1]
	v_cmp_le_u32_e64 s[0:1], s29, v7
	v_cndmask_b32_e64 v11, 0, -1, s[0:1]
	v_cmp_le_u32_e64 s[0:1], s28, v10
	v_cndmask_b32_e64 v10, 0, -1, s[0:1]
	v_cmp_eq_u32_e64 s[0:1], s29, v7
	v_cndmask_b32_e64 v7, v11, v10, s[0:1]
	v_add_co_u32_e64 v10, s[0:1], 2, v3
	v_subb_co_u32_e32 v5, vcc, v9, v5, vcc
	v_addc_co_u32_e64 v11, s[0:1], 0, v6, s[0:1]
	v_cmp_le_u32_e32 vcc, s29, v5
	v_add_co_u32_e64 v12, s[0:1], 1, v3
	v_cndmask_b32_e64 v9, 0, -1, vcc
	v_cmp_le_u32_e32 vcc, s28, v4
	v_addc_co_u32_e64 v13, s[0:1], 0, v6, s[0:1]
	v_cndmask_b32_e64 v4, 0, -1, vcc
	v_cmp_eq_u32_e32 vcc, s29, v5
	v_cmp_ne_u32_e64 s[0:1], 0, v7
	v_cndmask_b32_e32 v4, v9, v4, vcc
	v_cndmask_b32_e64 v7, v13, v11, s[0:1]
	v_cmp_ne_u32_e32 vcc, 0, v4
	v_cndmask_b32_e64 v5, v12, v10, s[0:1]
	v_cndmask_b32_e32 v4, v6, v7, vcc
	v_cndmask_b32_e32 v3, v3, v5, vcc
	v_xor_b32_e32 v6, s26, v8
	v_xor_b32_e32 v5, s27, v8
	;; [unrolled: 1-line block ×4, first 2 shown]
	v_sub_co_u32_e32 v4, vcc, v3, v6
	v_subb_co_u32_e32 v5, vcc, v7, v5, vcc
.LBB36_5:                               ;   in Loop: Header=BB36_3 Depth=1
	s_andn2_saveexec_b64 s[0:1], s[24:25]
	s_cbranch_execz .LBB36_7
; %bb.6:                                ;   in Loop: Header=BB36_3 Depth=1
	s_sub_i32 s16, 0, s33
	v_mul_lo_u32 v3, s16, v26
	v_mul_hi_u32 v3, v26, v3
	v_add_u32_e32 v3, v26, v3
	v_mul_hi_u32 v3, v0, v3
	v_mul_lo_u32 v4, v3, s33
	v_sub_u32_e32 v4, v0, v4
	v_subrev_u32_e32 v5, s33, v4
	v_cmp_le_u32_e32 vcc, s33, v4
	v_cndmask_b32_e32 v4, v4, v5, vcc
	v_add_u32_e32 v5, 1, v3
	v_cndmask_b32_e32 v3, v3, v5, vcc
	v_add_u32_e32 v5, 1, v3
	v_cmp_le_u32_e32 vcc, s33, v4
	v_cndmask_b32_e32 v4, v3, v5, vcc
	v_mov_b32_e32 v5, v2
.LBB36_7:                               ;   in Loop: Header=BB36_3 Depth=1
	s_or_b64 exec, exec, s[0:1]
	v_or_b32_e32 v3, s42, v5
	v_cmp_ne_u64_e32 vcc, 0, v[2:3]
                                        ; implicit-def: $vgpr8_vgpr9
	s_and_saveexec_b64 s[0:1], vcc
	s_xor_b64 s[24:25], exec, s[0:1]
	s_cbranch_execz .LBB36_9
; %bb.8:                                ;   in Loop: Header=BB36_3 Depth=1
	s_add_u32 s0, s41, s42
	s_mov_b32 s26, s42
	s_mov_b32 s27, s42
	s_addc_u32 s1, s42, s42
	s_xor_b64 s[28:29], s[0:1], s[26:27]
	v_cvt_f32_u32_e32 v3, s28
	v_cvt_f32_u32_e32 v6, s29
	s_sub_u32 s0, 0, s28
	s_subb_u32 s1, 0, s29
	v_mac_f32_e32 v3, 0x4f800000, v6
	v_rcp_f32_e32 v3, v3
	v_mul_f32_e32 v3, 0x5f7ffffc, v3
	v_mul_f32_e32 v6, 0x2f800000, v3
	v_trunc_f32_e32 v6, v6
	v_mac_f32_e32 v3, 0xcf800000, v6
	v_cvt_u32_f32_e32 v6, v6
	v_cvt_u32_f32_e32 v3, v3
	v_mul_lo_u32 v7, s0, v6
	v_mul_hi_u32 v9, s0, v3
	v_mul_lo_u32 v8, s1, v3
	v_add_u32_e32 v7, v9, v7
	v_mul_lo_u32 v10, s0, v3
	v_add_u32_e32 v7, v7, v8
	v_mul_lo_u32 v9, v3, v7
	v_mul_hi_u32 v11, v3, v10
	v_mul_hi_u32 v8, v3, v7
	v_add_co_u32_e32 v9, vcc, v11, v9
	v_addc_co_u32_e32 v8, vcc, 0, v8, vcc
	v_mul_hi_u32 v12, v6, v10
	v_mul_lo_u32 v10, v6, v10
	v_add_co_u32_e32 v9, vcc, v9, v10
	v_mul_hi_u32 v11, v6, v7
	v_addc_co_u32_e32 v8, vcc, v8, v12, vcc
	v_addc_co_u32_e32 v9, vcc, 0, v11, vcc
	v_mul_lo_u32 v7, v6, v7
	v_add_co_u32_e32 v7, vcc, v8, v7
	v_addc_co_u32_e32 v8, vcc, 0, v9, vcc
	v_add_co_u32_e32 v3, vcc, v3, v7
	v_addc_co_u32_e32 v6, vcc, v6, v8, vcc
	v_mul_lo_u32 v7, s0, v6
	v_mul_hi_u32 v8, s0, v3
	v_add_u32_e32 v7, v8, v7
	v_mul_lo_u32 v8, s1, v3
	v_add_u32_e32 v7, v7, v8
	v_mul_lo_u32 v9, s0, v3
	v_mul_hi_u32 v10, v6, v9
	v_mul_lo_u32 v11, v6, v9
	v_mul_lo_u32 v13, v3, v7
	v_mul_hi_u32 v9, v3, v9
	v_mul_hi_u32 v12, v3, v7
	v_add_co_u32_e32 v9, vcc, v9, v13
	v_addc_co_u32_e32 v12, vcc, 0, v12, vcc
	v_add_co_u32_e32 v9, vcc, v9, v11
	v_mul_hi_u32 v8, v6, v7
	v_addc_co_u32_e32 v9, vcc, v12, v10, vcc
	v_addc_co_u32_e32 v8, vcc, 0, v8, vcc
	v_mul_lo_u32 v7, v6, v7
	v_add_co_u32_e32 v7, vcc, v9, v7
	v_addc_co_u32_e32 v8, vcc, 0, v8, vcc
	v_add_co_u32_e32 v3, vcc, v3, v7
	v_addc_co_u32_e32 v8, vcc, v6, v8, vcc
	v_ashrrev_i32_e32 v10, 31, v5
	v_add_co_u32_e32 v6, vcc, v4, v10
	v_xor_b32_e32 v11, v6, v10
	v_addc_co_u32_e32 v5, vcc, v5, v10, vcc
	v_mad_u64_u32 v[6:7], s[0:1], v11, v8, 0
	v_mul_hi_u32 v9, v11, v3
	v_xor_b32_e32 v5, v5, v10
	v_add_co_u32_e32 v12, vcc, v9, v6
	v_addc_co_u32_e32 v13, vcc, 0, v7, vcc
	v_mad_u64_u32 v[6:7], s[0:1], v5, v8, 0
	v_mad_u64_u32 v[8:9], s[0:1], v5, v3, 0
	v_add_co_u32_e32 v3, vcc, v12, v8
	v_addc_co_u32_e32 v3, vcc, v13, v9, vcc
	v_addc_co_u32_e32 v7, vcc, 0, v7, vcc
	v_add_co_u32_e32 v3, vcc, v3, v6
	v_addc_co_u32_e32 v8, vcc, 0, v7, vcc
	v_mul_lo_u32 v9, s29, v3
	v_mul_lo_u32 v12, s28, v8
	v_mad_u64_u32 v[6:7], s[0:1], s28, v3, 0
	v_add3_u32 v7, v7, v12, v9
	v_sub_u32_e32 v9, v5, v7
	v_mov_b32_e32 v12, s29
	v_sub_co_u32_e32 v6, vcc, v11, v6
	v_subb_co_u32_e64 v9, s[0:1], v9, v12, vcc
	v_subrev_co_u32_e64 v11, s[0:1], s28, v6
	v_subbrev_co_u32_e64 v9, s[0:1], 0, v9, s[0:1]
	v_cmp_le_u32_e64 s[0:1], s29, v9
	v_cndmask_b32_e64 v12, 0, -1, s[0:1]
	v_cmp_le_u32_e64 s[0:1], s28, v11
	v_cndmask_b32_e64 v11, 0, -1, s[0:1]
	v_cmp_eq_u32_e64 s[0:1], s29, v9
	v_cndmask_b32_e64 v9, v12, v11, s[0:1]
	v_add_co_u32_e64 v11, s[0:1], 2, v3
	v_subb_co_u32_e32 v5, vcc, v5, v7, vcc
	v_addc_co_u32_e64 v12, s[0:1], 0, v8, s[0:1]
	v_cmp_le_u32_e32 vcc, s29, v5
	v_add_co_u32_e64 v13, s[0:1], 1, v3
	v_cndmask_b32_e64 v7, 0, -1, vcc
	v_cmp_le_u32_e32 vcc, s28, v6
	v_addc_co_u32_e64 v14, s[0:1], 0, v8, s[0:1]
	v_cndmask_b32_e64 v6, 0, -1, vcc
	v_cmp_eq_u32_e32 vcc, s29, v5
	v_cmp_ne_u32_e64 s[0:1], 0, v9
	v_cndmask_b32_e32 v5, v7, v6, vcc
	v_cmp_ne_u32_e32 vcc, 0, v5
	v_cndmask_b32_e64 v6, v13, v11, s[0:1]
	v_cndmask_b32_e64 v9, v14, v12, s[0:1]
	v_cndmask_b32_e32 v3, v3, v6, vcc
	v_xor_b32_e32 v7, s26, v10
	v_cndmask_b32_e32 v5, v8, v9, vcc
	v_xor_b32_e32 v6, s27, v10
	v_xor_b32_e32 v3, v3, v7
	;; [unrolled: 1-line block ×3, first 2 shown]
	v_sub_co_u32_e32 v8, vcc, v3, v7
	v_subb_co_u32_e32 v9, vcc, v5, v6, vcc
.LBB36_9:                               ;   in Loop: Header=BB36_3 Depth=1
	s_andn2_saveexec_b64 s[0:1], s[24:25]
	s_cbranch_execz .LBB36_11
; %bb.10:                               ;   in Loop: Header=BB36_3 Depth=1
	v_cvt_f32_u32_e32 v3, s41
	s_sub_i32 s16, 0, s41
	v_mov_b32_e32 v9, v2
	v_rcp_iflag_f32_e32 v3, v3
	v_mul_f32_e32 v3, 0x4f7ffffe, v3
	v_cvt_u32_f32_e32 v3, v3
	v_mul_lo_u32 v5, s16, v3
	v_mul_hi_u32 v5, v3, v5
	v_add_u32_e32 v3, v3, v5
	v_mul_hi_u32 v3, v4, v3
	v_mul_lo_u32 v5, v3, s41
	v_sub_u32_e32 v5, v4, v5
	v_add_u32_e32 v6, 1, v3
	v_subrev_u32_e32 v7, s41, v5
	v_cmp_le_u32_e32 vcc, s41, v5
	v_cndmask_b32_e32 v5, v5, v7, vcc
	v_cndmask_b32_e32 v3, v3, v6, vcc
	v_add_u32_e32 v6, 1, v3
	v_cmp_le_u32_e32 vcc, s41, v5
	v_cndmask_b32_e32 v8, v3, v6, vcc
.LBB36_11:                              ;   in Loop: Header=BB36_3 Depth=1
	s_or_b64 exec, exec, s[0:1]
	v_mad_u64_u32 v[6:7], s[0:1], v4, s33, 0
	v_sub_co_u32_e32 v28, vcc, v0, v6
	v_mad_u64_u32 v[6:7], s[0:1], v8, s41, 0
	v_sub_co_u32_e32 v27, vcc, v4, v6
	v_sub_u32_e32 v4, v28, v27
	v_add_u32_e32 v6, 2, v4
	v_ashrrev_i32_e32 v7, 31, v6
	v_cmp_lt_i64_e32 vcc, s[8:9], v[6:7]
	s_and_saveexec_b64 s[24:25], vcc
	s_cbranch_execz .LBB36_2
; %bb.12:                               ;   in Loop: Header=BB36_3 Depth=1
	s_load_dword s49, s[4:5], 0x0
	s_load_dword s0, s[12:13], 0x0
	s_andn2_b64 vcc, exec, s[6:7]
	s_waitcnt lgkmcnt(0)
	v_mul_lo_u32 v6, s49, v28
	v_mad_u64_u32 v[6:7], s[0:1], s0, v27, v[6:7]
	s_cbranch_vccnz .LBB36_57
; %bb.13:                               ;   in Loop: Header=BB36_3 Depth=1
	s_andn2_b64 vcc, exec, s[18:19]
	s_cbranch_vccnz .LBB36_20
; %bb.14:                               ;   in Loop: Header=BB36_3 Depth=1
	s_mov_b32 s36, s48
	s_mov_b32 s16, s45
	s_branch .LBB36_16
.LBB36_15:                              ;   in Loop: Header=BB36_16 Depth=2
	s_or_b64 exec, exec, s[0:1]
	s_add_u32 s0, s43, s26
	s_addc_u32 s1, s44, s27
	s_load_dword s0, s[0:1], 0x0
	v_mul_lo_u32 v3, v8, s37
	v_sub_u32_e32 v3, v10, v3
	s_add_i32 s16, s16, -1
	s_add_i32 s36, s36, -1
	s_cmp_lg_u32 s36, 0
	s_waitcnt lgkmcnt(0)
	v_mad_u64_u32 v[6:7], s[0:1], s0, v3, v[6:7]
	s_cbranch_scc0 .LBB36_21
.LBB36_16:                              ;   Parent Loop BB36_3 Depth=1
                                        ; =>  This Inner Loop Header: Depth=2
	s_lshl_b64 s[26:27], s[16:17], 2
	s_add_u32 s0, s39, s26
	s_addc_u32 s1, s40, s27
	s_load_dword s37, s[0:1], 0x0
	v_pk_mov_b32 v[10:11], v[8:9], v[8:9] op_sel:[0,1]
                                        ; implicit-def: $vgpr8_vgpr9
	s_waitcnt lgkmcnt(0)
	s_ashr_i32 s0, s37, 31
	v_or_b32_e32 v3, s0, v11
	v_cmp_ne_u64_e32 vcc, 0, v[2:3]
	s_and_saveexec_b64 s[28:29], vcc
	s_xor_b64 s[28:29], exec, s[28:29]
	s_cbranch_execz .LBB36_18
; %bb.17:                               ;   in Loop: Header=BB36_16 Depth=2
	s_add_u32 s34, s37, s0
	s_mov_b32 s30, s0
	s_mov_b32 s31, s0
	s_addc_u32 s35, s0, s0
	s_xor_b64 s[34:35], s[34:35], s[30:31]
	v_cvt_f32_u32_e32 v3, s34
	v_cvt_f32_u32_e32 v5, s35
	s_sub_u32 s0, 0, s34
	s_subb_u32 s1, 0, s35
	v_mac_f32_e32 v3, 0x4f800000, v5
	v_rcp_f32_e32 v3, v3
	v_mul_f32_e32 v3, 0x5f7ffffc, v3
	v_mul_f32_e32 v5, 0x2f800000, v3
	v_trunc_f32_e32 v5, v5
	v_mac_f32_e32 v3, 0xcf800000, v5
	v_cvt_u32_f32_e32 v5, v5
	v_cvt_u32_f32_e32 v3, v3
	v_mul_lo_u32 v7, s0, v5
	v_mul_hi_u32 v9, s0, v3
	v_mul_lo_u32 v8, s1, v3
	v_add_u32_e32 v7, v9, v7
	v_mul_lo_u32 v12, s0, v3
	v_add_u32_e32 v7, v7, v8
	v_mul_lo_u32 v9, v3, v7
	v_mul_hi_u32 v13, v3, v12
	v_mul_hi_u32 v8, v3, v7
	v_add_co_u32_e32 v9, vcc, v13, v9
	v_addc_co_u32_e32 v8, vcc, 0, v8, vcc
	v_mul_hi_u32 v14, v5, v12
	v_mul_lo_u32 v12, v5, v12
	v_add_co_u32_e32 v9, vcc, v9, v12
	v_mul_hi_u32 v13, v5, v7
	v_addc_co_u32_e32 v8, vcc, v8, v14, vcc
	v_addc_co_u32_e32 v9, vcc, 0, v13, vcc
	v_mul_lo_u32 v7, v5, v7
	v_add_co_u32_e32 v7, vcc, v8, v7
	v_addc_co_u32_e32 v8, vcc, 0, v9, vcc
	v_add_co_u32_e32 v3, vcc, v3, v7
	v_addc_co_u32_e32 v5, vcc, v5, v8, vcc
	v_mul_lo_u32 v7, s0, v5
	v_mul_hi_u32 v8, s0, v3
	v_add_u32_e32 v7, v8, v7
	v_mul_lo_u32 v8, s1, v3
	v_add_u32_e32 v7, v7, v8
	v_mul_lo_u32 v9, s0, v3
	v_mul_hi_u32 v12, v5, v9
	v_mul_lo_u32 v13, v5, v9
	v_mul_lo_u32 v15, v3, v7
	v_mul_hi_u32 v9, v3, v9
	v_mul_hi_u32 v14, v3, v7
	v_add_co_u32_e32 v9, vcc, v9, v15
	v_addc_co_u32_e32 v14, vcc, 0, v14, vcc
	v_add_co_u32_e32 v9, vcc, v9, v13
	v_mul_hi_u32 v8, v5, v7
	v_addc_co_u32_e32 v9, vcc, v14, v12, vcc
	v_addc_co_u32_e32 v8, vcc, 0, v8, vcc
	v_mul_lo_u32 v7, v5, v7
	v_add_co_u32_e32 v7, vcc, v9, v7
	v_addc_co_u32_e32 v8, vcc, 0, v8, vcc
	v_add_co_u32_e32 v3, vcc, v3, v7
	v_addc_co_u32_e32 v5, vcc, v5, v8, vcc
	v_ashrrev_i32_e32 v7, 31, v11
	v_add_co_u32_e32 v8, vcc, v10, v7
	v_addc_co_u32_e32 v9, vcc, v11, v7, vcc
	v_xor_b32_e32 v14, v8, v7
	v_xor_b32_e32 v11, v9, v7
	v_mad_u64_u32 v[8:9], s[0:1], v14, v5, 0
	v_mul_hi_u32 v12, v14, v3
	v_add_co_u32_e32 v15, vcc, v12, v8
	v_addc_co_u32_e32 v16, vcc, 0, v9, vcc
	v_mad_u64_u32 v[12:13], s[0:1], v11, v3, 0
	v_add_co_u32_e32 v3, vcc, v15, v12
	v_mad_u64_u32 v[8:9], s[0:1], v11, v5, 0
	v_addc_co_u32_e32 v3, vcc, v16, v13, vcc
	v_addc_co_u32_e32 v5, vcc, 0, v9, vcc
	v_add_co_u32_e32 v3, vcc, v3, v8
	v_addc_co_u32_e32 v5, vcc, 0, v5, vcc
	v_mul_lo_u32 v12, s35, v3
	v_mul_lo_u32 v13, s34, v5
	v_mad_u64_u32 v[8:9], s[0:1], s34, v3, 0
	v_add3_u32 v9, v9, v13, v12
	v_sub_u32_e32 v12, v11, v9
	v_mov_b32_e32 v13, s35
	v_sub_co_u32_e32 v8, vcc, v14, v8
	v_subb_co_u32_e64 v12, s[0:1], v12, v13, vcc
	v_subrev_co_u32_e64 v13, s[0:1], s34, v8
	v_subbrev_co_u32_e64 v12, s[0:1], 0, v12, s[0:1]
	v_cmp_le_u32_e64 s[0:1], s35, v12
	v_cndmask_b32_e64 v14, 0, -1, s[0:1]
	v_cmp_le_u32_e64 s[0:1], s34, v13
	v_cndmask_b32_e64 v13, 0, -1, s[0:1]
	v_cmp_eq_u32_e64 s[0:1], s35, v12
	v_cndmask_b32_e64 v12, v14, v13, s[0:1]
	v_add_co_u32_e64 v13, s[0:1], 2, v3
	v_subb_co_u32_e32 v9, vcc, v11, v9, vcc
	v_addc_co_u32_e64 v14, s[0:1], 0, v5, s[0:1]
	v_cmp_le_u32_e32 vcc, s35, v9
	v_add_co_u32_e64 v15, s[0:1], 1, v3
	v_cndmask_b32_e64 v11, 0, -1, vcc
	v_cmp_le_u32_e32 vcc, s34, v8
	v_addc_co_u32_e64 v16, s[0:1], 0, v5, s[0:1]
	v_cndmask_b32_e64 v8, 0, -1, vcc
	v_cmp_eq_u32_e32 vcc, s35, v9
	v_cmp_ne_u32_e64 s[0:1], 0, v12
	v_cndmask_b32_e32 v8, v11, v8, vcc
	v_cmp_ne_u32_e32 vcc, 0, v8
	v_cndmask_b32_e64 v8, v15, v13, s[0:1]
	v_cndmask_b32_e64 v12, v16, v14, s[0:1]
	v_cndmask_b32_e32 v3, v3, v8, vcc
	v_xor_b32_e32 v9, s31, v7
	v_xor_b32_e32 v7, s30, v7
	v_cndmask_b32_e32 v5, v5, v12, vcc
	v_xor_b32_e32 v3, v3, v7
	v_xor_b32_e32 v5, v5, v9
	v_sub_co_u32_e32 v8, vcc, v3, v7
	v_subb_co_u32_e32 v9, vcc, v5, v9, vcc
.LBB36_18:                              ;   in Loop: Header=BB36_16 Depth=2
	s_andn2_saveexec_b64 s[0:1], s[28:29]
	s_cbranch_execz .LBB36_15
; %bb.19:                               ;   in Loop: Header=BB36_16 Depth=2
	v_cvt_f32_u32_e32 v3, s37
	s_sub_i32 s28, 0, s37
	v_mov_b32_e32 v9, v2
	v_rcp_iflag_f32_e32 v3, v3
	v_mul_f32_e32 v3, 0x4f7ffffe, v3
	v_cvt_u32_f32_e32 v3, v3
	v_mul_lo_u32 v5, s28, v3
	v_mul_hi_u32 v5, v3, v5
	v_add_u32_e32 v3, v3, v5
	v_mul_hi_u32 v3, v10, v3
	v_mul_lo_u32 v5, v3, s37
	v_sub_u32_e32 v5, v10, v5
	v_add_u32_e32 v7, 1, v3
	v_subrev_u32_e32 v8, s37, v5
	v_cmp_le_u32_e32 vcc, s37, v5
	v_cndmask_b32_e32 v5, v5, v8, vcc
	v_cndmask_b32_e32 v3, v3, v7, vcc
	v_add_u32_e32 v7, 1, v3
	v_cmp_le_u32_e32 vcc, s37, v5
	v_cndmask_b32_e32 v8, v3, v7, vcc
	s_branch .LBB36_15
.LBB36_20:                              ;   in Loop: Header=BB36_3 Depth=1
	s_mov_b32 s16, s45
.LBB36_21:                              ;   in Loop: Header=BB36_3 Depth=1
	s_andn2_b64 vcc, exec, s[20:21]
	s_cbranch_vccnz .LBB36_57
; %bb.22:                               ;   in Loop: Header=BB36_3 Depth=1
	s_add_i32 s26, s16, -7
.LBB36_23:                              ;   Parent Loop BB36_3 Depth=1
                                        ; =>  This Inner Loop Header: Depth=2
	s_add_i32 s16, s26, 7
	s_lshl_b64 s[28:29], s[16:17], 2
	s_add_u32 s0, s39, s28
	s_addc_u32 s1, s40, s29
	s_load_dword s50, s[0:1], 0x0
                                        ; implicit-def: $vgpr10_vgpr11
	s_waitcnt lgkmcnt(0)
	s_ashr_i32 s0, s50, 31
	v_or_b32_e32 v3, s0, v9
	v_cmp_ne_u64_e32 vcc, 0, v[2:3]
	s_and_saveexec_b64 s[30:31], vcc
	s_xor_b64 s[30:31], exec, s[30:31]
	s_cbranch_execz .LBB36_25
; %bb.24:                               ;   in Loop: Header=BB36_23 Depth=2
	s_add_u32 s36, s50, s0
	s_mov_b32 s34, s0
	s_mov_b32 s35, s0
	s_addc_u32 s37, s0, s0
	s_xor_b64 s[36:37], s[36:37], s[34:35]
	v_cvt_f32_u32_e32 v3, s36
	v_cvt_f32_u32_e32 v5, s37
	s_sub_u32 s0, 0, s36
	s_subb_u32 s1, 0, s37
	v_mac_f32_e32 v3, 0x4f800000, v5
	v_rcp_f32_e32 v3, v3
	v_mul_f32_e32 v3, 0x5f7ffffc, v3
	v_mul_f32_e32 v5, 0x2f800000, v3
	v_trunc_f32_e32 v5, v5
	v_mac_f32_e32 v3, 0xcf800000, v5
	v_cvt_u32_f32_e32 v5, v5
	v_cvt_u32_f32_e32 v3, v3
	v_mul_lo_u32 v7, s0, v5
	v_mul_hi_u32 v11, s0, v3
	v_mul_lo_u32 v10, s1, v3
	v_add_u32_e32 v7, v11, v7
	v_mul_lo_u32 v12, s0, v3
	v_add_u32_e32 v7, v7, v10
	v_mul_lo_u32 v11, v3, v7
	v_mul_hi_u32 v13, v3, v12
	v_mul_hi_u32 v10, v3, v7
	v_add_co_u32_e32 v11, vcc, v13, v11
	v_addc_co_u32_e32 v10, vcc, 0, v10, vcc
	v_mul_hi_u32 v14, v5, v12
	v_mul_lo_u32 v12, v5, v12
	v_add_co_u32_e32 v11, vcc, v11, v12
	v_mul_hi_u32 v13, v5, v7
	v_addc_co_u32_e32 v10, vcc, v10, v14, vcc
	v_addc_co_u32_e32 v11, vcc, 0, v13, vcc
	v_mul_lo_u32 v7, v5, v7
	v_add_co_u32_e32 v7, vcc, v10, v7
	v_addc_co_u32_e32 v10, vcc, 0, v11, vcc
	v_add_co_u32_e32 v3, vcc, v3, v7
	v_addc_co_u32_e32 v5, vcc, v5, v10, vcc
	v_mul_lo_u32 v7, s0, v5
	v_mul_hi_u32 v10, s0, v3
	v_add_u32_e32 v7, v10, v7
	v_mul_lo_u32 v10, s1, v3
	v_add_u32_e32 v7, v7, v10
	v_mul_lo_u32 v11, s0, v3
	v_mul_hi_u32 v12, v5, v11
	v_mul_lo_u32 v13, v5, v11
	v_mul_lo_u32 v15, v3, v7
	v_mul_hi_u32 v11, v3, v11
	v_mul_hi_u32 v14, v3, v7
	v_add_co_u32_e32 v11, vcc, v11, v15
	v_addc_co_u32_e32 v14, vcc, 0, v14, vcc
	v_add_co_u32_e32 v11, vcc, v11, v13
	v_mul_hi_u32 v10, v5, v7
	v_addc_co_u32_e32 v11, vcc, v14, v12, vcc
	v_addc_co_u32_e32 v10, vcc, 0, v10, vcc
	v_mul_lo_u32 v7, v5, v7
	v_add_co_u32_e32 v7, vcc, v11, v7
	v_addc_co_u32_e32 v10, vcc, 0, v10, vcc
	v_add_co_u32_e32 v3, vcc, v3, v7
	v_addc_co_u32_e32 v5, vcc, v5, v10, vcc
	v_ashrrev_i32_e32 v7, 31, v9
	v_add_co_u32_e32 v10, vcc, v8, v7
	v_xor_b32_e32 v14, v10, v7
	v_addc_co_u32_e32 v9, vcc, v9, v7, vcc
	v_mad_u64_u32 v[10:11], s[0:1], v14, v5, 0
	v_mul_hi_u32 v12, v14, v3
	v_xor_b32_e32 v9, v9, v7
	v_add_co_u32_e32 v15, vcc, v12, v10
	v_addc_co_u32_e32 v16, vcc, 0, v11, vcc
	v_mad_u64_u32 v[12:13], s[0:1], v9, v3, 0
	v_add_co_u32_e32 v3, vcc, v15, v12
	v_mad_u64_u32 v[10:11], s[0:1], v9, v5, 0
	v_addc_co_u32_e32 v3, vcc, v16, v13, vcc
	v_addc_co_u32_e32 v5, vcc, 0, v11, vcc
	v_add_co_u32_e32 v3, vcc, v3, v10
	v_addc_co_u32_e32 v5, vcc, 0, v5, vcc
	v_mul_lo_u32 v12, s37, v3
	v_mul_lo_u32 v13, s36, v5
	v_mad_u64_u32 v[10:11], s[0:1], s36, v3, 0
	v_add3_u32 v11, v11, v13, v12
	v_sub_u32_e32 v12, v9, v11
	v_mov_b32_e32 v13, s37
	v_sub_co_u32_e32 v10, vcc, v14, v10
	v_subb_co_u32_e64 v12, s[0:1], v12, v13, vcc
	v_subrev_co_u32_e64 v13, s[0:1], s36, v10
	v_subbrev_co_u32_e64 v12, s[0:1], 0, v12, s[0:1]
	v_cmp_le_u32_e64 s[0:1], s37, v12
	v_cndmask_b32_e64 v14, 0, -1, s[0:1]
	v_cmp_le_u32_e64 s[0:1], s36, v13
	v_cndmask_b32_e64 v13, 0, -1, s[0:1]
	v_cmp_eq_u32_e64 s[0:1], s37, v12
	v_cndmask_b32_e64 v12, v14, v13, s[0:1]
	v_add_co_u32_e64 v13, s[0:1], 2, v3
	v_subb_co_u32_e32 v9, vcc, v9, v11, vcc
	v_addc_co_u32_e64 v14, s[0:1], 0, v5, s[0:1]
	v_cmp_le_u32_e32 vcc, s37, v9
	v_add_co_u32_e64 v15, s[0:1], 1, v3
	v_cndmask_b32_e64 v11, 0, -1, vcc
	v_cmp_le_u32_e32 vcc, s36, v10
	v_addc_co_u32_e64 v16, s[0:1], 0, v5, s[0:1]
	v_cndmask_b32_e64 v10, 0, -1, vcc
	v_cmp_eq_u32_e32 vcc, s37, v9
	v_cmp_ne_u32_e64 s[0:1], 0, v12
	v_cndmask_b32_e32 v9, v11, v10, vcc
	v_cmp_ne_u32_e32 vcc, 0, v9
	v_cndmask_b32_e64 v9, v15, v13, s[0:1]
	v_cndmask_b32_e64 v12, v16, v14, s[0:1]
	v_cndmask_b32_e32 v3, v3, v9, vcc
	v_xor_b32_e32 v9, s35, v7
	v_xor_b32_e32 v7, s34, v7
	v_cndmask_b32_e32 v5, v5, v12, vcc
	v_xor_b32_e32 v3, v3, v7
	v_xor_b32_e32 v5, v5, v9
	v_sub_co_u32_e32 v10, vcc, v3, v7
	v_subb_co_u32_e32 v11, vcc, v5, v9, vcc
.LBB36_25:                              ;   in Loop: Header=BB36_23 Depth=2
	s_andn2_saveexec_b64 s[0:1], s[30:31]
	s_cbranch_execz .LBB36_27
; %bb.26:                               ;   in Loop: Header=BB36_23 Depth=2
	v_cvt_f32_u32_e32 v3, s50
	s_sub_i32 s16, 0, s50
	v_mov_b32_e32 v11, v2
	v_rcp_iflag_f32_e32 v3, v3
	v_mul_f32_e32 v3, 0x4f7ffffe, v3
	v_cvt_u32_f32_e32 v3, v3
	v_mul_lo_u32 v5, s16, v3
	v_mul_hi_u32 v5, v3, v5
	v_add_u32_e32 v3, v3, v5
	v_mul_hi_u32 v3, v8, v3
	v_mul_lo_u32 v5, v3, s50
	v_sub_u32_e32 v5, v8, v5
	v_add_u32_e32 v7, 1, v3
	v_subrev_u32_e32 v9, s50, v5
	v_cmp_le_u32_e32 vcc, s50, v5
	v_cndmask_b32_e32 v5, v5, v9, vcc
	v_cndmask_b32_e32 v3, v3, v7, vcc
	v_add_u32_e32 v7, 1, v3
	v_cmp_le_u32_e32 vcc, s50, v5
	v_cndmask_b32_e32 v10, v3, v7, vcc
.LBB36_27:                              ;   in Loop: Header=BB36_23 Depth=2
	s_or_b64 exec, exec, s[0:1]
	s_add_u32 s0, s43, s28
	s_addc_u32 s1, s44, s29
	s_add_i32 s16, s26, 6
	s_lshl_b64 s[28:29], s[16:17], 2
	s_add_u32 s30, s39, s28
	s_addc_u32 s31, s40, s29
	s_load_dword s51, s[30:31], 0x0
	s_load_dword s52, s[0:1], 0x0
                                        ; implicit-def: $vgpr12_vgpr13
	s_waitcnt lgkmcnt(0)
	s_ashr_i32 s0, s51, 31
	v_or_b32_e32 v3, s0, v11
	v_cmp_ne_u64_e32 vcc, 0, v[2:3]
	s_and_saveexec_b64 s[30:31], vcc
	s_xor_b64 s[30:31], exec, s[30:31]
	s_cbranch_execz .LBB36_29
; %bb.28:                               ;   in Loop: Header=BB36_23 Depth=2
	s_add_u32 s36, s51, s0
	s_mov_b32 s34, s0
	s_mov_b32 s35, s0
	s_addc_u32 s37, s0, s0
	s_xor_b64 s[36:37], s[36:37], s[34:35]
	v_cvt_f32_u32_e32 v3, s36
	v_cvt_f32_u32_e32 v5, s37
	s_sub_u32 s0, 0, s36
	s_subb_u32 s1, 0, s37
	v_mac_f32_e32 v3, 0x4f800000, v5
	v_rcp_f32_e32 v3, v3
	v_mul_f32_e32 v3, 0x5f7ffffc, v3
	v_mul_f32_e32 v5, 0x2f800000, v3
	v_trunc_f32_e32 v5, v5
	v_mac_f32_e32 v3, 0xcf800000, v5
	v_cvt_u32_f32_e32 v5, v5
	v_cvt_u32_f32_e32 v3, v3
	v_mul_lo_u32 v7, s0, v5
	v_mul_hi_u32 v12, s0, v3
	v_mul_lo_u32 v9, s1, v3
	v_add_u32_e32 v7, v12, v7
	v_mul_lo_u32 v13, s0, v3
	v_add_u32_e32 v7, v7, v9
	v_mul_lo_u32 v12, v3, v7
	v_mul_hi_u32 v14, v3, v13
	v_mul_hi_u32 v9, v3, v7
	v_add_co_u32_e32 v12, vcc, v14, v12
	v_addc_co_u32_e32 v9, vcc, 0, v9, vcc
	v_mul_hi_u32 v15, v5, v13
	v_mul_lo_u32 v13, v5, v13
	v_add_co_u32_e32 v12, vcc, v12, v13
	v_mul_hi_u32 v14, v5, v7
	v_addc_co_u32_e32 v9, vcc, v9, v15, vcc
	v_addc_co_u32_e32 v12, vcc, 0, v14, vcc
	v_mul_lo_u32 v7, v5, v7
	v_add_co_u32_e32 v7, vcc, v9, v7
	v_addc_co_u32_e32 v9, vcc, 0, v12, vcc
	v_add_co_u32_e32 v3, vcc, v3, v7
	v_addc_co_u32_e32 v5, vcc, v5, v9, vcc
	v_mul_lo_u32 v7, s0, v5
	v_mul_hi_u32 v9, s0, v3
	v_add_u32_e32 v7, v9, v7
	v_mul_lo_u32 v9, s1, v3
	v_add_u32_e32 v7, v7, v9
	v_mul_lo_u32 v12, s0, v3
	v_mul_hi_u32 v13, v5, v12
	v_mul_lo_u32 v14, v5, v12
	v_mul_lo_u32 v16, v3, v7
	v_mul_hi_u32 v12, v3, v12
	v_mul_hi_u32 v15, v3, v7
	v_add_co_u32_e32 v12, vcc, v12, v16
	v_addc_co_u32_e32 v15, vcc, 0, v15, vcc
	v_add_co_u32_e32 v12, vcc, v12, v14
	v_mul_hi_u32 v9, v5, v7
	v_addc_co_u32_e32 v12, vcc, v15, v13, vcc
	v_addc_co_u32_e32 v9, vcc, 0, v9, vcc
	v_mul_lo_u32 v7, v5, v7
	v_add_co_u32_e32 v7, vcc, v12, v7
	v_addc_co_u32_e32 v9, vcc, 0, v9, vcc
	v_add_co_u32_e32 v3, vcc, v3, v7
	v_addc_co_u32_e32 v5, vcc, v5, v9, vcc
	v_ashrrev_i32_e32 v7, 31, v11
	v_add_co_u32_e32 v9, vcc, v10, v7
	v_xor_b32_e32 v9, v9, v7
	v_addc_co_u32_e32 v11, vcc, v11, v7, vcc
	v_mad_u64_u32 v[12:13], s[0:1], v9, v5, 0
	v_mul_hi_u32 v14, v9, v3
	v_xor_b32_e32 v11, v11, v7
	v_add_co_u32_e32 v16, vcc, v14, v12
	v_addc_co_u32_e32 v17, vcc, 0, v13, vcc
	v_mad_u64_u32 v[14:15], s[0:1], v11, v3, 0
	v_add_co_u32_e32 v3, vcc, v16, v14
	v_mad_u64_u32 v[12:13], s[0:1], v11, v5, 0
	v_addc_co_u32_e32 v3, vcc, v17, v15, vcc
	v_addc_co_u32_e32 v5, vcc, 0, v13, vcc
	v_add_co_u32_e32 v3, vcc, v3, v12
	v_addc_co_u32_e32 v5, vcc, 0, v5, vcc
	v_mul_lo_u32 v14, s37, v3
	v_mul_lo_u32 v15, s36, v5
	v_mad_u64_u32 v[12:13], s[0:1], s36, v3, 0
	v_add3_u32 v13, v13, v15, v14
	v_sub_u32_e32 v14, v11, v13
	v_mov_b32_e32 v15, s37
	v_sub_co_u32_e32 v9, vcc, v9, v12
	v_subb_co_u32_e64 v12, s[0:1], v14, v15, vcc
	v_subrev_co_u32_e64 v14, s[0:1], s36, v9
	v_subbrev_co_u32_e64 v12, s[0:1], 0, v12, s[0:1]
	v_cmp_le_u32_e64 s[0:1], s37, v12
	v_cndmask_b32_e64 v15, 0, -1, s[0:1]
	v_cmp_le_u32_e64 s[0:1], s36, v14
	v_cndmask_b32_e64 v14, 0, -1, s[0:1]
	v_cmp_eq_u32_e64 s[0:1], s37, v12
	v_cndmask_b32_e64 v12, v15, v14, s[0:1]
	v_add_co_u32_e64 v14, s[0:1], 2, v3
	v_subb_co_u32_e32 v11, vcc, v11, v13, vcc
	v_addc_co_u32_e64 v15, s[0:1], 0, v5, s[0:1]
	v_cmp_le_u32_e32 vcc, s37, v11
	v_add_co_u32_e64 v16, s[0:1], 1, v3
	v_cndmask_b32_e64 v13, 0, -1, vcc
	v_cmp_le_u32_e32 vcc, s36, v9
	v_addc_co_u32_e64 v17, s[0:1], 0, v5, s[0:1]
	v_cndmask_b32_e64 v9, 0, -1, vcc
	v_cmp_eq_u32_e32 vcc, s37, v11
	v_cmp_ne_u32_e64 s[0:1], 0, v12
	v_cndmask_b32_e32 v9, v13, v9, vcc
	v_cmp_ne_u32_e32 vcc, 0, v9
	v_cndmask_b32_e64 v9, v16, v14, s[0:1]
	v_cndmask_b32_e64 v12, v17, v15, s[0:1]
	v_cndmask_b32_e32 v3, v3, v9, vcc
	v_xor_b32_e32 v9, s35, v7
	v_xor_b32_e32 v7, s34, v7
	v_cndmask_b32_e32 v5, v5, v12, vcc
	v_xor_b32_e32 v3, v3, v7
	v_xor_b32_e32 v5, v5, v9
	v_sub_co_u32_e32 v12, vcc, v3, v7
	v_subb_co_u32_e32 v13, vcc, v5, v9, vcc
.LBB36_29:                              ;   in Loop: Header=BB36_23 Depth=2
	s_andn2_saveexec_b64 s[0:1], s[30:31]
	s_cbranch_execz .LBB36_31
; %bb.30:                               ;   in Loop: Header=BB36_23 Depth=2
	v_cvt_f32_u32_e32 v3, s51
	s_sub_i32 s16, 0, s51
	v_mov_b32_e32 v13, v2
	v_rcp_iflag_f32_e32 v3, v3
	v_mul_f32_e32 v3, 0x4f7ffffe, v3
	v_cvt_u32_f32_e32 v3, v3
	v_mul_lo_u32 v5, s16, v3
	v_mul_hi_u32 v5, v3, v5
	v_add_u32_e32 v3, v3, v5
	v_mul_hi_u32 v3, v10, v3
	v_mul_lo_u32 v5, v3, s51
	v_sub_u32_e32 v5, v10, v5
	v_add_u32_e32 v7, 1, v3
	v_subrev_u32_e32 v9, s51, v5
	v_cmp_le_u32_e32 vcc, s51, v5
	v_cndmask_b32_e32 v5, v5, v9, vcc
	v_cndmask_b32_e32 v3, v3, v7, vcc
	v_add_u32_e32 v7, 1, v3
	v_cmp_le_u32_e32 vcc, s51, v5
	v_cndmask_b32_e32 v12, v3, v7, vcc
.LBB36_31:                              ;   in Loop: Header=BB36_23 Depth=2
	s_or_b64 exec, exec, s[0:1]
	s_add_u32 s0, s43, s28
	s_addc_u32 s1, s44, s29
	s_add_i32 s16, s26, 5
	s_lshl_b64 s[28:29], s[16:17], 2
	s_add_u32 s30, s39, s28
	s_addc_u32 s31, s40, s29
	s_load_dword s53, s[30:31], 0x0
	s_load_dword s54, s[0:1], 0x0
                                        ; implicit-def: $vgpr14_vgpr15
	s_waitcnt lgkmcnt(0)
	s_ashr_i32 s0, s53, 31
	v_or_b32_e32 v3, s0, v13
	v_cmp_ne_u64_e32 vcc, 0, v[2:3]
	s_and_saveexec_b64 s[30:31], vcc
	s_xor_b64 s[30:31], exec, s[30:31]
	s_cbranch_execz .LBB36_33
; %bb.32:                               ;   in Loop: Header=BB36_23 Depth=2
	s_add_u32 s36, s53, s0
	s_mov_b32 s34, s0
	s_mov_b32 s35, s0
	s_addc_u32 s37, s0, s0
	s_xor_b64 s[36:37], s[36:37], s[34:35]
	v_cvt_f32_u32_e32 v3, s36
	v_cvt_f32_u32_e32 v5, s37
	s_sub_u32 s0, 0, s36
	s_subb_u32 s1, 0, s37
	v_mac_f32_e32 v3, 0x4f800000, v5
	v_rcp_f32_e32 v3, v3
	v_mul_f32_e32 v3, 0x5f7ffffc, v3
	v_mul_f32_e32 v5, 0x2f800000, v3
	v_trunc_f32_e32 v5, v5
	v_mac_f32_e32 v3, 0xcf800000, v5
	v_cvt_u32_f32_e32 v5, v5
	v_cvt_u32_f32_e32 v3, v3
	v_mul_lo_u32 v7, s0, v5
	v_mul_hi_u32 v11, s0, v3
	v_mul_lo_u32 v9, s1, v3
	v_add_u32_e32 v7, v11, v7
	v_mul_lo_u32 v14, s0, v3
	v_add_u32_e32 v7, v7, v9
	v_mul_lo_u32 v11, v3, v7
	v_mul_hi_u32 v15, v3, v14
	v_mul_hi_u32 v9, v3, v7
	v_add_co_u32_e32 v11, vcc, v15, v11
	v_addc_co_u32_e32 v9, vcc, 0, v9, vcc
	v_mul_hi_u32 v16, v5, v14
	v_mul_lo_u32 v14, v5, v14
	v_add_co_u32_e32 v11, vcc, v11, v14
	v_mul_hi_u32 v15, v5, v7
	v_addc_co_u32_e32 v9, vcc, v9, v16, vcc
	v_addc_co_u32_e32 v11, vcc, 0, v15, vcc
	v_mul_lo_u32 v7, v5, v7
	v_add_co_u32_e32 v7, vcc, v9, v7
	v_addc_co_u32_e32 v9, vcc, 0, v11, vcc
	v_add_co_u32_e32 v3, vcc, v3, v7
	v_addc_co_u32_e32 v5, vcc, v5, v9, vcc
	v_mul_lo_u32 v7, s0, v5
	v_mul_hi_u32 v9, s0, v3
	v_add_u32_e32 v7, v9, v7
	v_mul_lo_u32 v9, s1, v3
	v_add_u32_e32 v7, v7, v9
	v_mul_lo_u32 v11, s0, v3
	v_mul_hi_u32 v14, v5, v11
	v_mul_lo_u32 v15, v5, v11
	v_mul_lo_u32 v17, v3, v7
	v_mul_hi_u32 v11, v3, v11
	v_mul_hi_u32 v16, v3, v7
	v_add_co_u32_e32 v11, vcc, v11, v17
	v_addc_co_u32_e32 v16, vcc, 0, v16, vcc
	v_add_co_u32_e32 v11, vcc, v11, v15
	v_mul_hi_u32 v9, v5, v7
	v_addc_co_u32_e32 v11, vcc, v16, v14, vcc
	v_addc_co_u32_e32 v9, vcc, 0, v9, vcc
	v_mul_lo_u32 v7, v5, v7
	v_add_co_u32_e32 v7, vcc, v11, v7
	v_addc_co_u32_e32 v9, vcc, 0, v9, vcc
	v_add_co_u32_e32 v3, vcc, v3, v7
	v_addc_co_u32_e32 v5, vcc, v5, v9, vcc
	v_ashrrev_i32_e32 v7, 31, v13
	v_add_co_u32_e32 v9, vcc, v12, v7
	v_xor_b32_e32 v9, v9, v7
	v_addc_co_u32_e32 v11, vcc, v13, v7, vcc
	v_mad_u64_u32 v[14:15], s[0:1], v9, v5, 0
	v_mul_hi_u32 v13, v9, v3
	v_xor_b32_e32 v11, v11, v7
	v_add_co_u32_e32 v13, vcc, v13, v14
	v_addc_co_u32_e32 v18, vcc, 0, v15, vcc
	v_mad_u64_u32 v[16:17], s[0:1], v11, v3, 0
	v_add_co_u32_e32 v3, vcc, v13, v16
	v_mad_u64_u32 v[14:15], s[0:1], v11, v5, 0
	v_addc_co_u32_e32 v3, vcc, v18, v17, vcc
	v_addc_co_u32_e32 v5, vcc, 0, v15, vcc
	v_add_co_u32_e32 v3, vcc, v3, v14
	v_addc_co_u32_e32 v5, vcc, 0, v5, vcc
	v_mul_lo_u32 v13, s37, v3
	v_mul_lo_u32 v16, s36, v5
	v_mad_u64_u32 v[14:15], s[0:1], s36, v3, 0
	v_add3_u32 v13, v15, v16, v13
	v_sub_u32_e32 v15, v11, v13
	v_mov_b32_e32 v16, s37
	v_sub_co_u32_e32 v9, vcc, v9, v14
	v_subb_co_u32_e64 v14, s[0:1], v15, v16, vcc
	v_subrev_co_u32_e64 v15, s[0:1], s36, v9
	v_subbrev_co_u32_e64 v14, s[0:1], 0, v14, s[0:1]
	v_cmp_le_u32_e64 s[0:1], s37, v14
	v_cndmask_b32_e64 v16, 0, -1, s[0:1]
	v_cmp_le_u32_e64 s[0:1], s36, v15
	v_cndmask_b32_e64 v15, 0, -1, s[0:1]
	v_cmp_eq_u32_e64 s[0:1], s37, v14
	v_cndmask_b32_e64 v14, v16, v15, s[0:1]
	v_add_co_u32_e64 v15, s[0:1], 2, v3
	v_subb_co_u32_e32 v11, vcc, v11, v13, vcc
	v_addc_co_u32_e64 v16, s[0:1], 0, v5, s[0:1]
	v_cmp_le_u32_e32 vcc, s37, v11
	v_add_co_u32_e64 v17, s[0:1], 1, v3
	v_cndmask_b32_e64 v13, 0, -1, vcc
	v_cmp_le_u32_e32 vcc, s36, v9
	v_addc_co_u32_e64 v18, s[0:1], 0, v5, s[0:1]
	v_cndmask_b32_e64 v9, 0, -1, vcc
	v_cmp_eq_u32_e32 vcc, s37, v11
	v_cmp_ne_u32_e64 s[0:1], 0, v14
	v_cndmask_b32_e32 v9, v13, v9, vcc
	v_cmp_ne_u32_e32 vcc, 0, v9
	v_cndmask_b32_e64 v9, v17, v15, s[0:1]
	v_cndmask_b32_e64 v14, v18, v16, s[0:1]
	v_cndmask_b32_e32 v3, v3, v9, vcc
	v_xor_b32_e32 v9, s35, v7
	v_xor_b32_e32 v7, s34, v7
	v_cndmask_b32_e32 v5, v5, v14, vcc
	v_xor_b32_e32 v3, v3, v7
	v_xor_b32_e32 v5, v5, v9
	v_sub_co_u32_e32 v14, vcc, v3, v7
	v_subb_co_u32_e32 v15, vcc, v5, v9, vcc
.LBB36_33:                              ;   in Loop: Header=BB36_23 Depth=2
	s_andn2_saveexec_b64 s[0:1], s[30:31]
	s_cbranch_execz .LBB36_35
; %bb.34:                               ;   in Loop: Header=BB36_23 Depth=2
	v_cvt_f32_u32_e32 v3, s53
	s_sub_i32 s16, 0, s53
	v_mov_b32_e32 v15, v2
	v_rcp_iflag_f32_e32 v3, v3
	v_mul_f32_e32 v3, 0x4f7ffffe, v3
	v_cvt_u32_f32_e32 v3, v3
	v_mul_lo_u32 v5, s16, v3
	v_mul_hi_u32 v5, v3, v5
	v_add_u32_e32 v3, v3, v5
	v_mul_hi_u32 v3, v12, v3
	v_mul_lo_u32 v5, v3, s53
	v_sub_u32_e32 v5, v12, v5
	v_add_u32_e32 v7, 1, v3
	v_subrev_u32_e32 v9, s53, v5
	v_cmp_le_u32_e32 vcc, s53, v5
	v_cndmask_b32_e32 v5, v5, v9, vcc
	v_cndmask_b32_e32 v3, v3, v7, vcc
	v_add_u32_e32 v7, 1, v3
	v_cmp_le_u32_e32 vcc, s53, v5
	v_cndmask_b32_e32 v14, v3, v7, vcc
.LBB36_35:                              ;   in Loop: Header=BB36_23 Depth=2
	s_or_b64 exec, exec, s[0:1]
	s_add_u32 s0, s43, s28
	s_addc_u32 s1, s44, s29
	s_add_i32 s16, s26, 4
	s_lshl_b64 s[28:29], s[16:17], 2
	s_add_u32 s30, s39, s28
	s_addc_u32 s31, s40, s29
	s_load_dword s55, s[30:31], 0x0
	s_load_dword s56, s[0:1], 0x0
                                        ; implicit-def: $vgpr16_vgpr17
	s_waitcnt lgkmcnt(0)
	s_ashr_i32 s0, s55, 31
	v_or_b32_e32 v3, s0, v15
	v_cmp_ne_u64_e32 vcc, 0, v[2:3]
	s_and_saveexec_b64 s[30:31], vcc
	s_xor_b64 s[30:31], exec, s[30:31]
	s_cbranch_execz .LBB36_37
; %bb.36:                               ;   in Loop: Header=BB36_23 Depth=2
	s_add_u32 s36, s55, s0
	s_mov_b32 s34, s0
	s_mov_b32 s35, s0
	s_addc_u32 s37, s0, s0
	s_xor_b64 s[36:37], s[36:37], s[34:35]
	v_cvt_f32_u32_e32 v3, s36
	v_cvt_f32_u32_e32 v5, s37
	s_sub_u32 s0, 0, s36
	s_subb_u32 s1, 0, s37
	v_mac_f32_e32 v3, 0x4f800000, v5
	v_rcp_f32_e32 v3, v3
	v_mul_f32_e32 v3, 0x5f7ffffc, v3
	v_mul_f32_e32 v5, 0x2f800000, v3
	v_trunc_f32_e32 v5, v5
	v_mac_f32_e32 v3, 0xcf800000, v5
	v_cvt_u32_f32_e32 v5, v5
	v_cvt_u32_f32_e32 v3, v3
	v_mul_lo_u32 v7, s0, v5
	v_mul_hi_u32 v11, s0, v3
	v_mul_lo_u32 v9, s1, v3
	v_add_u32_e32 v7, v11, v7
	v_mul_lo_u32 v13, s0, v3
	v_add_u32_e32 v7, v7, v9
	v_mul_lo_u32 v11, v3, v7
	v_mul_hi_u32 v16, v3, v13
	v_mul_hi_u32 v9, v3, v7
	v_add_co_u32_e32 v11, vcc, v16, v11
	v_addc_co_u32_e32 v9, vcc, 0, v9, vcc
	v_mul_hi_u32 v17, v5, v13
	v_mul_lo_u32 v13, v5, v13
	v_add_co_u32_e32 v11, vcc, v11, v13
	v_mul_hi_u32 v16, v5, v7
	v_addc_co_u32_e32 v9, vcc, v9, v17, vcc
	v_addc_co_u32_e32 v11, vcc, 0, v16, vcc
	v_mul_lo_u32 v7, v5, v7
	v_add_co_u32_e32 v7, vcc, v9, v7
	v_addc_co_u32_e32 v9, vcc, 0, v11, vcc
	v_add_co_u32_e32 v3, vcc, v3, v7
	v_addc_co_u32_e32 v5, vcc, v5, v9, vcc
	v_mul_lo_u32 v7, s0, v5
	v_mul_hi_u32 v9, s0, v3
	v_add_u32_e32 v7, v9, v7
	v_mul_lo_u32 v9, s1, v3
	v_add_u32_e32 v7, v7, v9
	v_mul_lo_u32 v11, s0, v3
	v_mul_hi_u32 v13, v5, v11
	v_mul_lo_u32 v16, v5, v11
	v_mul_lo_u32 v18, v3, v7
	v_mul_hi_u32 v11, v3, v11
	v_mul_hi_u32 v17, v3, v7
	v_add_co_u32_e32 v11, vcc, v11, v18
	v_addc_co_u32_e32 v17, vcc, 0, v17, vcc
	v_add_co_u32_e32 v11, vcc, v11, v16
	v_mul_hi_u32 v9, v5, v7
	v_addc_co_u32_e32 v11, vcc, v17, v13, vcc
	v_addc_co_u32_e32 v9, vcc, 0, v9, vcc
	v_mul_lo_u32 v7, v5, v7
	v_add_co_u32_e32 v7, vcc, v11, v7
	v_addc_co_u32_e32 v9, vcc, 0, v9, vcc
	v_add_co_u32_e32 v3, vcc, v3, v7
	v_addc_co_u32_e32 v5, vcc, v5, v9, vcc
	v_ashrrev_i32_e32 v7, 31, v15
	v_add_co_u32_e32 v9, vcc, v14, v7
	v_xor_b32_e32 v9, v9, v7
	v_addc_co_u32_e32 v11, vcc, v15, v7, vcc
	v_mad_u64_u32 v[16:17], s[0:1], v9, v5, 0
	v_mul_hi_u32 v13, v9, v3
	v_xor_b32_e32 v11, v11, v7
	v_add_co_u32_e32 v13, vcc, v13, v16
	v_addc_co_u32_e32 v15, vcc, 0, v17, vcc
	v_mad_u64_u32 v[18:19], s[0:1], v11, v3, 0
	v_add_co_u32_e32 v3, vcc, v13, v18
	v_mad_u64_u32 v[16:17], s[0:1], v11, v5, 0
	v_addc_co_u32_e32 v3, vcc, v15, v19, vcc
	v_addc_co_u32_e32 v5, vcc, 0, v17, vcc
	v_add_co_u32_e32 v3, vcc, v3, v16
	v_addc_co_u32_e32 v5, vcc, 0, v5, vcc
	v_mul_lo_u32 v13, s37, v3
	v_mul_lo_u32 v15, s36, v5
	v_mad_u64_u32 v[16:17], s[0:1], s36, v3, 0
	v_add3_u32 v13, v17, v15, v13
	v_sub_u32_e32 v15, v11, v13
	v_mov_b32_e32 v17, s37
	v_sub_co_u32_e32 v9, vcc, v9, v16
	v_subb_co_u32_e64 v15, s[0:1], v15, v17, vcc
	v_subrev_co_u32_e64 v16, s[0:1], s36, v9
	v_subbrev_co_u32_e64 v15, s[0:1], 0, v15, s[0:1]
	v_cmp_le_u32_e64 s[0:1], s37, v15
	v_cndmask_b32_e64 v17, 0, -1, s[0:1]
	v_cmp_le_u32_e64 s[0:1], s36, v16
	v_cndmask_b32_e64 v16, 0, -1, s[0:1]
	v_cmp_eq_u32_e64 s[0:1], s37, v15
	v_cndmask_b32_e64 v15, v17, v16, s[0:1]
	v_add_co_u32_e64 v16, s[0:1], 2, v3
	v_subb_co_u32_e32 v11, vcc, v11, v13, vcc
	v_addc_co_u32_e64 v17, s[0:1], 0, v5, s[0:1]
	v_cmp_le_u32_e32 vcc, s37, v11
	v_add_co_u32_e64 v18, s[0:1], 1, v3
	v_cndmask_b32_e64 v13, 0, -1, vcc
	v_cmp_le_u32_e32 vcc, s36, v9
	v_addc_co_u32_e64 v19, s[0:1], 0, v5, s[0:1]
	v_cndmask_b32_e64 v9, 0, -1, vcc
	v_cmp_eq_u32_e32 vcc, s37, v11
	v_cmp_ne_u32_e64 s[0:1], 0, v15
	v_cndmask_b32_e32 v9, v13, v9, vcc
	v_cmp_ne_u32_e32 vcc, 0, v9
	v_cndmask_b32_e64 v9, v18, v16, s[0:1]
	v_cndmask_b32_e64 v15, v19, v17, s[0:1]
	v_cndmask_b32_e32 v3, v3, v9, vcc
	v_xor_b32_e32 v9, s35, v7
	v_xor_b32_e32 v7, s34, v7
	v_cndmask_b32_e32 v5, v5, v15, vcc
	v_xor_b32_e32 v3, v3, v7
	v_xor_b32_e32 v5, v5, v9
	v_sub_co_u32_e32 v16, vcc, v3, v7
	v_subb_co_u32_e32 v17, vcc, v5, v9, vcc
.LBB36_37:                              ;   in Loop: Header=BB36_23 Depth=2
	s_andn2_saveexec_b64 s[0:1], s[30:31]
	s_cbranch_execz .LBB36_39
; %bb.38:                               ;   in Loop: Header=BB36_23 Depth=2
	v_cvt_f32_u32_e32 v3, s55
	s_sub_i32 s16, 0, s55
	v_mov_b32_e32 v17, v2
	v_rcp_iflag_f32_e32 v3, v3
	v_mul_f32_e32 v3, 0x4f7ffffe, v3
	v_cvt_u32_f32_e32 v3, v3
	v_mul_lo_u32 v5, s16, v3
	v_mul_hi_u32 v5, v3, v5
	v_add_u32_e32 v3, v3, v5
	v_mul_hi_u32 v3, v14, v3
	v_mul_lo_u32 v5, v3, s55
	v_sub_u32_e32 v5, v14, v5
	v_add_u32_e32 v7, 1, v3
	v_subrev_u32_e32 v9, s55, v5
	v_cmp_le_u32_e32 vcc, s55, v5
	v_cndmask_b32_e32 v5, v5, v9, vcc
	v_cndmask_b32_e32 v3, v3, v7, vcc
	v_add_u32_e32 v7, 1, v3
	v_cmp_le_u32_e32 vcc, s55, v5
	v_cndmask_b32_e32 v16, v3, v7, vcc
.LBB36_39:                              ;   in Loop: Header=BB36_23 Depth=2
	s_or_b64 exec, exec, s[0:1]
	s_add_u32 s0, s43, s28
	s_addc_u32 s1, s44, s29
	s_add_i32 s16, s26, 3
	s_lshl_b64 s[28:29], s[16:17], 2
	s_add_u32 s30, s39, s28
	s_addc_u32 s31, s40, s29
	s_load_dword s57, s[30:31], 0x0
	s_load_dword s58, s[0:1], 0x0
                                        ; implicit-def: $vgpr18_vgpr19
	s_waitcnt lgkmcnt(0)
	s_ashr_i32 s0, s57, 31
	v_or_b32_e32 v3, s0, v17
	v_cmp_ne_u64_e32 vcc, 0, v[2:3]
	s_and_saveexec_b64 s[30:31], vcc
	s_xor_b64 s[30:31], exec, s[30:31]
	s_cbranch_execz .LBB36_41
; %bb.40:                               ;   in Loop: Header=BB36_23 Depth=2
	s_add_u32 s36, s57, s0
	s_mov_b32 s34, s0
	s_mov_b32 s35, s0
	s_addc_u32 s37, s0, s0
	s_xor_b64 s[36:37], s[36:37], s[34:35]
	v_cvt_f32_u32_e32 v3, s36
	v_cvt_f32_u32_e32 v5, s37
	s_sub_u32 s0, 0, s36
	s_subb_u32 s1, 0, s37
	v_mac_f32_e32 v3, 0x4f800000, v5
	v_rcp_f32_e32 v3, v3
	v_mul_f32_e32 v3, 0x5f7ffffc, v3
	v_mul_f32_e32 v5, 0x2f800000, v3
	v_trunc_f32_e32 v5, v5
	v_mac_f32_e32 v3, 0xcf800000, v5
	v_cvt_u32_f32_e32 v5, v5
	v_cvt_u32_f32_e32 v3, v3
	v_mul_lo_u32 v7, s0, v5
	v_mul_hi_u32 v11, s0, v3
	v_mul_lo_u32 v9, s1, v3
	v_add_u32_e32 v7, v11, v7
	v_mul_lo_u32 v13, s0, v3
	v_add_u32_e32 v7, v7, v9
	v_mul_lo_u32 v11, v3, v7
	v_mul_hi_u32 v15, v3, v13
	v_mul_hi_u32 v9, v3, v7
	v_add_co_u32_e32 v11, vcc, v15, v11
	v_addc_co_u32_e32 v9, vcc, 0, v9, vcc
	v_mul_hi_u32 v18, v5, v13
	v_mul_lo_u32 v13, v5, v13
	v_add_co_u32_e32 v11, vcc, v11, v13
	v_mul_hi_u32 v15, v5, v7
	v_addc_co_u32_e32 v9, vcc, v9, v18, vcc
	v_addc_co_u32_e32 v11, vcc, 0, v15, vcc
	v_mul_lo_u32 v7, v5, v7
	v_add_co_u32_e32 v7, vcc, v9, v7
	v_addc_co_u32_e32 v9, vcc, 0, v11, vcc
	v_add_co_u32_e32 v3, vcc, v3, v7
	v_addc_co_u32_e32 v5, vcc, v5, v9, vcc
	v_mul_lo_u32 v7, s0, v5
	v_mul_hi_u32 v9, s0, v3
	v_add_u32_e32 v7, v9, v7
	v_mul_lo_u32 v9, s1, v3
	v_add_u32_e32 v7, v7, v9
	v_mul_lo_u32 v11, s0, v3
	v_mul_hi_u32 v13, v5, v11
	v_mul_lo_u32 v15, v5, v11
	v_mul_lo_u32 v19, v3, v7
	v_mul_hi_u32 v11, v3, v11
	v_mul_hi_u32 v18, v3, v7
	v_add_co_u32_e32 v11, vcc, v11, v19
	v_addc_co_u32_e32 v18, vcc, 0, v18, vcc
	v_add_co_u32_e32 v11, vcc, v11, v15
	v_mul_hi_u32 v9, v5, v7
	v_addc_co_u32_e32 v11, vcc, v18, v13, vcc
	v_addc_co_u32_e32 v9, vcc, 0, v9, vcc
	v_mul_lo_u32 v7, v5, v7
	v_add_co_u32_e32 v7, vcc, v11, v7
	v_addc_co_u32_e32 v9, vcc, 0, v9, vcc
	v_add_co_u32_e32 v3, vcc, v3, v7
	v_addc_co_u32_e32 v5, vcc, v5, v9, vcc
	v_ashrrev_i32_e32 v7, 31, v17
	v_add_co_u32_e32 v9, vcc, v16, v7
	v_xor_b32_e32 v9, v9, v7
	v_addc_co_u32_e32 v11, vcc, v17, v7, vcc
	v_mad_u64_u32 v[18:19], s[0:1], v9, v5, 0
	v_mul_hi_u32 v13, v9, v3
	v_xor_b32_e32 v11, v11, v7
	v_add_co_u32_e32 v13, vcc, v13, v18
	v_addc_co_u32_e32 v15, vcc, 0, v19, vcc
	v_mad_u64_u32 v[20:21], s[0:1], v11, v3, 0
	v_add_co_u32_e32 v3, vcc, v13, v20
	v_mad_u64_u32 v[18:19], s[0:1], v11, v5, 0
	v_addc_co_u32_e32 v3, vcc, v15, v21, vcc
	v_addc_co_u32_e32 v5, vcc, 0, v19, vcc
	v_add_co_u32_e32 v3, vcc, v3, v18
	v_addc_co_u32_e32 v5, vcc, 0, v5, vcc
	v_mul_lo_u32 v13, s37, v3
	v_mul_lo_u32 v15, s36, v5
	v_mad_u64_u32 v[18:19], s[0:1], s36, v3, 0
	v_add3_u32 v13, v19, v15, v13
	v_sub_u32_e32 v15, v11, v13
	v_mov_b32_e32 v17, s37
	v_sub_co_u32_e32 v9, vcc, v9, v18
	v_subb_co_u32_e64 v15, s[0:1], v15, v17, vcc
	v_subrev_co_u32_e64 v17, s[0:1], s36, v9
	v_subbrev_co_u32_e64 v15, s[0:1], 0, v15, s[0:1]
	v_cmp_le_u32_e64 s[0:1], s37, v15
	v_cndmask_b32_e64 v18, 0, -1, s[0:1]
	v_cmp_le_u32_e64 s[0:1], s36, v17
	v_cndmask_b32_e64 v17, 0, -1, s[0:1]
	v_cmp_eq_u32_e64 s[0:1], s37, v15
	v_cndmask_b32_e64 v15, v18, v17, s[0:1]
	v_add_co_u32_e64 v17, s[0:1], 2, v3
	v_subb_co_u32_e32 v11, vcc, v11, v13, vcc
	v_addc_co_u32_e64 v18, s[0:1], 0, v5, s[0:1]
	v_cmp_le_u32_e32 vcc, s37, v11
	v_add_co_u32_e64 v19, s[0:1], 1, v3
	v_cndmask_b32_e64 v13, 0, -1, vcc
	v_cmp_le_u32_e32 vcc, s36, v9
	v_addc_co_u32_e64 v20, s[0:1], 0, v5, s[0:1]
	v_cndmask_b32_e64 v9, 0, -1, vcc
	v_cmp_eq_u32_e32 vcc, s37, v11
	v_cmp_ne_u32_e64 s[0:1], 0, v15
	v_cndmask_b32_e32 v9, v13, v9, vcc
	v_cmp_ne_u32_e32 vcc, 0, v9
	v_cndmask_b32_e64 v9, v19, v17, s[0:1]
	v_cndmask_b32_e64 v15, v20, v18, s[0:1]
	v_cndmask_b32_e32 v3, v3, v9, vcc
	v_xor_b32_e32 v9, s35, v7
	v_xor_b32_e32 v7, s34, v7
	v_cndmask_b32_e32 v5, v5, v15, vcc
	v_xor_b32_e32 v3, v3, v7
	v_xor_b32_e32 v5, v5, v9
	v_sub_co_u32_e32 v18, vcc, v3, v7
	v_subb_co_u32_e32 v19, vcc, v5, v9, vcc
.LBB36_41:                              ;   in Loop: Header=BB36_23 Depth=2
	s_andn2_saveexec_b64 s[0:1], s[30:31]
	s_cbranch_execz .LBB36_43
; %bb.42:                               ;   in Loop: Header=BB36_23 Depth=2
	v_cvt_f32_u32_e32 v3, s57
	s_sub_i32 s16, 0, s57
	v_mov_b32_e32 v19, v2
	v_rcp_iflag_f32_e32 v3, v3
	v_mul_f32_e32 v3, 0x4f7ffffe, v3
	v_cvt_u32_f32_e32 v3, v3
	v_mul_lo_u32 v5, s16, v3
	v_mul_hi_u32 v5, v3, v5
	v_add_u32_e32 v3, v3, v5
	v_mul_hi_u32 v3, v16, v3
	v_mul_lo_u32 v5, v3, s57
	v_sub_u32_e32 v5, v16, v5
	v_add_u32_e32 v7, 1, v3
	v_subrev_u32_e32 v9, s57, v5
	v_cmp_le_u32_e32 vcc, s57, v5
	v_cndmask_b32_e32 v5, v5, v9, vcc
	v_cndmask_b32_e32 v3, v3, v7, vcc
	v_add_u32_e32 v7, 1, v3
	v_cmp_le_u32_e32 vcc, s57, v5
	v_cndmask_b32_e32 v18, v3, v7, vcc
.LBB36_43:                              ;   in Loop: Header=BB36_23 Depth=2
	s_or_b64 exec, exec, s[0:1]
	s_add_u32 s0, s43, s28
	s_addc_u32 s1, s44, s29
	s_add_i32 s16, s26, 2
	s_lshl_b64 s[28:29], s[16:17], 2
	s_add_u32 s30, s39, s28
	s_addc_u32 s31, s40, s29
	s_load_dword s59, s[30:31], 0x0
	s_load_dword s60, s[0:1], 0x0
                                        ; implicit-def: $vgpr20_vgpr21
	s_waitcnt lgkmcnt(0)
	s_ashr_i32 s0, s59, 31
	v_or_b32_e32 v3, s0, v19
	v_cmp_ne_u64_e32 vcc, 0, v[2:3]
	s_and_saveexec_b64 s[30:31], vcc
	s_xor_b64 s[30:31], exec, s[30:31]
	s_cbranch_execz .LBB36_45
; %bb.44:                               ;   in Loop: Header=BB36_23 Depth=2
	s_add_u32 s36, s59, s0
	s_mov_b32 s34, s0
	s_mov_b32 s35, s0
	s_addc_u32 s37, s0, s0
	s_xor_b64 s[36:37], s[36:37], s[34:35]
	v_cvt_f32_u32_e32 v3, s36
	v_cvt_f32_u32_e32 v5, s37
	s_sub_u32 s0, 0, s36
	s_subb_u32 s1, 0, s37
	v_mac_f32_e32 v3, 0x4f800000, v5
	v_rcp_f32_e32 v3, v3
	v_mul_f32_e32 v3, 0x5f7ffffc, v3
	v_mul_f32_e32 v5, 0x2f800000, v3
	v_trunc_f32_e32 v5, v5
	v_mac_f32_e32 v3, 0xcf800000, v5
	v_cvt_u32_f32_e32 v5, v5
	v_cvt_u32_f32_e32 v3, v3
	v_mul_lo_u32 v7, s0, v5
	v_mul_hi_u32 v11, s0, v3
	v_mul_lo_u32 v9, s1, v3
	v_add_u32_e32 v7, v11, v7
	v_mul_lo_u32 v13, s0, v3
	v_add_u32_e32 v7, v7, v9
	v_mul_lo_u32 v11, v3, v7
	v_mul_hi_u32 v15, v3, v13
	v_mul_hi_u32 v9, v3, v7
	v_add_co_u32_e32 v11, vcc, v15, v11
	v_addc_co_u32_e32 v9, vcc, 0, v9, vcc
	v_mul_hi_u32 v17, v5, v13
	v_mul_lo_u32 v13, v5, v13
	v_add_co_u32_e32 v11, vcc, v11, v13
	v_mul_hi_u32 v15, v5, v7
	v_addc_co_u32_e32 v9, vcc, v9, v17, vcc
	v_addc_co_u32_e32 v11, vcc, 0, v15, vcc
	v_mul_lo_u32 v7, v5, v7
	v_add_co_u32_e32 v7, vcc, v9, v7
	v_addc_co_u32_e32 v9, vcc, 0, v11, vcc
	v_add_co_u32_e32 v3, vcc, v3, v7
	v_addc_co_u32_e32 v5, vcc, v5, v9, vcc
	v_mul_lo_u32 v7, s0, v5
	v_mul_hi_u32 v9, s0, v3
	v_add_u32_e32 v7, v9, v7
	v_mul_lo_u32 v9, s1, v3
	v_add_u32_e32 v7, v7, v9
	v_mul_lo_u32 v11, s0, v3
	v_mul_hi_u32 v13, v5, v11
	v_mul_lo_u32 v15, v5, v11
	v_mul_lo_u32 v20, v3, v7
	v_mul_hi_u32 v11, v3, v11
	v_mul_hi_u32 v17, v3, v7
	v_add_co_u32_e32 v11, vcc, v11, v20
	v_addc_co_u32_e32 v17, vcc, 0, v17, vcc
	v_add_co_u32_e32 v11, vcc, v11, v15
	v_mul_hi_u32 v9, v5, v7
	v_addc_co_u32_e32 v11, vcc, v17, v13, vcc
	v_addc_co_u32_e32 v9, vcc, 0, v9, vcc
	v_mul_lo_u32 v7, v5, v7
	v_add_co_u32_e32 v7, vcc, v11, v7
	v_addc_co_u32_e32 v9, vcc, 0, v9, vcc
	v_add_co_u32_e32 v3, vcc, v3, v7
	v_addc_co_u32_e32 v5, vcc, v5, v9, vcc
	v_ashrrev_i32_e32 v7, 31, v19
	v_add_co_u32_e32 v9, vcc, v18, v7
	v_xor_b32_e32 v9, v9, v7
	v_addc_co_u32_e32 v11, vcc, v19, v7, vcc
	v_mad_u64_u32 v[20:21], s[0:1], v9, v5, 0
	v_mul_hi_u32 v13, v9, v3
	v_xor_b32_e32 v11, v11, v7
	v_add_co_u32_e32 v13, vcc, v13, v20
	v_addc_co_u32_e32 v15, vcc, 0, v21, vcc
	v_mad_u64_u32 v[22:23], s[0:1], v11, v3, 0
	v_add_co_u32_e32 v3, vcc, v13, v22
	v_mad_u64_u32 v[20:21], s[0:1], v11, v5, 0
	v_addc_co_u32_e32 v3, vcc, v15, v23, vcc
	v_addc_co_u32_e32 v5, vcc, 0, v21, vcc
	v_add_co_u32_e32 v3, vcc, v3, v20
	v_addc_co_u32_e32 v5, vcc, 0, v5, vcc
	v_mul_lo_u32 v13, s37, v3
	v_mul_lo_u32 v15, s36, v5
	v_mad_u64_u32 v[20:21], s[0:1], s36, v3, 0
	v_add3_u32 v13, v21, v15, v13
	v_sub_u32_e32 v15, v11, v13
	v_mov_b32_e32 v17, s37
	v_sub_co_u32_e32 v9, vcc, v9, v20
	v_subb_co_u32_e64 v15, s[0:1], v15, v17, vcc
	v_subrev_co_u32_e64 v17, s[0:1], s36, v9
	v_subbrev_co_u32_e64 v15, s[0:1], 0, v15, s[0:1]
	v_cmp_le_u32_e64 s[0:1], s37, v15
	v_cndmask_b32_e64 v19, 0, -1, s[0:1]
	v_cmp_le_u32_e64 s[0:1], s36, v17
	v_cndmask_b32_e64 v17, 0, -1, s[0:1]
	v_cmp_eq_u32_e64 s[0:1], s37, v15
	v_cndmask_b32_e64 v15, v19, v17, s[0:1]
	v_add_co_u32_e64 v17, s[0:1], 2, v3
	v_subb_co_u32_e32 v11, vcc, v11, v13, vcc
	v_addc_co_u32_e64 v19, s[0:1], 0, v5, s[0:1]
	v_cmp_le_u32_e32 vcc, s37, v11
	v_add_co_u32_e64 v20, s[0:1], 1, v3
	v_cndmask_b32_e64 v13, 0, -1, vcc
	v_cmp_le_u32_e32 vcc, s36, v9
	v_addc_co_u32_e64 v21, s[0:1], 0, v5, s[0:1]
	v_cndmask_b32_e64 v9, 0, -1, vcc
	v_cmp_eq_u32_e32 vcc, s37, v11
	v_cmp_ne_u32_e64 s[0:1], 0, v15
	v_cndmask_b32_e32 v9, v13, v9, vcc
	v_cmp_ne_u32_e32 vcc, 0, v9
	v_cndmask_b32_e64 v9, v20, v17, s[0:1]
	v_cndmask_b32_e64 v15, v21, v19, s[0:1]
	v_cndmask_b32_e32 v3, v3, v9, vcc
	v_xor_b32_e32 v9, s35, v7
	v_xor_b32_e32 v7, s34, v7
	v_cndmask_b32_e32 v5, v5, v15, vcc
	v_xor_b32_e32 v3, v3, v7
	v_xor_b32_e32 v5, v5, v9
	v_sub_co_u32_e32 v20, vcc, v3, v7
	v_subb_co_u32_e32 v21, vcc, v5, v9, vcc
.LBB36_45:                              ;   in Loop: Header=BB36_23 Depth=2
	s_andn2_saveexec_b64 s[0:1], s[30:31]
	s_cbranch_execz .LBB36_47
; %bb.46:                               ;   in Loop: Header=BB36_23 Depth=2
	v_cvt_f32_u32_e32 v3, s59
	s_sub_i32 s16, 0, s59
	v_mov_b32_e32 v21, v2
	v_rcp_iflag_f32_e32 v3, v3
	v_mul_f32_e32 v3, 0x4f7ffffe, v3
	v_cvt_u32_f32_e32 v3, v3
	v_mul_lo_u32 v5, s16, v3
	v_mul_hi_u32 v5, v3, v5
	v_add_u32_e32 v3, v3, v5
	v_mul_hi_u32 v3, v18, v3
	v_mul_lo_u32 v5, v3, s59
	v_sub_u32_e32 v5, v18, v5
	v_add_u32_e32 v7, 1, v3
	v_subrev_u32_e32 v9, s59, v5
	v_cmp_le_u32_e32 vcc, s59, v5
	v_cndmask_b32_e32 v5, v5, v9, vcc
	v_cndmask_b32_e32 v3, v3, v7, vcc
	v_add_u32_e32 v7, 1, v3
	v_cmp_le_u32_e32 vcc, s59, v5
	v_cndmask_b32_e32 v20, v3, v7, vcc
.LBB36_47:                              ;   in Loop: Header=BB36_23 Depth=2
	s_or_b64 exec, exec, s[0:1]
	s_add_u32 s0, s43, s28
	s_addc_u32 s1, s44, s29
	s_add_i32 s16, s26, 1
	s_lshl_b64 s[28:29], s[16:17], 2
	s_add_u32 s30, s39, s28
	s_addc_u32 s31, s40, s29
	s_load_dword s16, s[30:31], 0x0
	s_load_dword s61, s[0:1], 0x0
                                        ; implicit-def: $vgpr22_vgpr23
	s_waitcnt lgkmcnt(0)
	s_ashr_i32 s0, s16, 31
	v_or_b32_e32 v3, s0, v21
	v_cmp_ne_u64_e32 vcc, 0, v[2:3]
	s_and_saveexec_b64 s[30:31], vcc
	s_xor_b64 s[30:31], exec, s[30:31]
	s_cbranch_execz .LBB36_49
; %bb.48:                               ;   in Loop: Header=BB36_23 Depth=2
	s_add_u32 s36, s16, s0
	s_mov_b32 s34, s0
	s_mov_b32 s35, s0
	s_addc_u32 s37, s0, s0
	s_xor_b64 s[36:37], s[36:37], s[34:35]
	v_cvt_f32_u32_e32 v3, s36
	v_cvt_f32_u32_e32 v5, s37
	s_sub_u32 s0, 0, s36
	s_subb_u32 s1, 0, s37
	v_mac_f32_e32 v3, 0x4f800000, v5
	v_rcp_f32_e32 v3, v3
	v_mul_f32_e32 v3, 0x5f7ffffc, v3
	v_mul_f32_e32 v5, 0x2f800000, v3
	v_trunc_f32_e32 v5, v5
	v_mac_f32_e32 v3, 0xcf800000, v5
	v_cvt_u32_f32_e32 v5, v5
	v_cvt_u32_f32_e32 v3, v3
	v_mul_lo_u32 v7, s0, v5
	v_mul_hi_u32 v11, s0, v3
	v_mul_lo_u32 v9, s1, v3
	v_add_u32_e32 v7, v11, v7
	v_mul_lo_u32 v13, s0, v3
	v_add_u32_e32 v7, v7, v9
	v_mul_lo_u32 v11, v3, v7
	v_mul_hi_u32 v15, v3, v13
	v_mul_hi_u32 v9, v3, v7
	v_add_co_u32_e32 v11, vcc, v15, v11
	v_addc_co_u32_e32 v9, vcc, 0, v9, vcc
	v_mul_hi_u32 v17, v5, v13
	v_mul_lo_u32 v13, v5, v13
	v_add_co_u32_e32 v11, vcc, v11, v13
	v_mul_hi_u32 v15, v5, v7
	v_addc_co_u32_e32 v9, vcc, v9, v17, vcc
	v_addc_co_u32_e32 v11, vcc, 0, v15, vcc
	v_mul_lo_u32 v7, v5, v7
	v_add_co_u32_e32 v7, vcc, v9, v7
	v_addc_co_u32_e32 v9, vcc, 0, v11, vcc
	v_add_co_u32_e32 v3, vcc, v3, v7
	v_addc_co_u32_e32 v5, vcc, v5, v9, vcc
	v_mul_lo_u32 v7, s0, v5
	v_mul_hi_u32 v9, s0, v3
	v_add_u32_e32 v7, v9, v7
	v_mul_lo_u32 v9, s1, v3
	v_add_u32_e32 v7, v7, v9
	v_mul_lo_u32 v11, s0, v3
	v_mul_hi_u32 v13, v5, v11
	v_mul_lo_u32 v15, v5, v11
	v_mul_lo_u32 v19, v3, v7
	v_mul_hi_u32 v11, v3, v11
	v_mul_hi_u32 v17, v3, v7
	v_add_co_u32_e32 v11, vcc, v11, v19
	v_addc_co_u32_e32 v17, vcc, 0, v17, vcc
	v_add_co_u32_e32 v11, vcc, v11, v15
	v_mul_hi_u32 v9, v5, v7
	v_addc_co_u32_e32 v11, vcc, v17, v13, vcc
	v_addc_co_u32_e32 v9, vcc, 0, v9, vcc
	v_mul_lo_u32 v7, v5, v7
	v_add_co_u32_e32 v7, vcc, v11, v7
	v_addc_co_u32_e32 v9, vcc, 0, v9, vcc
	v_add_co_u32_e32 v3, vcc, v3, v7
	v_addc_co_u32_e32 v5, vcc, v5, v9, vcc
	v_ashrrev_i32_e32 v7, 31, v21
	v_add_co_u32_e32 v9, vcc, v20, v7
	v_xor_b32_e32 v9, v9, v7
	v_addc_co_u32_e32 v11, vcc, v21, v7, vcc
	v_mad_u64_u32 v[22:23], s[0:1], v9, v5, 0
	v_mul_hi_u32 v13, v9, v3
	v_xor_b32_e32 v11, v11, v7
	v_add_co_u32_e32 v13, vcc, v13, v22
	v_addc_co_u32_e32 v15, vcc, 0, v23, vcc
	v_mad_u64_u32 v[24:25], s[0:1], v11, v3, 0
	v_add_co_u32_e32 v3, vcc, v13, v24
	v_mad_u64_u32 v[22:23], s[0:1], v11, v5, 0
	v_addc_co_u32_e32 v3, vcc, v15, v25, vcc
	v_addc_co_u32_e32 v5, vcc, 0, v23, vcc
	v_add_co_u32_e32 v3, vcc, v3, v22
	v_addc_co_u32_e32 v5, vcc, 0, v5, vcc
	v_mul_lo_u32 v13, s37, v3
	v_mul_lo_u32 v15, s36, v5
	v_mad_u64_u32 v[22:23], s[0:1], s36, v3, 0
	v_add3_u32 v13, v23, v15, v13
	v_sub_u32_e32 v15, v11, v13
	v_mov_b32_e32 v17, s37
	v_sub_co_u32_e32 v9, vcc, v9, v22
	v_subb_co_u32_e64 v15, s[0:1], v15, v17, vcc
	v_subrev_co_u32_e64 v17, s[0:1], s36, v9
	v_subbrev_co_u32_e64 v15, s[0:1], 0, v15, s[0:1]
	v_cmp_le_u32_e64 s[0:1], s37, v15
	v_cndmask_b32_e64 v19, 0, -1, s[0:1]
	v_cmp_le_u32_e64 s[0:1], s36, v17
	v_cndmask_b32_e64 v17, 0, -1, s[0:1]
	v_cmp_eq_u32_e64 s[0:1], s37, v15
	v_cndmask_b32_e64 v15, v19, v17, s[0:1]
	v_add_co_u32_e64 v17, s[0:1], 2, v3
	v_subb_co_u32_e32 v11, vcc, v11, v13, vcc
	v_addc_co_u32_e64 v19, s[0:1], 0, v5, s[0:1]
	v_cmp_le_u32_e32 vcc, s37, v11
	v_add_co_u32_e64 v21, s[0:1], 1, v3
	v_cndmask_b32_e64 v13, 0, -1, vcc
	v_cmp_le_u32_e32 vcc, s36, v9
	v_addc_co_u32_e64 v22, s[0:1], 0, v5, s[0:1]
	v_cndmask_b32_e64 v9, 0, -1, vcc
	v_cmp_eq_u32_e32 vcc, s37, v11
	v_cmp_ne_u32_e64 s[0:1], 0, v15
	v_cndmask_b32_e32 v9, v13, v9, vcc
	v_cmp_ne_u32_e32 vcc, 0, v9
	v_cndmask_b32_e64 v9, v21, v17, s[0:1]
	v_cndmask_b32_e64 v15, v22, v19, s[0:1]
	v_cndmask_b32_e32 v3, v3, v9, vcc
	v_xor_b32_e32 v9, s35, v7
	v_xor_b32_e32 v7, s34, v7
	v_cndmask_b32_e32 v5, v5, v15, vcc
	v_xor_b32_e32 v3, v3, v7
	v_xor_b32_e32 v5, v5, v9
	v_sub_co_u32_e32 v22, vcc, v3, v7
	v_subb_co_u32_e32 v23, vcc, v5, v9, vcc
.LBB36_49:                              ;   in Loop: Header=BB36_23 Depth=2
	s_andn2_saveexec_b64 s[0:1], s[30:31]
	s_cbranch_execz .LBB36_51
; %bb.50:                               ;   in Loop: Header=BB36_23 Depth=2
	v_cvt_f32_u32_e32 v3, s16
	s_sub_i32 s27, 0, s16
	v_mov_b32_e32 v23, v2
	v_rcp_iflag_f32_e32 v3, v3
	v_mul_f32_e32 v3, 0x4f7ffffe, v3
	v_cvt_u32_f32_e32 v3, v3
	v_mul_lo_u32 v5, s27, v3
	v_mul_hi_u32 v5, v3, v5
	v_add_u32_e32 v3, v3, v5
	v_mul_hi_u32 v3, v20, v3
	v_mul_lo_u32 v5, v3, s16
	v_sub_u32_e32 v5, v20, v5
	v_add_u32_e32 v7, 1, v3
	v_subrev_u32_e32 v9, s16, v5
	v_cmp_le_u32_e32 vcc, s16, v5
	v_cndmask_b32_e32 v5, v5, v9, vcc
	v_cndmask_b32_e32 v3, v3, v7, vcc
	v_add_u32_e32 v7, 1, v3
	v_cmp_le_u32_e32 vcc, s16, v5
	v_cndmask_b32_e32 v22, v3, v7, vcc
.LBB36_51:                              ;   in Loop: Header=BB36_23 Depth=2
	s_or_b64 exec, exec, s[0:1]
	s_add_u32 s0, s43, s28
	s_mov_b32 s27, s17
	s_addc_u32 s1, s44, s29
	s_lshl_b64 s[28:29], s[26:27], 2
	s_add_u32 s30, s39, s28
	s_addc_u32 s31, s40, s29
	s_load_dword s27, s[30:31], 0x0
	s_load_dword s62, s[0:1], 0x0
                                        ; implicit-def: $vgpr24_vgpr25
	s_waitcnt lgkmcnt(0)
	s_ashr_i32 s0, s27, 31
	v_or_b32_e32 v3, s0, v23
	v_cmp_ne_u64_e32 vcc, 0, v[2:3]
	s_and_saveexec_b64 s[30:31], vcc
	s_xor_b64 s[30:31], exec, s[30:31]
	s_cbranch_execz .LBB36_53
; %bb.52:                               ;   in Loop: Header=BB36_23 Depth=2
	s_add_u32 s36, s27, s0
	s_mov_b32 s34, s0
	s_mov_b32 s35, s0
	s_addc_u32 s37, s0, s0
	s_xor_b64 s[36:37], s[36:37], s[34:35]
	v_cvt_f32_u32_e32 v3, s36
	v_cvt_f32_u32_e32 v5, s37
	s_sub_u32 s0, 0, s36
	s_subb_u32 s1, 0, s37
	v_mac_f32_e32 v3, 0x4f800000, v5
	v_rcp_f32_e32 v3, v3
	v_mul_f32_e32 v3, 0x5f7ffffc, v3
	v_mul_f32_e32 v5, 0x2f800000, v3
	v_trunc_f32_e32 v5, v5
	v_mac_f32_e32 v3, 0xcf800000, v5
	v_cvt_u32_f32_e32 v5, v5
	v_cvt_u32_f32_e32 v3, v3
	v_mul_lo_u32 v7, s0, v5
	v_mul_hi_u32 v11, s0, v3
	v_mul_lo_u32 v9, s1, v3
	v_add_u32_e32 v7, v11, v7
	v_mul_lo_u32 v13, s0, v3
	v_add_u32_e32 v7, v7, v9
	v_mul_lo_u32 v11, v3, v7
	v_mul_hi_u32 v15, v3, v13
	v_mul_hi_u32 v9, v3, v7
	v_add_co_u32_e32 v11, vcc, v15, v11
	v_addc_co_u32_e32 v9, vcc, 0, v9, vcc
	v_mul_hi_u32 v17, v5, v13
	v_mul_lo_u32 v13, v5, v13
	v_add_co_u32_e32 v11, vcc, v11, v13
	v_mul_hi_u32 v15, v5, v7
	v_addc_co_u32_e32 v9, vcc, v9, v17, vcc
	v_addc_co_u32_e32 v11, vcc, 0, v15, vcc
	v_mul_lo_u32 v7, v5, v7
	v_add_co_u32_e32 v7, vcc, v9, v7
	v_addc_co_u32_e32 v9, vcc, 0, v11, vcc
	v_add_co_u32_e32 v3, vcc, v3, v7
	v_addc_co_u32_e32 v5, vcc, v5, v9, vcc
	v_mul_lo_u32 v7, s0, v5
	v_mul_hi_u32 v9, s0, v3
	v_add_u32_e32 v7, v9, v7
	v_mul_lo_u32 v9, s1, v3
	v_add_u32_e32 v7, v7, v9
	v_mul_lo_u32 v11, s0, v3
	v_mul_hi_u32 v13, v5, v11
	v_mul_lo_u32 v15, v5, v11
	v_mul_lo_u32 v19, v3, v7
	v_mul_hi_u32 v11, v3, v11
	v_mul_hi_u32 v17, v3, v7
	v_add_co_u32_e32 v11, vcc, v11, v19
	v_addc_co_u32_e32 v17, vcc, 0, v17, vcc
	v_add_co_u32_e32 v11, vcc, v11, v15
	v_mul_hi_u32 v9, v5, v7
	v_addc_co_u32_e32 v11, vcc, v17, v13, vcc
	v_addc_co_u32_e32 v9, vcc, 0, v9, vcc
	v_mul_lo_u32 v7, v5, v7
	v_add_co_u32_e32 v7, vcc, v11, v7
	v_addc_co_u32_e32 v9, vcc, 0, v9, vcc
	v_add_co_u32_e32 v3, vcc, v3, v7
	v_addc_co_u32_e32 v5, vcc, v5, v9, vcc
	v_ashrrev_i32_e32 v7, 31, v23
	v_add_co_u32_e32 v9, vcc, v22, v7
	v_xor_b32_e32 v9, v9, v7
	v_addc_co_u32_e32 v11, vcc, v23, v7, vcc
	v_mad_u64_u32 v[24:25], s[0:1], v9, v5, 0
	v_mul_hi_u32 v13, v9, v3
	v_xor_b32_e32 v11, v11, v7
	v_add_co_u32_e32 v13, vcc, v13, v24
	v_addc_co_u32_e32 v15, vcc, 0, v25, vcc
	v_mad_u64_u32 v[30:31], s[0:1], v11, v3, 0
	v_add_co_u32_e32 v3, vcc, v13, v30
	v_mad_u64_u32 v[24:25], s[0:1], v11, v5, 0
	v_addc_co_u32_e32 v3, vcc, v15, v31, vcc
	v_addc_co_u32_e32 v5, vcc, 0, v25, vcc
	v_add_co_u32_e32 v3, vcc, v3, v24
	v_addc_co_u32_e32 v5, vcc, 0, v5, vcc
	v_mul_lo_u32 v13, s37, v3
	v_mul_lo_u32 v15, s36, v5
	v_mad_u64_u32 v[24:25], s[0:1], s36, v3, 0
	v_add3_u32 v13, v25, v15, v13
	v_sub_u32_e32 v15, v11, v13
	v_mov_b32_e32 v17, s37
	v_sub_co_u32_e32 v9, vcc, v9, v24
	v_subb_co_u32_e64 v15, s[0:1], v15, v17, vcc
	v_subrev_co_u32_e64 v17, s[0:1], s36, v9
	v_subbrev_co_u32_e64 v15, s[0:1], 0, v15, s[0:1]
	v_cmp_le_u32_e64 s[0:1], s37, v15
	v_cndmask_b32_e64 v19, 0, -1, s[0:1]
	v_cmp_le_u32_e64 s[0:1], s36, v17
	v_cndmask_b32_e64 v17, 0, -1, s[0:1]
	v_cmp_eq_u32_e64 s[0:1], s37, v15
	v_cndmask_b32_e64 v15, v19, v17, s[0:1]
	v_add_co_u32_e64 v17, s[0:1], 2, v3
	v_subb_co_u32_e32 v11, vcc, v11, v13, vcc
	v_addc_co_u32_e64 v19, s[0:1], 0, v5, s[0:1]
	v_cmp_le_u32_e32 vcc, s37, v11
	v_add_co_u32_e64 v21, s[0:1], 1, v3
	v_cndmask_b32_e64 v13, 0, -1, vcc
	v_cmp_le_u32_e32 vcc, s36, v9
	v_addc_co_u32_e64 v23, s[0:1], 0, v5, s[0:1]
	v_cndmask_b32_e64 v9, 0, -1, vcc
	v_cmp_eq_u32_e32 vcc, s37, v11
	v_cmp_ne_u32_e64 s[0:1], 0, v15
	v_cndmask_b32_e32 v9, v13, v9, vcc
	v_cmp_ne_u32_e32 vcc, 0, v9
	v_cndmask_b32_e64 v9, v21, v17, s[0:1]
	v_cndmask_b32_e64 v15, v23, v19, s[0:1]
	v_cndmask_b32_e32 v3, v3, v9, vcc
	v_xor_b32_e32 v9, s35, v7
	v_xor_b32_e32 v7, s34, v7
	v_cndmask_b32_e32 v5, v5, v15, vcc
	v_xor_b32_e32 v3, v3, v7
	v_xor_b32_e32 v5, v5, v9
	v_sub_co_u32_e32 v24, vcc, v3, v7
	v_subb_co_u32_e32 v25, vcc, v5, v9, vcc
.LBB36_53:                              ;   in Loop: Header=BB36_23 Depth=2
	s_andn2_saveexec_b64 s[0:1], s[30:31]
	s_cbranch_execz .LBB36_55
; %bb.54:                               ;   in Loop: Header=BB36_23 Depth=2
	v_cvt_f32_u32_e32 v3, s27
	s_sub_i32 s30, 0, s27
	v_mov_b32_e32 v25, v2
	v_rcp_iflag_f32_e32 v3, v3
	v_mul_f32_e32 v3, 0x4f7ffffe, v3
	v_cvt_u32_f32_e32 v3, v3
	v_mul_lo_u32 v5, s30, v3
	v_mul_hi_u32 v5, v3, v5
	v_add_u32_e32 v3, v3, v5
	v_mul_hi_u32 v3, v22, v3
	v_mul_lo_u32 v5, v3, s27
	v_sub_u32_e32 v5, v22, v5
	v_add_u32_e32 v7, 1, v3
	v_subrev_u32_e32 v9, s27, v5
	v_cmp_le_u32_e32 vcc, s27, v5
	v_cndmask_b32_e32 v5, v5, v9, vcc
	v_cndmask_b32_e32 v3, v3, v7, vcc
	v_add_u32_e32 v7, 1, v3
	v_cmp_le_u32_e32 vcc, s27, v5
	v_cndmask_b32_e32 v24, v3, v7, vcc
.LBB36_55:                              ;   in Loop: Header=BB36_23 Depth=2
	s_or_b64 exec, exec, s[0:1]
	v_mul_lo_u32 v3, v10, s50
	v_mul_lo_u32 v5, v12, s51
	v_sub_u32_e32 v3, v8, v3
	v_sub_u32_e32 v5, v10, v5
	v_mul_lo_u32 v3, s52, v3
	v_mul_lo_u32 v5, s54, v5
	v_add3_u32 v3, v3, v6, v5
	v_mul_lo_u32 v5, v14, s53
	v_mul_lo_u32 v6, v16, s55
	v_sub_u32_e32 v5, v12, v5
	v_sub_u32_e32 v6, v14, v6
	s_add_u32 s0, s43, s28
	v_mul_lo_u32 v5, s56, v5
	v_mul_lo_u32 v6, s58, v6
	s_addc_u32 s1, s44, s29
	v_add3_u32 v3, v5, v3, v6
	v_mul_lo_u32 v5, v18, s57
	v_mul_lo_u32 v6, v20, s59
	s_load_dword s0, s[0:1], 0x0
	v_sub_u32_e32 v5, v16, v5
	v_sub_u32_e32 v6, v18, v6
	v_mul_lo_u32 v5, s60, v5
	v_mul_lo_u32 v6, s61, v6
	v_add3_u32 v3, v5, v3, v6
	v_mul_lo_u32 v5, v22, s16
	v_mul_lo_u32 v6, v24, s27
	v_sub_u32_e32 v5, v20, v5
	v_sub_u32_e32 v6, v22, v6
	v_mul_lo_u32 v5, s62, v5
	s_waitcnt lgkmcnt(0)
	v_mul_lo_u32 v6, s0, v6
	s_add_i32 s26, s26, -8
	s_cmp_eq_u32 s26, -8
	v_add3_u32 v6, v5, v3, v6
	s_cbranch_scc1 .LBB36_57
; %bb.56:                               ;   in Loop: Header=BB36_23 Depth=2
	v_pk_mov_b32 v[8:9], v[24:25], v[24:25] op_sel:[0,1]
	s_branch .LBB36_23
.LBB36_57:                              ;   in Loop: Header=BB36_3 Depth=1
	s_load_dword s16, s[14:15], 0x0
	s_waitcnt lgkmcnt(0)
	v_cmp_gt_i32_e32 vcc, s16, v28
	s_and_b64 exec, exec, vcc
	s_cbranch_execz .LBB36_2
; %bb.58:                               ;   in Loop: Header=BB36_3 Depth=1
	v_ashrrev_i32_e32 v5, 31, v4
	v_cmp_lt_i64_e32 vcc, s[8:9], v[4:5]
	s_and_saveexec_b64 s[0:1], vcc
	s_cbranch_execz .LBB36_60
; %bb.59:                               ;   in Loop: Header=BB36_3 Depth=1
	v_ashrrev_i32_e32 v7, 31, v6
	v_lshlrev_b64 v[4:5], 2, v[6:7]
	v_mov_b32_e32 v3, s3
	v_add_co_u32_e32 v4, vcc, s2, v4
	v_addc_co_u32_e32 v5, vcc, v3, v5, vcc
	global_store_dword v[4:5], v2, off
.LBB36_60:                              ;   in Loop: Header=BB36_3 Depth=1
	s_or_b64 exec, exec, s[0:1]
	v_add_u32_e32 v3, 1, v28
	v_cmp_gt_i32_e32 vcc, s16, v3
	s_and_b64 exec, exec, vcc
	s_cbranch_execz .LBB36_2
; %bb.61:                               ;   in Loop: Header=BB36_3 Depth=1
	v_sub_u32_e32 v4, v3, v27
	v_ashrrev_i32_e32 v5, 31, v4
	v_cmp_lt_i64_e32 vcc, s[8:9], v[4:5]
	s_and_b64 exec, exec, vcc
	s_cbranch_execz .LBB36_2
; %bb.62:                               ;   in Loop: Header=BB36_3 Depth=1
	v_add_u32_e32 v4, s49, v6
	v_ashrrev_i32_e32 v5, 31, v4
	v_lshlrev_b64 v[4:5], 2, v[4:5]
	v_mov_b32_e32 v3, s3
	v_add_co_u32_e32 v4, vcc, s2, v4
	v_addc_co_u32_e32 v5, vcc, v3, v5, vcc
	global_store_dword v[4:5], v2, off
	s_branch .LBB36_2
.LBB36_63:
	s_endpgm
	.section	.rodata,"a",@progbits
	.p2align	6, 0x0
	.amdhsa_kernel _ZN2at6native16triu_tril_kernelIN3c107complexINS2_4HalfEEEiLb0ELi2ELb1EEEvNS_4cuda6detail10TensorInfoIT_T0_EENS8_IKS9_SA_EEllSA_
		.amdhsa_group_segment_fixed_size 0
		.amdhsa_private_segment_fixed_size 0
		.amdhsa_kernarg_size 712
		.amdhsa_user_sgpr_count 6
		.amdhsa_user_sgpr_private_segment_buffer 1
		.amdhsa_user_sgpr_dispatch_ptr 0
		.amdhsa_user_sgpr_queue_ptr 0
		.amdhsa_user_sgpr_kernarg_segment_ptr 1
		.amdhsa_user_sgpr_dispatch_id 0
		.amdhsa_user_sgpr_flat_scratch_init 0
		.amdhsa_user_sgpr_kernarg_preload_length 0
		.amdhsa_user_sgpr_kernarg_preload_offset 0
		.amdhsa_user_sgpr_private_segment_size 0
		.amdhsa_uses_dynamic_stack 0
		.amdhsa_system_sgpr_private_segment_wavefront_offset 0
		.amdhsa_system_sgpr_workgroup_id_x 1
		.amdhsa_system_sgpr_workgroup_id_y 0
		.amdhsa_system_sgpr_workgroup_id_z 0
		.amdhsa_system_sgpr_workgroup_info 0
		.amdhsa_system_vgpr_workitem_id 0
		.amdhsa_next_free_vgpr 32
		.amdhsa_next_free_sgpr 63
		.amdhsa_accum_offset 32
		.amdhsa_reserve_vcc 1
		.amdhsa_reserve_flat_scratch 0
		.amdhsa_float_round_mode_32 0
		.amdhsa_float_round_mode_16_64 0
		.amdhsa_float_denorm_mode_32 3
		.amdhsa_float_denorm_mode_16_64 3
		.amdhsa_dx10_clamp 1
		.amdhsa_ieee_mode 1
		.amdhsa_fp16_overflow 0
		.amdhsa_tg_split 0
		.amdhsa_exception_fp_ieee_invalid_op 0
		.amdhsa_exception_fp_denorm_src 0
		.amdhsa_exception_fp_ieee_div_zero 0
		.amdhsa_exception_fp_ieee_overflow 0
		.amdhsa_exception_fp_ieee_underflow 0
		.amdhsa_exception_fp_ieee_inexact 0
		.amdhsa_exception_int_div_zero 0
	.end_amdhsa_kernel
	.section	.text._ZN2at6native16triu_tril_kernelIN3c107complexINS2_4HalfEEEiLb0ELi2ELb1EEEvNS_4cuda6detail10TensorInfoIT_T0_EENS8_IKS9_SA_EEllSA_,"axG",@progbits,_ZN2at6native16triu_tril_kernelIN3c107complexINS2_4HalfEEEiLb0ELi2ELb1EEEvNS_4cuda6detail10TensorInfoIT_T0_EENS8_IKS9_SA_EEllSA_,comdat
.Lfunc_end36:
	.size	_ZN2at6native16triu_tril_kernelIN3c107complexINS2_4HalfEEEiLb0ELi2ELb1EEEvNS_4cuda6detail10TensorInfoIT_T0_EENS8_IKS9_SA_EEllSA_, .Lfunc_end36-_ZN2at6native16triu_tril_kernelIN3c107complexINS2_4HalfEEEiLb0ELi2ELb1EEEvNS_4cuda6detail10TensorInfoIT_T0_EENS8_IKS9_SA_EEllSA_
                                        ; -- End function
	.section	.AMDGPU.csdata,"",@progbits
; Kernel info:
; codeLenInByte = 10136
; NumSgprs: 67
; NumVgprs: 32
; NumAgprs: 0
; TotalNumVgprs: 32
; ScratchSize: 0
; MemoryBound: 0
; FloatMode: 240
; IeeeMode: 1
; LDSByteSize: 0 bytes/workgroup (compile time only)
; SGPRBlocks: 8
; VGPRBlocks: 3
; NumSGPRsForWavesPerEU: 67
; NumVGPRsForWavesPerEU: 32
; AccumOffset: 32
; Occupancy: 8
; WaveLimiterHint : 0
; COMPUTE_PGM_RSRC2:SCRATCH_EN: 0
; COMPUTE_PGM_RSRC2:USER_SGPR: 6
; COMPUTE_PGM_RSRC2:TRAP_HANDLER: 0
; COMPUTE_PGM_RSRC2:TGID_X_EN: 1
; COMPUTE_PGM_RSRC2:TGID_Y_EN: 0
; COMPUTE_PGM_RSRC2:TGID_Z_EN: 0
; COMPUTE_PGM_RSRC2:TIDIG_COMP_CNT: 0
; COMPUTE_PGM_RSRC3_GFX90A:ACCUM_OFFSET: 7
; COMPUTE_PGM_RSRC3_GFX90A:TG_SPLIT: 0
	.section	.text._ZN2at6native16triu_tril_kernelIN3c107complexINS2_4HalfEEEiLb0ELi2ELb0EEEvNS_4cuda6detail10TensorInfoIT_T0_EENS8_IKS9_SA_EEllSA_,"axG",@progbits,_ZN2at6native16triu_tril_kernelIN3c107complexINS2_4HalfEEEiLb0ELi2ELb0EEEvNS_4cuda6detail10TensorInfoIT_T0_EENS8_IKS9_SA_EEllSA_,comdat
	.protected	_ZN2at6native16triu_tril_kernelIN3c107complexINS2_4HalfEEEiLb0ELi2ELb0EEEvNS_4cuda6detail10TensorInfoIT_T0_EENS8_IKS9_SA_EEllSA_ ; -- Begin function _ZN2at6native16triu_tril_kernelIN3c107complexINS2_4HalfEEEiLb0ELi2ELb0EEEvNS_4cuda6detail10TensorInfoIT_T0_EENS8_IKS9_SA_EEllSA_
	.globl	_ZN2at6native16triu_tril_kernelIN3c107complexINS2_4HalfEEEiLb0ELi2ELb0EEEvNS_4cuda6detail10TensorInfoIT_T0_EENS8_IKS9_SA_EEllSA_
	.p2align	8
	.type	_ZN2at6native16triu_tril_kernelIN3c107complexINS2_4HalfEEEiLb0ELi2ELb0EEEvNS_4cuda6detail10TensorInfoIT_T0_EENS8_IKS9_SA_EEllSA_,@function
_ZN2at6native16triu_tril_kernelIN3c107complexINS2_4HalfEEEiLb0ELi2ELb0EEEvNS_4cuda6detail10TensorInfoIT_T0_EENS8_IKS9_SA_EEllSA_: ; @_ZN2at6native16triu_tril_kernelIN3c107complexINS2_4HalfEEEiLb0ELi2ELb0EEEvNS_4cuda6detail10TensorInfoIT_T0_EENS8_IKS9_SA_EEllSA_
; %bb.0:
	s_load_dword s2, s[4:5], 0x1d4
	s_load_dwordx4 s[8:11], s[4:5], 0x1b0
	s_add_u32 s0, s4, 0x1c8
	v_mov_b32_e32 v2, 0
	s_addc_u32 s1, s5, 0
	s_waitcnt lgkmcnt(0)
	s_and_b32 s2, s2, 0xffff
	v_mov_b32_e32 v1, v2
	v_mov_b32_e32 v3, s6
	v_mad_u64_u32 v[0:1], s[6:7], s2, v3, v[0:1]
	v_lshlrev_b64 v[0:1], 1, v[0:1]
	v_cmp_gt_i64_e32 vcc, s[10:11], v[0:1]
	s_and_saveexec_b64 s[6:7], vcc
	s_cbranch_execz .LBB37_52
; %bb.1:
	s_load_dword s20, s[4:5], 0x1a8
	s_add_u32 s33, s4, 0xd8
	s_addc_u32 s42, s5, 0
	s_load_dword s3, s[0:1], 0x0
	s_load_dwordx2 s[6:7], s[4:5], 0xd8
	s_mov_b64 s[26:27], 0
	s_waitcnt lgkmcnt(0)
	s_ashr_i32 s21, s20, 31
	s_lshl_b64 s[0:1], s[20:21], 2
	s_add_u32 s18, s0, -8
	s_addc_u32 s19, s1, -1
	s_add_u32 s0, s33, s18
	s_addc_u32 s1, s42, s19
	s_load_dwordx2 s[12:13], s[0:1], 0x8
	s_load_dword s43, s[4:5], 0x1c0
	s_load_dwordx2 s[16:17], s[0:1], 0x6c
	s_mul_i32 s3, s3, s2
	v_cmp_gt_i64_e64 s[14:15], s[20:21], 2
	s_waitcnt lgkmcnt(0)
	s_ashr_i32 s44, s12, 31
	v_cvt_f32_u32_e32 v3, s43
	s_ashr_i32 s45, s43, 31
	s_add_u32 s46, s4, 0x6c
	s_addc_u32 s47, s5, 0
	s_add_u32 s0, s46, s18
	v_rcp_iflag_f32_e32 v3, v3
	s_addc_u32 s1, s47, s19
	s_load_dwordx2 s[18:19], s[0:1], 0x0
	s_add_i32 s48, s20, -3
	s_load_dwordx2 s[4:5], s[4:5], 0x0
	s_lshl_b32 s49, s3, 1
	s_and_b32 s51, s20, 3
	v_mul_f32_e32 v3, 0x4f7ffffe, v3
	s_cmp_lg_u32 s51, 2
	v_cvt_u32_f32_e32 v22, v3
	s_cselect_b64 s[22:23], -1, 0
	s_cmp_gt_u32 s48, 2
	s_mov_b32 s21, 0
	s_cselect_b64 s[24:25], -1, 0
	s_ashr_i32 s1, s17, 31
	s_mov_b32 s0, s17
	s_waitcnt lgkmcnt(0)
	s_ashr_i32 s3, s19, 31
	s_mov_b32 s2, s19
	s_mov_b32 s50, s21
	s_lshl_b64 s[28:29], s[0:1], 2
	s_mov_b32 s52, 0xffff0000
	s_lshl_b64 s[30:31], s[2:3], 2
	s_branch .LBB37_3
.LBB37_2:                               ;   in Loop: Header=BB37_3 Depth=1
	s_or_b64 exec, exec, s[0:1]
	v_mov_b32_e32 v3, s50
	v_add_co_u32_e32 v0, vcc, s49, v0
	v_addc_co_u32_e32 v1, vcc, v1, v3, vcc
	v_cmp_le_i64_e32 vcc, s[10:11], v[0:1]
	s_or_b64 s[26:27], vcc, s[26:27]
	s_andn2_b64 exec, exec, s[26:27]
	s_cbranch_execz .LBB37_52
.LBB37_3:                               ; =>This Loop Header: Depth=1
                                        ;     Child Loop BB37_37 Depth 2
                                        ;     Child Loop BB37_18 Depth 2
	v_or_b32_e32 v3, s45, v1
	v_cmp_ne_u64_e32 vcc, 0, v[2:3]
                                        ; implicit-def: $vgpr4_vgpr5
                                        ; implicit-def: $vgpr14_vgpr15
	s_and_saveexec_b64 s[0:1], vcc
	s_xor_b64 s[34:35], exec, s[0:1]
	s_cbranch_execz .LBB37_5
; %bb.4:                                ;   in Loop: Header=BB37_3 Depth=1
	s_add_u32 s0, s43, s45
	s_mov_b32 s2, s45
	s_mov_b32 s3, s45
	s_addc_u32 s1, s45, s45
	s_xor_b64 s[36:37], s[0:1], s[2:3]
	v_cvt_f32_u32_e32 v3, s36
	v_cvt_f32_u32_e32 v4, s37
	s_sub_u32 s0, 0, s36
	s_subb_u32 s1, 0, s37
	v_mac_f32_e32 v3, 0x4f800000, v4
	v_rcp_f32_e32 v3, v3
	v_mul_f32_e32 v3, 0x5f7ffffc, v3
	v_mul_f32_e32 v4, 0x2f800000, v3
	v_trunc_f32_e32 v4, v4
	v_mac_f32_e32 v3, 0xcf800000, v4
	v_cvt_u32_f32_e32 v4, v4
	v_cvt_u32_f32_e32 v3, v3
	v_mul_lo_u32 v5, s0, v4
	v_mul_hi_u32 v7, s0, v3
	v_mul_lo_u32 v6, s1, v3
	v_add_u32_e32 v5, v7, v5
	v_mul_lo_u32 v8, s0, v3
	v_add_u32_e32 v5, v5, v6
	v_mul_lo_u32 v7, v3, v5
	v_mul_hi_u32 v9, v3, v8
	v_mul_hi_u32 v6, v3, v5
	v_add_co_u32_e32 v7, vcc, v9, v7
	v_addc_co_u32_e32 v6, vcc, 0, v6, vcc
	v_mul_hi_u32 v10, v4, v8
	v_mul_lo_u32 v8, v4, v8
	v_add_co_u32_e32 v7, vcc, v7, v8
	v_mul_hi_u32 v9, v4, v5
	v_addc_co_u32_e32 v6, vcc, v6, v10, vcc
	v_addc_co_u32_e32 v7, vcc, 0, v9, vcc
	v_mul_lo_u32 v5, v4, v5
	v_add_co_u32_e32 v5, vcc, v6, v5
	v_addc_co_u32_e32 v6, vcc, 0, v7, vcc
	v_add_co_u32_e32 v3, vcc, v3, v5
	v_addc_co_u32_e32 v4, vcc, v4, v6, vcc
	v_mul_lo_u32 v5, s0, v4
	v_mul_hi_u32 v6, s0, v3
	v_add_u32_e32 v5, v6, v5
	v_mul_lo_u32 v6, s1, v3
	v_add_u32_e32 v5, v5, v6
	v_mul_lo_u32 v7, s0, v3
	v_mul_hi_u32 v8, v4, v7
	v_mul_lo_u32 v9, v4, v7
	v_mul_lo_u32 v11, v3, v5
	v_mul_hi_u32 v7, v3, v7
	v_mul_hi_u32 v10, v3, v5
	v_add_co_u32_e32 v7, vcc, v7, v11
	v_addc_co_u32_e32 v10, vcc, 0, v10, vcc
	v_add_co_u32_e32 v7, vcc, v7, v9
	v_mul_hi_u32 v6, v4, v5
	v_addc_co_u32_e32 v7, vcc, v10, v8, vcc
	v_addc_co_u32_e32 v6, vcc, 0, v6, vcc
	v_mul_lo_u32 v5, v4, v5
	v_add_co_u32_e32 v5, vcc, v7, v5
	v_addc_co_u32_e32 v6, vcc, 0, v6, vcc
	v_add_co_u32_e32 v3, vcc, v3, v5
	v_addc_co_u32_e32 v6, vcc, v4, v6, vcc
	v_ashrrev_i32_e32 v8, 31, v1
	v_add_co_u32_e32 v4, vcc, v0, v8
	v_addc_co_u32_e32 v5, vcc, v1, v8, vcc
	v_xor_b32_e32 v10, v4, v8
	v_xor_b32_e32 v9, v5, v8
	v_mad_u64_u32 v[4:5], s[0:1], v10, v6, 0
	v_mul_hi_u32 v7, v10, v3
	v_add_co_u32_e32 v11, vcc, v7, v4
	v_addc_co_u32_e32 v12, vcc, 0, v5, vcc
	v_mad_u64_u32 v[4:5], s[0:1], v9, v6, 0
	v_mad_u64_u32 v[6:7], s[0:1], v9, v3, 0
	v_add_co_u32_e32 v3, vcc, v11, v6
	v_addc_co_u32_e32 v3, vcc, v12, v7, vcc
	v_addc_co_u32_e32 v5, vcc, 0, v5, vcc
	v_add_co_u32_e32 v3, vcc, v3, v4
	v_addc_co_u32_e32 v6, vcc, 0, v5, vcc
	v_mul_lo_u32 v7, s37, v3
	v_mul_lo_u32 v11, s36, v6
	v_mad_u64_u32 v[4:5], s[0:1], s36, v3, 0
	v_add3_u32 v5, v5, v11, v7
	v_sub_u32_e32 v7, v9, v5
	v_mov_b32_e32 v11, s37
	v_sub_co_u32_e32 v4, vcc, v10, v4
	v_subb_co_u32_e64 v7, s[0:1], v7, v11, vcc
	v_subrev_co_u32_e64 v10, s[0:1], s36, v4
	v_subbrev_co_u32_e64 v7, s[0:1], 0, v7, s[0:1]
	v_cmp_le_u32_e64 s[0:1], s37, v7
	v_cndmask_b32_e64 v11, 0, -1, s[0:1]
	v_cmp_le_u32_e64 s[0:1], s36, v10
	v_cndmask_b32_e64 v12, 0, -1, s[0:1]
	v_cmp_eq_u32_e64 s[0:1], s37, v7
	v_cndmask_b32_e64 v7, v11, v12, s[0:1]
	v_add_co_u32_e64 v11, s[0:1], 2, v3
	v_addc_co_u32_e64 v12, s[0:1], 0, v6, s[0:1]
	v_add_co_u32_e64 v13, s[0:1], 1, v3
	v_subb_co_u32_e32 v5, vcc, v9, v5, vcc
	v_addc_co_u32_e64 v14, s[0:1], 0, v6, s[0:1]
	v_cmp_le_u32_e32 vcc, s37, v5
	v_cmp_ne_u32_e64 s[0:1], 0, v7
	v_cndmask_b32_e64 v9, 0, -1, vcc
	v_cmp_le_u32_e32 vcc, s36, v4
	v_cndmask_b32_e64 v7, v14, v12, s[0:1]
	v_cndmask_b32_e64 v12, 0, -1, vcc
	v_cmp_eq_u32_e32 vcc, s37, v5
	v_cndmask_b32_e32 v5, v9, v12, vcc
	v_cmp_ne_u32_e32 vcc, 0, v5
	v_cndmask_b32_e32 v5, v6, v7, vcc
	v_cndmask_b32_e64 v6, v13, v11, s[0:1]
	v_cndmask_b32_e32 v3, v3, v6, vcc
	v_xor_b32_e32 v7, s2, v8
	v_xor_b32_e32 v6, s3, v8
	;; [unrolled: 1-line block ×4, first 2 shown]
	v_sub_co_u32_e64 v14, s[2:3], v3, v7
	v_subb_co_u32_e64 v15, s[2:3], v5, v6, s[2:3]
	v_subrev_co_u32_e64 v3, s[2:3], s36, v10
	v_cndmask_b32_e64 v3, v10, v3, s[0:1]
	v_cndmask_b32_e32 v3, v4, v3, vcc
	v_xor_b32_e32 v3, v3, v8
	v_sub_co_u32_e32 v4, vcc, v3, v8
.LBB37_5:                               ;   in Loop: Header=BB37_3 Depth=1
	s_andn2_saveexec_b64 s[2:3], s[34:35]
	s_cbranch_execz .LBB37_7
; %bb.6:                                ;   in Loop: Header=BB37_3 Depth=1
	s_sub_i32 s0, 0, s43
	v_mul_lo_u32 v3, s0, v22
	v_mul_hi_u32 v3, v22, v3
	v_add_u32_e32 v3, v22, v3
	v_mul_hi_u32 v3, v0, v3
	v_mul_lo_u32 v4, v3, s43
	v_sub_u32_e32 v4, v0, v4
	v_subrev_u32_e32 v5, s43, v4
	v_cmp_le_u32_e32 vcc, s43, v4
	v_cndmask_b32_e32 v4, v4, v5, vcc
	v_subrev_u32_e32 v5, s43, v4
	v_cmp_le_u32_e64 s[0:1], s43, v4
	v_cndmask_b32_e64 v4, v4, v5, s[0:1]
	v_add_u32_e32 v5, 1, v3
	v_cndmask_b32_e32 v3, v3, v5, vcc
	v_add_u32_e32 v5, 1, v3
	v_cndmask_b32_e64 v14, v3, v5, s[0:1]
	v_mov_b32_e32 v15, v2
.LBB37_7:                               ;   in Loop: Header=BB37_3 Depth=1
	s_or_b64 exec, exec, s[2:3]
	v_or_b32_e32 v3, s44, v15
	v_cmp_ne_u64_e32 vcc, 0, v[2:3]
                                        ; implicit-def: $vgpr8_vgpr9
	s_and_saveexec_b64 s[0:1], vcc
	s_xor_b64 s[2:3], exec, s[0:1]
	s_cbranch_execz .LBB37_9
; %bb.8:                                ;   in Loop: Header=BB37_3 Depth=1
	s_add_u32 s34, s12, s44
	s_mov_b32 s0, s44
	s_mov_b32 s1, s44
	s_addc_u32 s35, s44, s44
	s_xor_b64 s[34:35], s[34:35], s[0:1]
	v_cvt_f32_u32_e32 v5, s34
	v_cvt_f32_u32_e32 v6, s35
	s_sub_u32 s0, 0, s34
	s_subb_u32 s1, 0, s35
	v_mac_f32_e32 v5, 0x4f800000, v6
	v_rcp_f32_e32 v5, v5
	v_mul_f32_e32 v5, 0x5f7ffffc, v5
	v_mul_f32_e32 v6, 0x2f800000, v5
	v_trunc_f32_e32 v6, v6
	v_mac_f32_e32 v5, 0xcf800000, v6
	v_cvt_u32_f32_e32 v6, v6
	v_cvt_u32_f32_e32 v5, v5
	v_mul_lo_u32 v7, s0, v6
	v_mul_hi_u32 v9, s0, v5
	v_mul_lo_u32 v8, s1, v5
	v_add_u32_e32 v7, v9, v7
	v_mul_lo_u32 v10, s0, v5
	v_add_u32_e32 v7, v7, v8
	v_mul_lo_u32 v9, v5, v7
	v_mul_hi_u32 v11, v5, v10
	v_mul_hi_u32 v8, v5, v7
	v_add_co_u32_e32 v9, vcc, v11, v9
	v_addc_co_u32_e32 v8, vcc, 0, v8, vcc
	v_mul_hi_u32 v12, v6, v10
	v_mul_lo_u32 v10, v6, v10
	v_add_co_u32_e32 v9, vcc, v9, v10
	v_mul_hi_u32 v11, v6, v7
	v_addc_co_u32_e32 v8, vcc, v8, v12, vcc
	v_addc_co_u32_e32 v9, vcc, 0, v11, vcc
	v_mul_lo_u32 v7, v6, v7
	v_add_co_u32_e32 v7, vcc, v8, v7
	v_addc_co_u32_e32 v8, vcc, 0, v9, vcc
	v_add_co_u32_e32 v5, vcc, v5, v7
	v_addc_co_u32_e32 v6, vcc, v6, v8, vcc
	v_mul_lo_u32 v7, s0, v6
	v_mul_hi_u32 v8, s0, v5
	v_add_u32_e32 v7, v8, v7
	v_mul_lo_u32 v8, s1, v5
	v_add_u32_e32 v7, v7, v8
	v_mul_lo_u32 v9, s0, v5
	v_mul_hi_u32 v10, v6, v9
	v_mul_lo_u32 v11, v6, v9
	v_mul_lo_u32 v13, v5, v7
	v_mul_hi_u32 v9, v5, v9
	v_mul_hi_u32 v12, v5, v7
	v_add_co_u32_e32 v9, vcc, v9, v13
	v_addc_co_u32_e32 v12, vcc, 0, v12, vcc
	v_add_co_u32_e32 v9, vcc, v9, v11
	v_mul_hi_u32 v8, v6, v7
	v_addc_co_u32_e32 v9, vcc, v12, v10, vcc
	v_addc_co_u32_e32 v8, vcc, 0, v8, vcc
	v_mul_lo_u32 v7, v6, v7
	v_add_co_u32_e32 v7, vcc, v9, v7
	v_addc_co_u32_e32 v8, vcc, 0, v8, vcc
	v_add_co_u32_e32 v5, vcc, v5, v7
	v_addc_co_u32_e32 v8, vcc, v6, v8, vcc
	v_ashrrev_i32_e32 v10, 31, v15
	v_add_co_u32_e32 v6, vcc, v14, v10
	v_addc_co_u32_e32 v7, vcc, v15, v10, vcc
	v_xor_b32_e32 v12, v6, v10
	v_xor_b32_e32 v11, v7, v10
	v_mad_u64_u32 v[6:7], s[0:1], v12, v8, 0
	v_mul_hi_u32 v9, v12, v5
	v_add_co_u32_e32 v13, vcc, v9, v6
	v_addc_co_u32_e32 v16, vcc, 0, v7, vcc
	v_mad_u64_u32 v[6:7], s[0:1], v11, v8, 0
	v_mad_u64_u32 v[8:9], s[0:1], v11, v5, 0
	v_add_co_u32_e32 v5, vcc, v13, v8
	v_addc_co_u32_e32 v5, vcc, v16, v9, vcc
	v_addc_co_u32_e32 v7, vcc, 0, v7, vcc
	v_add_co_u32_e32 v5, vcc, v5, v6
	v_addc_co_u32_e32 v6, vcc, 0, v7, vcc
	v_mul_lo_u32 v8, s35, v5
	v_mul_lo_u32 v9, s34, v6
	v_mad_u64_u32 v[6:7], s[0:1], s34, v5, 0
	v_add3_u32 v5, v7, v9, v8
	v_sub_u32_e32 v7, v11, v5
	v_mov_b32_e32 v8, s35
	v_sub_co_u32_e32 v6, vcc, v12, v6
	v_subb_co_u32_e64 v7, s[0:1], v7, v8, vcc
	v_subrev_co_u32_e64 v8, s[0:1], s34, v6
	v_subbrev_co_u32_e64 v7, s[0:1], 0, v7, s[0:1]
	v_cmp_le_u32_e64 s[0:1], s35, v7
	v_subb_co_u32_e32 v5, vcc, v11, v5, vcc
	v_cndmask_b32_e64 v9, 0, -1, s[0:1]
	v_cmp_le_u32_e64 s[0:1], s34, v8
	v_cmp_le_u32_e32 vcc, s35, v5
	v_cndmask_b32_e64 v12, 0, -1, s[0:1]
	v_cmp_eq_u32_e64 s[0:1], s35, v7
	v_cndmask_b32_e64 v11, 0, -1, vcc
	v_cmp_le_u32_e32 vcc, s34, v6
	v_cndmask_b32_e64 v7, v9, v12, s[0:1]
	v_cndmask_b32_e64 v12, 0, -1, vcc
	v_cmp_eq_u32_e32 vcc, s35, v5
	v_subrev_co_u32_e64 v9, s[0:1], s34, v8
	v_cndmask_b32_e32 v5, v11, v12, vcc
	v_cmp_ne_u32_e32 vcc, 0, v7
	v_cndmask_b32_e32 v7, v8, v9, vcc
	v_cmp_ne_u32_e32 vcc, 0, v5
	v_cndmask_b32_e32 v5, v6, v7, vcc
	v_xor_b32_e32 v5, v5, v10
	v_sub_co_u32_e32 v8, vcc, v5, v10
.LBB37_9:                               ;   in Loop: Header=BB37_3 Depth=1
	s_andn2_saveexec_b64 s[0:1], s[2:3]
	s_cbranch_execz .LBB37_11
; %bb.10:                               ;   in Loop: Header=BB37_3 Depth=1
	v_cvt_f32_u32_e32 v5, s12
	s_sub_i32 s2, 0, s12
	v_rcp_iflag_f32_e32 v5, v5
	v_mul_f32_e32 v5, 0x4f7ffffe, v5
	v_cvt_u32_f32_e32 v5, v5
	v_mul_lo_u32 v6, s2, v5
	v_mul_hi_u32 v6, v5, v6
	v_add_u32_e32 v5, v5, v6
	v_mul_hi_u32 v5, v14, v5
	v_mul_lo_u32 v5, v5, s12
	v_sub_u32_e32 v5, v14, v5
	v_subrev_u32_e32 v6, s12, v5
	v_cmp_le_u32_e32 vcc, s12, v5
	v_cndmask_b32_e32 v5, v5, v6, vcc
	v_subrev_u32_e32 v6, s12, v5
	v_cmp_le_u32_e32 vcc, s12, v5
	v_cndmask_b32_e32 v8, v5, v6, vcc
.LBB37_11:                              ;   in Loop: Header=BB37_3 Depth=1
	s_or_b64 exec, exec, s[0:1]
	v_mul_lo_u32 v6, s17, v4
	v_mad_u64_u32 v[10:11], s[0:1], s16, v8, v[6:7]
	v_mul_lo_u32 v6, s19, v4
	s_andn2_b64 vcc, exec, s[14:15]
	v_mad_u64_u32 v[6:7], s[0:1], s18, v8, v[6:7]
	s_cbranch_vccnz .LBB37_41
; %bb.12:                               ;   in Loop: Header=BB37_3 Depth=1
	v_cmp_ne_u64_e32 vcc, 0, v[2:3]
                                        ; implicit-def: $vgpr12_vgpr13
	s_and_saveexec_b64 s[0:1], vcc
	s_xor_b64 s[2:3], exec, s[0:1]
	s_cbranch_execz .LBB37_14
; %bb.13:                               ;   in Loop: Header=BB37_3 Depth=1
	s_add_u32 s0, s12, s44
	s_mov_b32 s34, s44
	s_mov_b32 s35, s44
	s_addc_u32 s1, s44, s44
	s_xor_b64 s[36:37], s[0:1], s[34:35]
	v_cvt_f32_u32_e32 v3, s36
	v_cvt_f32_u32_e32 v5, s37
	s_sub_u32 s0, 0, s36
	s_subb_u32 s1, 0, s37
	v_mac_f32_e32 v3, 0x4f800000, v5
	v_rcp_f32_e32 v3, v3
	v_mul_f32_e32 v3, 0x5f7ffffc, v3
	v_mul_f32_e32 v5, 0x2f800000, v3
	v_trunc_f32_e32 v5, v5
	v_mac_f32_e32 v3, 0xcf800000, v5
	v_cvt_u32_f32_e32 v5, v5
	v_cvt_u32_f32_e32 v3, v3
	v_mul_lo_u32 v7, s0, v5
	v_mul_hi_u32 v11, s0, v3
	v_mul_lo_u32 v9, s1, v3
	v_add_u32_e32 v7, v11, v7
	v_mul_lo_u32 v12, s0, v3
	v_add_u32_e32 v7, v7, v9
	v_mul_lo_u32 v11, v3, v7
	v_mul_hi_u32 v13, v3, v12
	v_mul_hi_u32 v9, v3, v7
	v_add_co_u32_e32 v11, vcc, v13, v11
	v_addc_co_u32_e32 v9, vcc, 0, v9, vcc
	v_mul_hi_u32 v16, v5, v12
	v_mul_lo_u32 v12, v5, v12
	v_add_co_u32_e32 v11, vcc, v11, v12
	v_mul_hi_u32 v13, v5, v7
	v_addc_co_u32_e32 v9, vcc, v9, v16, vcc
	v_addc_co_u32_e32 v11, vcc, 0, v13, vcc
	v_mul_lo_u32 v7, v5, v7
	v_add_co_u32_e32 v7, vcc, v9, v7
	v_addc_co_u32_e32 v9, vcc, 0, v11, vcc
	v_add_co_u32_e32 v3, vcc, v3, v7
	v_addc_co_u32_e32 v5, vcc, v5, v9, vcc
	v_mul_lo_u32 v7, s0, v5
	v_mul_hi_u32 v9, s0, v3
	v_add_u32_e32 v7, v9, v7
	v_mul_lo_u32 v9, s1, v3
	v_add_u32_e32 v7, v7, v9
	v_mul_lo_u32 v11, s0, v3
	v_mul_hi_u32 v12, v5, v11
	v_mul_lo_u32 v13, v5, v11
	v_mul_lo_u32 v17, v3, v7
	v_mul_hi_u32 v11, v3, v11
	v_mul_hi_u32 v16, v3, v7
	v_add_co_u32_e32 v11, vcc, v11, v17
	v_addc_co_u32_e32 v16, vcc, 0, v16, vcc
	v_add_co_u32_e32 v11, vcc, v11, v13
	v_mul_hi_u32 v9, v5, v7
	v_addc_co_u32_e32 v11, vcc, v16, v12, vcc
	v_addc_co_u32_e32 v9, vcc, 0, v9, vcc
	v_mul_lo_u32 v7, v5, v7
	v_add_co_u32_e32 v7, vcc, v11, v7
	v_addc_co_u32_e32 v9, vcc, 0, v9, vcc
	v_add_co_u32_e32 v3, vcc, v3, v7
	v_addc_co_u32_e32 v5, vcc, v5, v9, vcc
	v_ashrrev_i32_e32 v7, 31, v15
	v_add_co_u32_e32 v9, vcc, v14, v7
	v_xor_b32_e32 v9, v9, v7
	v_addc_co_u32_e32 v11, vcc, v15, v7, vcc
	v_mad_u64_u32 v[12:13], s[0:1], v9, v5, 0
	v_mul_hi_u32 v14, v9, v3
	v_xor_b32_e32 v11, v11, v7
	v_add_co_u32_e32 v16, vcc, v14, v12
	v_addc_co_u32_e32 v17, vcc, 0, v13, vcc
	v_mad_u64_u32 v[14:15], s[0:1], v11, v3, 0
	v_add_co_u32_e32 v3, vcc, v16, v14
	v_mad_u64_u32 v[12:13], s[0:1], v11, v5, 0
	v_addc_co_u32_e32 v3, vcc, v17, v15, vcc
	v_addc_co_u32_e32 v5, vcc, 0, v13, vcc
	v_add_co_u32_e32 v3, vcc, v3, v12
	v_addc_co_u32_e32 v5, vcc, 0, v5, vcc
	v_mul_lo_u32 v14, s37, v3
	v_mul_lo_u32 v15, s36, v5
	v_mad_u64_u32 v[12:13], s[0:1], s36, v3, 0
	v_add3_u32 v13, v13, v15, v14
	v_sub_u32_e32 v14, v11, v13
	v_mov_b32_e32 v15, s37
	v_sub_co_u32_e32 v9, vcc, v9, v12
	v_subb_co_u32_e64 v12, s[0:1], v14, v15, vcc
	v_subrev_co_u32_e64 v14, s[0:1], s36, v9
	v_subbrev_co_u32_e64 v12, s[0:1], 0, v12, s[0:1]
	v_cmp_le_u32_e64 s[0:1], s37, v12
	v_cndmask_b32_e64 v15, 0, -1, s[0:1]
	v_cmp_le_u32_e64 s[0:1], s36, v14
	v_cndmask_b32_e64 v14, 0, -1, s[0:1]
	v_cmp_eq_u32_e64 s[0:1], s37, v12
	v_cndmask_b32_e64 v12, v15, v14, s[0:1]
	v_add_co_u32_e64 v14, s[0:1], 2, v3
	v_subb_co_u32_e32 v11, vcc, v11, v13, vcc
	v_addc_co_u32_e64 v15, s[0:1], 0, v5, s[0:1]
	v_cmp_le_u32_e32 vcc, s37, v11
	v_add_co_u32_e64 v16, s[0:1], 1, v3
	v_cndmask_b32_e64 v13, 0, -1, vcc
	v_cmp_le_u32_e32 vcc, s36, v9
	v_addc_co_u32_e64 v17, s[0:1], 0, v5, s[0:1]
	v_cndmask_b32_e64 v9, 0, -1, vcc
	v_cmp_eq_u32_e32 vcc, s37, v11
	v_cmp_ne_u32_e64 s[0:1], 0, v12
	v_cndmask_b32_e32 v9, v13, v9, vcc
	v_cmp_ne_u32_e32 vcc, 0, v9
	v_cndmask_b32_e64 v9, v16, v14, s[0:1]
	v_cndmask_b32_e64 v12, v17, v15, s[0:1]
	v_cndmask_b32_e32 v3, v3, v9, vcc
	v_xor_b32_e32 v9, s35, v7
	v_xor_b32_e32 v7, s34, v7
	v_cndmask_b32_e32 v5, v5, v12, vcc
	v_xor_b32_e32 v3, v3, v7
	v_xor_b32_e32 v5, v5, v9
	v_sub_co_u32_e32 v12, vcc, v3, v7
	v_subb_co_u32_e32 v13, vcc, v5, v9, vcc
                                        ; implicit-def: $vgpr14_vgpr15
.LBB37_14:                              ;   in Loop: Header=BB37_3 Depth=1
	s_andn2_saveexec_b64 s[0:1], s[2:3]
	s_cbranch_execz .LBB37_16
; %bb.15:                               ;   in Loop: Header=BB37_3 Depth=1
	v_cvt_f32_u32_e32 v3, s12
	s_sub_i32 s2, 0, s12
	v_mov_b32_e32 v13, v2
	v_rcp_iflag_f32_e32 v3, v3
	v_mul_f32_e32 v3, 0x4f7ffffe, v3
	v_cvt_u32_f32_e32 v3, v3
	v_mul_lo_u32 v5, s2, v3
	v_mul_hi_u32 v5, v3, v5
	v_add_u32_e32 v3, v3, v5
	v_mul_hi_u32 v3, v14, v3
	v_mul_lo_u32 v5, v3, s12
	v_sub_u32_e32 v5, v14, v5
	v_add_u32_e32 v7, 1, v3
	v_subrev_u32_e32 v9, s12, v5
	v_cmp_le_u32_e32 vcc, s12, v5
	v_cndmask_b32_e32 v5, v5, v9, vcc
	v_cndmask_b32_e32 v3, v3, v7, vcc
	v_add_u32_e32 v7, 1, v3
	v_cmp_le_u32_e32 vcc, s12, v5
	v_cndmask_b32_e32 v12, v3, v7, vcc
.LBB37_16:                              ;   in Loop: Header=BB37_3 Depth=1
	s_or_b64 exec, exec, s[0:1]
	s_andn2_b64 vcc, exec, s[22:23]
	s_mov_b32 s53, 1
	s_mov_b32 s20, s48
	s_cbranch_vccz .LBB37_37
.LBB37_17:                              ;   in Loop: Header=BB37_3 Depth=1
	s_and_b64 vcc, exec, s[24:25]
	s_cbranch_vccz .LBB37_41
.LBB37_18:                              ;   Parent Loop BB37_3 Depth=1
                                        ; =>  This Inner Loop Header: Depth=2
	s_lshl_b64 s[2:3], s[20:21], 2
	s_add_u32 s34, s33, s2
	s_addc_u32 s35, s42, s3
	s_load_dword s53, s[34:35], 0x8
                                        ; implicit-def: $vgpr14_vgpr15
	s_waitcnt lgkmcnt(0)
	s_ashr_i32 s0, s53, 31
	v_or_b32_e32 v3, s0, v13
	v_cmp_ne_u64_e32 vcc, 0, v[2:3]
	s_and_saveexec_b64 s[36:37], vcc
	s_xor_b64 s[36:37], exec, s[36:37]
	s_cbranch_execz .LBB37_20
; %bb.19:                               ;   in Loop: Header=BB37_18 Depth=2
	s_add_u32 s40, s53, s0
	s_mov_b32 s38, s0
	s_mov_b32 s39, s0
	s_addc_u32 s41, s0, s0
	s_xor_b64 s[40:41], s[40:41], s[38:39]
	v_cvt_f32_u32_e32 v3, s40
	v_cvt_f32_u32_e32 v5, s41
	s_sub_u32 s0, 0, s40
	s_subb_u32 s1, 0, s41
	v_mac_f32_e32 v3, 0x4f800000, v5
	v_rcp_f32_e32 v3, v3
	v_mul_f32_e32 v3, 0x5f7ffffc, v3
	v_mul_f32_e32 v5, 0x2f800000, v3
	v_trunc_f32_e32 v5, v5
	v_mac_f32_e32 v3, 0xcf800000, v5
	v_cvt_u32_f32_e32 v5, v5
	v_cvt_u32_f32_e32 v3, v3
	v_mul_lo_u32 v7, s0, v5
	v_mul_hi_u32 v11, s0, v3
	v_mul_lo_u32 v9, s1, v3
	v_add_u32_e32 v7, v11, v7
	v_mul_lo_u32 v14, s0, v3
	v_add_u32_e32 v7, v7, v9
	v_mul_lo_u32 v11, v3, v7
	v_mul_hi_u32 v15, v3, v14
	v_mul_hi_u32 v9, v3, v7
	v_add_co_u32_e32 v11, vcc, v15, v11
	v_addc_co_u32_e32 v9, vcc, 0, v9, vcc
	v_mul_hi_u32 v16, v5, v14
	v_mul_lo_u32 v14, v5, v14
	v_add_co_u32_e32 v11, vcc, v11, v14
	v_mul_hi_u32 v15, v5, v7
	v_addc_co_u32_e32 v9, vcc, v9, v16, vcc
	v_addc_co_u32_e32 v11, vcc, 0, v15, vcc
	v_mul_lo_u32 v7, v5, v7
	v_add_co_u32_e32 v7, vcc, v9, v7
	v_addc_co_u32_e32 v9, vcc, 0, v11, vcc
	v_add_co_u32_e32 v3, vcc, v3, v7
	v_addc_co_u32_e32 v5, vcc, v5, v9, vcc
	v_mul_lo_u32 v7, s0, v5
	v_mul_hi_u32 v9, s0, v3
	v_add_u32_e32 v7, v9, v7
	v_mul_lo_u32 v9, s1, v3
	v_add_u32_e32 v7, v7, v9
	v_mul_lo_u32 v11, s0, v3
	v_mul_hi_u32 v14, v5, v11
	v_mul_lo_u32 v15, v5, v11
	v_mul_lo_u32 v17, v3, v7
	v_mul_hi_u32 v11, v3, v11
	v_mul_hi_u32 v16, v3, v7
	v_add_co_u32_e32 v11, vcc, v11, v17
	v_addc_co_u32_e32 v16, vcc, 0, v16, vcc
	v_add_co_u32_e32 v11, vcc, v11, v15
	v_mul_hi_u32 v9, v5, v7
	v_addc_co_u32_e32 v11, vcc, v16, v14, vcc
	v_addc_co_u32_e32 v9, vcc, 0, v9, vcc
	v_mul_lo_u32 v7, v5, v7
	v_add_co_u32_e32 v7, vcc, v11, v7
	v_addc_co_u32_e32 v9, vcc, 0, v9, vcc
	v_add_co_u32_e32 v3, vcc, v3, v7
	v_addc_co_u32_e32 v5, vcc, v5, v9, vcc
	v_ashrrev_i32_e32 v7, 31, v13
	v_add_co_u32_e32 v9, vcc, v12, v7
	v_xor_b32_e32 v9, v9, v7
	v_addc_co_u32_e32 v11, vcc, v13, v7, vcc
	v_mad_u64_u32 v[14:15], s[0:1], v9, v5, 0
	v_mul_hi_u32 v13, v9, v3
	v_xor_b32_e32 v11, v11, v7
	v_add_co_u32_e32 v13, vcc, v13, v14
	v_addc_co_u32_e32 v18, vcc, 0, v15, vcc
	v_mad_u64_u32 v[16:17], s[0:1], v11, v3, 0
	v_add_co_u32_e32 v3, vcc, v13, v16
	v_mad_u64_u32 v[14:15], s[0:1], v11, v5, 0
	v_addc_co_u32_e32 v3, vcc, v18, v17, vcc
	v_addc_co_u32_e32 v5, vcc, 0, v15, vcc
	v_add_co_u32_e32 v3, vcc, v3, v14
	v_addc_co_u32_e32 v5, vcc, 0, v5, vcc
	v_mul_lo_u32 v13, s41, v3
	v_mul_lo_u32 v16, s40, v5
	v_mad_u64_u32 v[14:15], s[0:1], s40, v3, 0
	v_add3_u32 v13, v15, v16, v13
	v_sub_u32_e32 v15, v11, v13
	v_mov_b32_e32 v16, s41
	v_sub_co_u32_e32 v9, vcc, v9, v14
	v_subb_co_u32_e64 v14, s[0:1], v15, v16, vcc
	v_subrev_co_u32_e64 v15, s[0:1], s40, v9
	v_subbrev_co_u32_e64 v14, s[0:1], 0, v14, s[0:1]
	v_cmp_le_u32_e64 s[0:1], s41, v14
	v_cndmask_b32_e64 v16, 0, -1, s[0:1]
	v_cmp_le_u32_e64 s[0:1], s40, v15
	v_cndmask_b32_e64 v15, 0, -1, s[0:1]
	v_cmp_eq_u32_e64 s[0:1], s41, v14
	v_cndmask_b32_e64 v14, v16, v15, s[0:1]
	v_add_co_u32_e64 v15, s[0:1], 2, v3
	v_subb_co_u32_e32 v11, vcc, v11, v13, vcc
	v_addc_co_u32_e64 v16, s[0:1], 0, v5, s[0:1]
	v_cmp_le_u32_e32 vcc, s41, v11
	v_add_co_u32_e64 v17, s[0:1], 1, v3
	v_cndmask_b32_e64 v13, 0, -1, vcc
	v_cmp_le_u32_e32 vcc, s40, v9
	v_addc_co_u32_e64 v18, s[0:1], 0, v5, s[0:1]
	v_cndmask_b32_e64 v9, 0, -1, vcc
	v_cmp_eq_u32_e32 vcc, s41, v11
	v_cmp_ne_u32_e64 s[0:1], 0, v14
	v_cndmask_b32_e32 v9, v13, v9, vcc
	v_cmp_ne_u32_e32 vcc, 0, v9
	v_cndmask_b32_e64 v9, v17, v15, s[0:1]
	v_cndmask_b32_e64 v14, v18, v16, s[0:1]
	v_cndmask_b32_e32 v3, v3, v9, vcc
	v_xor_b32_e32 v9, s39, v7
	v_xor_b32_e32 v7, s38, v7
	v_cndmask_b32_e32 v5, v5, v14, vcc
	v_xor_b32_e32 v3, v3, v7
	v_xor_b32_e32 v5, v5, v9
	v_sub_co_u32_e32 v14, vcc, v3, v7
	v_subb_co_u32_e32 v15, vcc, v5, v9, vcc
.LBB37_20:                              ;   in Loop: Header=BB37_18 Depth=2
	s_andn2_saveexec_b64 s[0:1], s[36:37]
	s_cbranch_execz .LBB37_22
; %bb.21:                               ;   in Loop: Header=BB37_18 Depth=2
	v_cvt_f32_u32_e32 v3, s53
	s_sub_i32 s36, 0, s53
	v_mov_b32_e32 v15, v2
	v_rcp_iflag_f32_e32 v3, v3
	v_mul_f32_e32 v3, 0x4f7ffffe, v3
	v_cvt_u32_f32_e32 v3, v3
	v_mul_lo_u32 v5, s36, v3
	v_mul_hi_u32 v5, v3, v5
	v_add_u32_e32 v3, v3, v5
	v_mul_hi_u32 v3, v12, v3
	v_mul_lo_u32 v5, v3, s53
	v_sub_u32_e32 v5, v12, v5
	v_add_u32_e32 v7, 1, v3
	v_subrev_u32_e32 v9, s53, v5
	v_cmp_le_u32_e32 vcc, s53, v5
	v_cndmask_b32_e32 v5, v5, v9, vcc
	v_cndmask_b32_e32 v3, v3, v7, vcc
	v_add_u32_e32 v7, 1, v3
	v_cmp_le_u32_e32 vcc, s53, v5
	v_cndmask_b32_e32 v14, v3, v7, vcc
.LBB37_22:                              ;   in Loop: Header=BB37_18 Depth=2
	s_or_b64 exec, exec, s[0:1]
	s_add_u32 s0, s46, s2
	s_addc_u32 s1, s47, s3
	s_add_i32 s2, s20, -1
	s_mov_b32 s3, s21
	s_lshl_b64 s[36:37], s[2:3], 2
	s_add_u32 s2, s33, s36
	s_addc_u32 s3, s42, s37
	s_load_dword s54, s[2:3], 0x8
	s_load_dword s55, s[34:35], 0x6c
	s_load_dword s56, s[0:1], 0x0
                                        ; implicit-def: $vgpr16_vgpr17
	s_waitcnt lgkmcnt(0)
	s_ashr_i32 s0, s54, 31
	v_or_b32_e32 v3, s0, v15
	v_cmp_ne_u64_e32 vcc, 0, v[2:3]
	s_and_saveexec_b64 s[34:35], vcc
	s_xor_b64 s[34:35], exec, s[34:35]
	s_cbranch_execz .LBB37_24
; %bb.23:                               ;   in Loop: Header=BB37_18 Depth=2
	s_add_u32 s40, s54, s0
	s_mov_b32 s38, s0
	s_mov_b32 s39, s0
	s_addc_u32 s41, s0, s0
	s_xor_b64 s[40:41], s[40:41], s[38:39]
	v_cvt_f32_u32_e32 v3, s40
	v_cvt_f32_u32_e32 v5, s41
	s_sub_u32 s0, 0, s40
	s_subb_u32 s1, 0, s41
	v_mac_f32_e32 v3, 0x4f800000, v5
	v_rcp_f32_e32 v3, v3
	v_mul_f32_e32 v3, 0x5f7ffffc, v3
	v_mul_f32_e32 v5, 0x2f800000, v3
	v_trunc_f32_e32 v5, v5
	v_mac_f32_e32 v3, 0xcf800000, v5
	v_cvt_u32_f32_e32 v5, v5
	v_cvt_u32_f32_e32 v3, v3
	v_mul_lo_u32 v7, s0, v5
	v_mul_hi_u32 v11, s0, v3
	v_mul_lo_u32 v9, s1, v3
	v_add_u32_e32 v7, v11, v7
	v_mul_lo_u32 v13, s0, v3
	v_add_u32_e32 v7, v7, v9
	v_mul_lo_u32 v11, v3, v7
	v_mul_hi_u32 v16, v3, v13
	v_mul_hi_u32 v9, v3, v7
	v_add_co_u32_e32 v11, vcc, v16, v11
	v_addc_co_u32_e32 v9, vcc, 0, v9, vcc
	v_mul_hi_u32 v17, v5, v13
	v_mul_lo_u32 v13, v5, v13
	v_add_co_u32_e32 v11, vcc, v11, v13
	v_mul_hi_u32 v16, v5, v7
	v_addc_co_u32_e32 v9, vcc, v9, v17, vcc
	v_addc_co_u32_e32 v11, vcc, 0, v16, vcc
	v_mul_lo_u32 v7, v5, v7
	v_add_co_u32_e32 v7, vcc, v9, v7
	v_addc_co_u32_e32 v9, vcc, 0, v11, vcc
	v_add_co_u32_e32 v3, vcc, v3, v7
	v_addc_co_u32_e32 v5, vcc, v5, v9, vcc
	v_mul_lo_u32 v7, s0, v5
	v_mul_hi_u32 v9, s0, v3
	v_add_u32_e32 v7, v9, v7
	v_mul_lo_u32 v9, s1, v3
	v_add_u32_e32 v7, v7, v9
	v_mul_lo_u32 v11, s0, v3
	v_mul_hi_u32 v13, v5, v11
	v_mul_lo_u32 v16, v5, v11
	v_mul_lo_u32 v18, v3, v7
	v_mul_hi_u32 v11, v3, v11
	v_mul_hi_u32 v17, v3, v7
	v_add_co_u32_e32 v11, vcc, v11, v18
	v_addc_co_u32_e32 v17, vcc, 0, v17, vcc
	v_add_co_u32_e32 v11, vcc, v11, v16
	v_mul_hi_u32 v9, v5, v7
	v_addc_co_u32_e32 v11, vcc, v17, v13, vcc
	v_addc_co_u32_e32 v9, vcc, 0, v9, vcc
	v_mul_lo_u32 v7, v5, v7
	v_add_co_u32_e32 v7, vcc, v11, v7
	v_addc_co_u32_e32 v9, vcc, 0, v9, vcc
	v_add_co_u32_e32 v3, vcc, v3, v7
	v_addc_co_u32_e32 v5, vcc, v5, v9, vcc
	v_ashrrev_i32_e32 v7, 31, v15
	v_add_co_u32_e32 v9, vcc, v14, v7
	v_xor_b32_e32 v9, v9, v7
	v_addc_co_u32_e32 v11, vcc, v15, v7, vcc
	v_mad_u64_u32 v[16:17], s[0:1], v9, v5, 0
	v_mul_hi_u32 v13, v9, v3
	v_xor_b32_e32 v11, v11, v7
	v_add_co_u32_e32 v13, vcc, v13, v16
	v_addc_co_u32_e32 v15, vcc, 0, v17, vcc
	v_mad_u64_u32 v[18:19], s[0:1], v11, v3, 0
	v_add_co_u32_e32 v3, vcc, v13, v18
	v_mad_u64_u32 v[16:17], s[0:1], v11, v5, 0
	v_addc_co_u32_e32 v3, vcc, v15, v19, vcc
	v_addc_co_u32_e32 v5, vcc, 0, v17, vcc
	v_add_co_u32_e32 v3, vcc, v3, v16
	v_addc_co_u32_e32 v5, vcc, 0, v5, vcc
	v_mul_lo_u32 v13, s41, v3
	v_mul_lo_u32 v15, s40, v5
	v_mad_u64_u32 v[16:17], s[0:1], s40, v3, 0
	v_add3_u32 v13, v17, v15, v13
	v_sub_u32_e32 v15, v11, v13
	v_mov_b32_e32 v17, s41
	v_sub_co_u32_e32 v9, vcc, v9, v16
	v_subb_co_u32_e64 v15, s[0:1], v15, v17, vcc
	v_subrev_co_u32_e64 v16, s[0:1], s40, v9
	v_subbrev_co_u32_e64 v15, s[0:1], 0, v15, s[0:1]
	v_cmp_le_u32_e64 s[0:1], s41, v15
	v_cndmask_b32_e64 v17, 0, -1, s[0:1]
	v_cmp_le_u32_e64 s[0:1], s40, v16
	v_cndmask_b32_e64 v16, 0, -1, s[0:1]
	v_cmp_eq_u32_e64 s[0:1], s41, v15
	v_cndmask_b32_e64 v15, v17, v16, s[0:1]
	v_add_co_u32_e64 v16, s[0:1], 2, v3
	v_subb_co_u32_e32 v11, vcc, v11, v13, vcc
	v_addc_co_u32_e64 v17, s[0:1], 0, v5, s[0:1]
	v_cmp_le_u32_e32 vcc, s41, v11
	v_add_co_u32_e64 v18, s[0:1], 1, v3
	v_cndmask_b32_e64 v13, 0, -1, vcc
	v_cmp_le_u32_e32 vcc, s40, v9
	v_addc_co_u32_e64 v19, s[0:1], 0, v5, s[0:1]
	v_cndmask_b32_e64 v9, 0, -1, vcc
	v_cmp_eq_u32_e32 vcc, s41, v11
	v_cmp_ne_u32_e64 s[0:1], 0, v15
	v_cndmask_b32_e32 v9, v13, v9, vcc
	v_cmp_ne_u32_e32 vcc, 0, v9
	v_cndmask_b32_e64 v9, v18, v16, s[0:1]
	v_cndmask_b32_e64 v15, v19, v17, s[0:1]
	v_cndmask_b32_e32 v3, v3, v9, vcc
	v_xor_b32_e32 v9, s39, v7
	v_xor_b32_e32 v7, s38, v7
	v_cndmask_b32_e32 v5, v5, v15, vcc
	v_xor_b32_e32 v3, v3, v7
	v_xor_b32_e32 v5, v5, v9
	v_sub_co_u32_e32 v16, vcc, v3, v7
	v_subb_co_u32_e32 v17, vcc, v5, v9, vcc
.LBB37_24:                              ;   in Loop: Header=BB37_18 Depth=2
	s_andn2_saveexec_b64 s[0:1], s[34:35]
	s_cbranch_execz .LBB37_26
; %bb.25:                               ;   in Loop: Header=BB37_18 Depth=2
	v_cvt_f32_u32_e32 v3, s54
	s_sub_i32 s34, 0, s54
	v_mov_b32_e32 v17, v2
	v_rcp_iflag_f32_e32 v3, v3
	v_mul_f32_e32 v3, 0x4f7ffffe, v3
	v_cvt_u32_f32_e32 v3, v3
	v_mul_lo_u32 v5, s34, v3
	v_mul_hi_u32 v5, v3, v5
	v_add_u32_e32 v3, v3, v5
	v_mul_hi_u32 v3, v14, v3
	v_mul_lo_u32 v5, v3, s54
	v_sub_u32_e32 v5, v14, v5
	v_add_u32_e32 v7, 1, v3
	v_subrev_u32_e32 v9, s54, v5
	v_cmp_le_u32_e32 vcc, s54, v5
	v_cndmask_b32_e32 v5, v5, v9, vcc
	v_cndmask_b32_e32 v3, v3, v7, vcc
	v_add_u32_e32 v7, 1, v3
	v_cmp_le_u32_e32 vcc, s54, v5
	v_cndmask_b32_e32 v16, v3, v7, vcc
.LBB37_26:                              ;   in Loop: Header=BB37_18 Depth=2
	s_or_b64 exec, exec, s[0:1]
	s_add_u32 s0, s46, s36
	s_addc_u32 s1, s47, s37
	s_add_i32 s34, s20, -2
	s_mov_b32 s35, s21
	s_lshl_b64 s[34:35], s[34:35], 2
	s_add_u32 s36, s33, s34
	s_addc_u32 s37, s42, s35
	s_load_dword s57, s[36:37], 0x8
	s_load_dword s59, s[2:3], 0x6c
	;; [unrolled: 1-line block ×3, first 2 shown]
                                        ; implicit-def: $vgpr18_vgpr19
	s_waitcnt lgkmcnt(0)
	s_ashr_i32 s0, s57, 31
	v_or_b32_e32 v3, s0, v17
	v_cmp_ne_u64_e32 vcc, 0, v[2:3]
	s_and_saveexec_b64 s[2:3], vcc
	s_xor_b64 s[2:3], exec, s[2:3]
	s_cbranch_execz .LBB37_28
; %bb.27:                               ;   in Loop: Header=BB37_18 Depth=2
	s_add_u32 s40, s57, s0
	s_mov_b32 s38, s0
	s_mov_b32 s39, s0
	s_addc_u32 s41, s0, s0
	s_xor_b64 s[40:41], s[40:41], s[38:39]
	v_cvt_f32_u32_e32 v3, s40
	v_cvt_f32_u32_e32 v5, s41
	s_sub_u32 s0, 0, s40
	s_subb_u32 s1, 0, s41
	v_mac_f32_e32 v3, 0x4f800000, v5
	v_rcp_f32_e32 v3, v3
	v_mul_f32_e32 v3, 0x5f7ffffc, v3
	v_mul_f32_e32 v5, 0x2f800000, v3
	v_trunc_f32_e32 v5, v5
	v_mac_f32_e32 v3, 0xcf800000, v5
	v_cvt_u32_f32_e32 v5, v5
	v_cvt_u32_f32_e32 v3, v3
	v_mul_lo_u32 v7, s0, v5
	v_mul_hi_u32 v11, s0, v3
	v_mul_lo_u32 v9, s1, v3
	v_add_u32_e32 v7, v11, v7
	v_mul_lo_u32 v13, s0, v3
	v_add_u32_e32 v7, v7, v9
	v_mul_lo_u32 v11, v3, v7
	v_mul_hi_u32 v15, v3, v13
	v_mul_hi_u32 v9, v3, v7
	v_add_co_u32_e32 v11, vcc, v15, v11
	v_addc_co_u32_e32 v9, vcc, 0, v9, vcc
	v_mul_hi_u32 v18, v5, v13
	v_mul_lo_u32 v13, v5, v13
	v_add_co_u32_e32 v11, vcc, v11, v13
	v_mul_hi_u32 v15, v5, v7
	v_addc_co_u32_e32 v9, vcc, v9, v18, vcc
	v_addc_co_u32_e32 v11, vcc, 0, v15, vcc
	v_mul_lo_u32 v7, v5, v7
	v_add_co_u32_e32 v7, vcc, v9, v7
	v_addc_co_u32_e32 v9, vcc, 0, v11, vcc
	v_add_co_u32_e32 v3, vcc, v3, v7
	v_addc_co_u32_e32 v5, vcc, v5, v9, vcc
	v_mul_lo_u32 v7, s0, v5
	v_mul_hi_u32 v9, s0, v3
	v_add_u32_e32 v7, v9, v7
	v_mul_lo_u32 v9, s1, v3
	v_add_u32_e32 v7, v7, v9
	v_mul_lo_u32 v11, s0, v3
	v_mul_hi_u32 v13, v5, v11
	v_mul_lo_u32 v15, v5, v11
	v_mul_lo_u32 v19, v3, v7
	v_mul_hi_u32 v11, v3, v11
	v_mul_hi_u32 v18, v3, v7
	v_add_co_u32_e32 v11, vcc, v11, v19
	v_addc_co_u32_e32 v18, vcc, 0, v18, vcc
	v_add_co_u32_e32 v11, vcc, v11, v15
	v_mul_hi_u32 v9, v5, v7
	v_addc_co_u32_e32 v11, vcc, v18, v13, vcc
	v_addc_co_u32_e32 v9, vcc, 0, v9, vcc
	v_mul_lo_u32 v7, v5, v7
	v_add_co_u32_e32 v7, vcc, v11, v7
	v_addc_co_u32_e32 v9, vcc, 0, v9, vcc
	v_add_co_u32_e32 v3, vcc, v3, v7
	v_addc_co_u32_e32 v5, vcc, v5, v9, vcc
	v_ashrrev_i32_e32 v7, 31, v17
	v_add_co_u32_e32 v9, vcc, v16, v7
	v_xor_b32_e32 v9, v9, v7
	v_addc_co_u32_e32 v11, vcc, v17, v7, vcc
	v_mad_u64_u32 v[18:19], s[0:1], v9, v5, 0
	v_mul_hi_u32 v13, v9, v3
	v_xor_b32_e32 v11, v11, v7
	v_add_co_u32_e32 v13, vcc, v13, v18
	v_addc_co_u32_e32 v15, vcc, 0, v19, vcc
	v_mad_u64_u32 v[20:21], s[0:1], v11, v3, 0
	v_add_co_u32_e32 v3, vcc, v13, v20
	v_mad_u64_u32 v[18:19], s[0:1], v11, v5, 0
	v_addc_co_u32_e32 v3, vcc, v15, v21, vcc
	v_addc_co_u32_e32 v5, vcc, 0, v19, vcc
	v_add_co_u32_e32 v3, vcc, v3, v18
	v_addc_co_u32_e32 v5, vcc, 0, v5, vcc
	v_mul_lo_u32 v13, s41, v3
	v_mul_lo_u32 v15, s40, v5
	v_mad_u64_u32 v[18:19], s[0:1], s40, v3, 0
	v_add3_u32 v13, v19, v15, v13
	v_sub_u32_e32 v15, v11, v13
	v_mov_b32_e32 v17, s41
	v_sub_co_u32_e32 v9, vcc, v9, v18
	v_subb_co_u32_e64 v15, s[0:1], v15, v17, vcc
	v_subrev_co_u32_e64 v17, s[0:1], s40, v9
	v_subbrev_co_u32_e64 v15, s[0:1], 0, v15, s[0:1]
	v_cmp_le_u32_e64 s[0:1], s41, v15
	v_cndmask_b32_e64 v18, 0, -1, s[0:1]
	v_cmp_le_u32_e64 s[0:1], s40, v17
	v_cndmask_b32_e64 v17, 0, -1, s[0:1]
	v_cmp_eq_u32_e64 s[0:1], s41, v15
	v_cndmask_b32_e64 v15, v18, v17, s[0:1]
	v_add_co_u32_e64 v17, s[0:1], 2, v3
	v_subb_co_u32_e32 v11, vcc, v11, v13, vcc
	v_addc_co_u32_e64 v18, s[0:1], 0, v5, s[0:1]
	v_cmp_le_u32_e32 vcc, s41, v11
	v_add_co_u32_e64 v19, s[0:1], 1, v3
	v_cndmask_b32_e64 v13, 0, -1, vcc
	v_cmp_le_u32_e32 vcc, s40, v9
	v_addc_co_u32_e64 v20, s[0:1], 0, v5, s[0:1]
	v_cndmask_b32_e64 v9, 0, -1, vcc
	v_cmp_eq_u32_e32 vcc, s41, v11
	v_cmp_ne_u32_e64 s[0:1], 0, v15
	v_cndmask_b32_e32 v9, v13, v9, vcc
	v_cmp_ne_u32_e32 vcc, 0, v9
	v_cndmask_b32_e64 v9, v19, v17, s[0:1]
	v_cndmask_b32_e64 v15, v20, v18, s[0:1]
	v_cndmask_b32_e32 v3, v3, v9, vcc
	v_xor_b32_e32 v9, s39, v7
	v_xor_b32_e32 v7, s38, v7
	v_cndmask_b32_e32 v5, v5, v15, vcc
	v_xor_b32_e32 v3, v3, v7
	v_xor_b32_e32 v5, v5, v9
	v_sub_co_u32_e32 v18, vcc, v3, v7
	v_subb_co_u32_e32 v19, vcc, v5, v9, vcc
.LBB37_28:                              ;   in Loop: Header=BB37_18 Depth=2
	s_andn2_saveexec_b64 s[0:1], s[2:3]
	s_cbranch_execz .LBB37_30
; %bb.29:                               ;   in Loop: Header=BB37_18 Depth=2
	v_cvt_f32_u32_e32 v3, s57
	s_sub_i32 s2, 0, s57
	v_mov_b32_e32 v19, v2
	v_rcp_iflag_f32_e32 v3, v3
	v_mul_f32_e32 v3, 0x4f7ffffe, v3
	v_cvt_u32_f32_e32 v3, v3
	v_mul_lo_u32 v5, s2, v3
	v_mul_hi_u32 v5, v3, v5
	v_add_u32_e32 v3, v3, v5
	v_mul_hi_u32 v3, v16, v3
	v_mul_lo_u32 v5, v3, s57
	v_sub_u32_e32 v5, v16, v5
	v_add_u32_e32 v7, 1, v3
	v_subrev_u32_e32 v9, s57, v5
	v_cmp_le_u32_e32 vcc, s57, v5
	v_cndmask_b32_e32 v5, v5, v9, vcc
	v_cndmask_b32_e32 v3, v3, v7, vcc
	v_add_u32_e32 v7, 1, v3
	v_cmp_le_u32_e32 vcc, s57, v5
	v_cndmask_b32_e32 v18, v3, v7, vcc
.LBB37_30:                              ;   in Loop: Header=BB37_18 Depth=2
	s_or_b64 exec, exec, s[0:1]
	s_add_u32 s0, s46, s34
	s_addc_u32 s1, s47, s35
	s_add_i32 s2, s20, -3
	s_mov_b32 s3, s21
	s_lshl_b64 s[2:3], s[2:3], 2
	s_add_u32 s34, s33, s2
	s_addc_u32 s35, s42, s3
	s_load_dword s60, s[34:35], 0x8
	s_load_dword s61, s[36:37], 0x6c
	;; [unrolled: 1-line block ×3, first 2 shown]
                                        ; implicit-def: $vgpr20_vgpr21
	s_waitcnt lgkmcnt(0)
	s_ashr_i32 s0, s60, 31
	v_or_b32_e32 v3, s0, v19
	v_cmp_ne_u64_e32 vcc, 0, v[2:3]
	s_and_saveexec_b64 s[36:37], vcc
	s_xor_b64 s[36:37], exec, s[36:37]
	s_cbranch_execz .LBB37_32
; %bb.31:                               ;   in Loop: Header=BB37_18 Depth=2
	s_add_u32 s40, s60, s0
	s_mov_b32 s38, s0
	s_mov_b32 s39, s0
	s_addc_u32 s41, s0, s0
	s_xor_b64 s[40:41], s[40:41], s[38:39]
	v_cvt_f32_u32_e32 v3, s40
	v_cvt_f32_u32_e32 v5, s41
	s_sub_u32 s0, 0, s40
	s_subb_u32 s1, 0, s41
	v_mac_f32_e32 v3, 0x4f800000, v5
	v_rcp_f32_e32 v3, v3
	v_mul_f32_e32 v3, 0x5f7ffffc, v3
	v_mul_f32_e32 v5, 0x2f800000, v3
	v_trunc_f32_e32 v5, v5
	v_mac_f32_e32 v3, 0xcf800000, v5
	v_cvt_u32_f32_e32 v5, v5
	v_cvt_u32_f32_e32 v3, v3
	v_mul_lo_u32 v7, s0, v5
	v_mul_hi_u32 v11, s0, v3
	v_mul_lo_u32 v9, s1, v3
	v_add_u32_e32 v7, v11, v7
	v_mul_lo_u32 v13, s0, v3
	v_add_u32_e32 v7, v7, v9
	v_mul_lo_u32 v11, v3, v7
	v_mul_hi_u32 v15, v3, v13
	v_mul_hi_u32 v9, v3, v7
	v_add_co_u32_e32 v11, vcc, v15, v11
	v_addc_co_u32_e32 v9, vcc, 0, v9, vcc
	v_mul_hi_u32 v17, v5, v13
	v_mul_lo_u32 v13, v5, v13
	v_add_co_u32_e32 v11, vcc, v11, v13
	v_mul_hi_u32 v15, v5, v7
	v_addc_co_u32_e32 v9, vcc, v9, v17, vcc
	v_addc_co_u32_e32 v11, vcc, 0, v15, vcc
	v_mul_lo_u32 v7, v5, v7
	v_add_co_u32_e32 v7, vcc, v9, v7
	v_addc_co_u32_e32 v9, vcc, 0, v11, vcc
	v_add_co_u32_e32 v3, vcc, v3, v7
	v_addc_co_u32_e32 v5, vcc, v5, v9, vcc
	v_mul_lo_u32 v7, s0, v5
	v_mul_hi_u32 v9, s0, v3
	v_add_u32_e32 v7, v9, v7
	v_mul_lo_u32 v9, s1, v3
	v_add_u32_e32 v7, v7, v9
	v_mul_lo_u32 v11, s0, v3
	v_mul_hi_u32 v13, v5, v11
	v_mul_lo_u32 v15, v5, v11
	v_mul_lo_u32 v20, v3, v7
	v_mul_hi_u32 v11, v3, v11
	v_mul_hi_u32 v17, v3, v7
	v_add_co_u32_e32 v11, vcc, v11, v20
	v_addc_co_u32_e32 v17, vcc, 0, v17, vcc
	v_add_co_u32_e32 v11, vcc, v11, v15
	v_mul_hi_u32 v9, v5, v7
	v_addc_co_u32_e32 v11, vcc, v17, v13, vcc
	v_addc_co_u32_e32 v9, vcc, 0, v9, vcc
	v_mul_lo_u32 v7, v5, v7
	v_add_co_u32_e32 v7, vcc, v11, v7
	v_addc_co_u32_e32 v9, vcc, 0, v9, vcc
	v_add_co_u32_e32 v3, vcc, v3, v7
	v_addc_co_u32_e32 v5, vcc, v5, v9, vcc
	v_ashrrev_i32_e32 v7, 31, v19
	v_add_co_u32_e32 v9, vcc, v18, v7
	v_xor_b32_e32 v9, v9, v7
	v_addc_co_u32_e32 v11, vcc, v19, v7, vcc
	v_mad_u64_u32 v[20:21], s[0:1], v9, v5, 0
	v_mul_hi_u32 v13, v9, v3
	v_xor_b32_e32 v11, v11, v7
	v_add_co_u32_e32 v13, vcc, v13, v20
	v_addc_co_u32_e32 v15, vcc, 0, v21, vcc
	v_mad_u64_u32 v[24:25], s[0:1], v11, v3, 0
	v_add_co_u32_e32 v3, vcc, v13, v24
	v_mad_u64_u32 v[20:21], s[0:1], v11, v5, 0
	v_addc_co_u32_e32 v3, vcc, v15, v25, vcc
	v_addc_co_u32_e32 v5, vcc, 0, v21, vcc
	v_add_co_u32_e32 v3, vcc, v3, v20
	v_addc_co_u32_e32 v5, vcc, 0, v5, vcc
	v_mul_lo_u32 v13, s41, v3
	v_mul_lo_u32 v15, s40, v5
	v_mad_u64_u32 v[20:21], s[0:1], s40, v3, 0
	v_add3_u32 v13, v21, v15, v13
	v_sub_u32_e32 v15, v11, v13
	v_mov_b32_e32 v17, s41
	v_sub_co_u32_e32 v9, vcc, v9, v20
	v_subb_co_u32_e64 v15, s[0:1], v15, v17, vcc
	v_subrev_co_u32_e64 v17, s[0:1], s40, v9
	v_subbrev_co_u32_e64 v15, s[0:1], 0, v15, s[0:1]
	v_cmp_le_u32_e64 s[0:1], s41, v15
	v_cndmask_b32_e64 v19, 0, -1, s[0:1]
	v_cmp_le_u32_e64 s[0:1], s40, v17
	v_cndmask_b32_e64 v17, 0, -1, s[0:1]
	v_cmp_eq_u32_e64 s[0:1], s41, v15
	v_cndmask_b32_e64 v15, v19, v17, s[0:1]
	v_add_co_u32_e64 v17, s[0:1], 2, v3
	v_subb_co_u32_e32 v11, vcc, v11, v13, vcc
	v_addc_co_u32_e64 v19, s[0:1], 0, v5, s[0:1]
	v_cmp_le_u32_e32 vcc, s41, v11
	v_add_co_u32_e64 v20, s[0:1], 1, v3
	v_cndmask_b32_e64 v13, 0, -1, vcc
	v_cmp_le_u32_e32 vcc, s40, v9
	v_addc_co_u32_e64 v21, s[0:1], 0, v5, s[0:1]
	v_cndmask_b32_e64 v9, 0, -1, vcc
	v_cmp_eq_u32_e32 vcc, s41, v11
	v_cmp_ne_u32_e64 s[0:1], 0, v15
	v_cndmask_b32_e32 v9, v13, v9, vcc
	v_cmp_ne_u32_e32 vcc, 0, v9
	v_cndmask_b32_e64 v9, v20, v17, s[0:1]
	v_cndmask_b32_e64 v15, v21, v19, s[0:1]
	v_cndmask_b32_e32 v3, v3, v9, vcc
	v_xor_b32_e32 v9, s39, v7
	v_xor_b32_e32 v7, s38, v7
	v_cndmask_b32_e32 v5, v5, v15, vcc
	v_xor_b32_e32 v3, v3, v7
	v_xor_b32_e32 v5, v5, v9
	v_sub_co_u32_e32 v20, vcc, v3, v7
	v_subb_co_u32_e32 v21, vcc, v5, v9, vcc
.LBB37_32:                              ;   in Loop: Header=BB37_18 Depth=2
	s_andn2_saveexec_b64 s[0:1], s[36:37]
	s_cbranch_execz .LBB37_34
; %bb.33:                               ;   in Loop: Header=BB37_18 Depth=2
	v_cvt_f32_u32_e32 v3, s60
	s_sub_i32 s36, 0, s60
	v_mov_b32_e32 v21, v2
	v_rcp_iflag_f32_e32 v3, v3
	v_mul_f32_e32 v3, 0x4f7ffffe, v3
	v_cvt_u32_f32_e32 v3, v3
	v_mul_lo_u32 v5, s36, v3
	v_mul_hi_u32 v5, v3, v5
	v_add_u32_e32 v3, v3, v5
	v_mul_hi_u32 v3, v18, v3
	v_mul_lo_u32 v5, v3, s60
	v_sub_u32_e32 v5, v18, v5
	v_add_u32_e32 v7, 1, v3
	v_subrev_u32_e32 v9, s60, v5
	v_cmp_le_u32_e32 vcc, s60, v5
	v_cndmask_b32_e32 v5, v5, v9, vcc
	v_cndmask_b32_e32 v3, v3, v7, vcc
	v_add_u32_e32 v7, 1, v3
	v_cmp_le_u32_e32 vcc, s60, v5
	v_cndmask_b32_e32 v20, v3, v7, vcc
.LBB37_34:                              ;   in Loop: Header=BB37_18 Depth=2
	s_or_b64 exec, exec, s[0:1]
	s_add_u32 s0, s46, s2
	v_mul_lo_u32 v3, v14, s53
	v_mul_lo_u32 v7, v16, s54
	s_load_dword s2, s[34:35], 0x6c
	s_addc_u32 s1, s47, s3
	s_load_dword s0, s[0:1], 0x0
	v_sub_u32_e32 v3, v12, v3
	v_sub_u32_e32 v7, v14, v7
	v_mul_lo_u32 v5, s55, v3
	v_mul_lo_u32 v3, s56, v3
	;; [unrolled: 1-line block ×4, first 2 shown]
	v_add3_u32 v5, v5, v10, v9
	v_add3_u32 v3, v3, v6, v7
	v_mul_lo_u32 v6, v18, s57
	v_mul_lo_u32 v9, v20, s60
	v_sub_u32_e32 v6, v16, v6
	v_sub_u32_e32 v9, v18, v9
	v_mul_lo_u32 v7, s61, v6
	s_waitcnt lgkmcnt(0)
	v_mul_lo_u32 v10, s2, v9
	v_mul_lo_u32 v6, s62, v6
	v_add3_u32 v10, v7, v5, v10
	v_mul_lo_u32 v5, s0, v9
	s_add_i32 s20, s20, -4
	s_cmp_eq_u32 s20, -1
	v_add3_u32 v6, v6, v3, v5
	s_cbranch_scc1 .LBB37_41
; %bb.35:                               ;   in Loop: Header=BB37_18 Depth=2
	v_pk_mov_b32 v[12:13], v[20:21], v[20:21] op_sel:[0,1]
	s_branch .LBB37_18
.LBB37_36:                              ;   in Loop: Header=BB37_37 Depth=2
	s_or_b64 exec, exec, s[0:1]
	s_load_dword s34, s[34:35], 0x6c
	s_add_u32 s0, s46, s2
	s_addc_u32 s1, s47, s3
	s_load_dword s2, s[0:1], 0x0
	v_mul_lo_u32 v3, v12, s54
	v_sub_u32_e32 v3, v14, v3
	s_waitcnt lgkmcnt(0)
	v_mad_u64_u32 v[10:11], s[0:1], s34, v3, v[10:11]
	s_add_i32 s20, s20, -1
	s_xor_b32 s0, s51, s53
	s_add_i32 s53, s53, 1
	s_cmp_lg_u32 s0, 2
	v_mad_u64_u32 v[6:7], s[0:1], s2, v3, v[6:7]
	s_cbranch_scc0 .LBB37_17
.LBB37_37:                              ;   Parent Loop BB37_3 Depth=1
                                        ; =>  This Inner Loop Header: Depth=2
	s_lshl_b64 s[2:3], s[20:21], 2
	s_add_u32 s34, s33, s2
	s_addc_u32 s35, s42, s3
	s_load_dword s54, s[34:35], 0x8
	v_pk_mov_b32 v[14:15], v[12:13], v[12:13] op_sel:[0,1]
                                        ; implicit-def: $vgpr12_vgpr13
	s_waitcnt lgkmcnt(0)
	s_ashr_i32 s0, s54, 31
	v_or_b32_e32 v3, s0, v15
	v_cmp_ne_u64_e32 vcc, 0, v[2:3]
	s_and_saveexec_b64 s[36:37], vcc
	s_xor_b64 s[36:37], exec, s[36:37]
	s_cbranch_execz .LBB37_39
; %bb.38:                               ;   in Loop: Header=BB37_37 Depth=2
	s_add_u32 s40, s54, s0
	s_mov_b32 s38, s0
	s_mov_b32 s39, s0
	s_addc_u32 s41, s0, s0
	s_xor_b64 s[40:41], s[40:41], s[38:39]
	v_cvt_f32_u32_e32 v3, s40
	v_cvt_f32_u32_e32 v5, s41
	s_sub_u32 s0, 0, s40
	s_subb_u32 s1, 0, s41
	v_mac_f32_e32 v3, 0x4f800000, v5
	v_rcp_f32_e32 v3, v3
	v_mul_f32_e32 v3, 0x5f7ffffc, v3
	v_mul_f32_e32 v5, 0x2f800000, v3
	v_trunc_f32_e32 v5, v5
	v_mac_f32_e32 v3, 0xcf800000, v5
	v_cvt_u32_f32_e32 v5, v5
	v_cvt_u32_f32_e32 v3, v3
	v_mul_lo_u32 v7, s0, v5
	v_mul_hi_u32 v11, s0, v3
	v_mul_lo_u32 v9, s1, v3
	v_add_u32_e32 v7, v11, v7
	v_mul_lo_u32 v12, s0, v3
	v_add_u32_e32 v7, v7, v9
	v_mul_lo_u32 v11, v3, v7
	v_mul_hi_u32 v13, v3, v12
	v_mul_hi_u32 v9, v3, v7
	v_add_co_u32_e32 v11, vcc, v13, v11
	v_addc_co_u32_e32 v9, vcc, 0, v9, vcc
	v_mul_hi_u32 v16, v5, v12
	v_mul_lo_u32 v12, v5, v12
	v_add_co_u32_e32 v11, vcc, v11, v12
	v_mul_hi_u32 v13, v5, v7
	v_addc_co_u32_e32 v9, vcc, v9, v16, vcc
	v_addc_co_u32_e32 v11, vcc, 0, v13, vcc
	v_mul_lo_u32 v7, v5, v7
	v_add_co_u32_e32 v7, vcc, v9, v7
	v_addc_co_u32_e32 v9, vcc, 0, v11, vcc
	v_add_co_u32_e32 v3, vcc, v3, v7
	v_addc_co_u32_e32 v5, vcc, v5, v9, vcc
	v_mul_lo_u32 v7, s0, v5
	v_mul_hi_u32 v9, s0, v3
	v_add_u32_e32 v7, v9, v7
	v_mul_lo_u32 v9, s1, v3
	v_add_u32_e32 v7, v7, v9
	v_mul_lo_u32 v11, s0, v3
	v_mul_hi_u32 v12, v5, v11
	v_mul_lo_u32 v13, v5, v11
	v_mul_lo_u32 v17, v3, v7
	v_mul_hi_u32 v11, v3, v11
	v_mul_hi_u32 v16, v3, v7
	v_add_co_u32_e32 v11, vcc, v11, v17
	v_addc_co_u32_e32 v16, vcc, 0, v16, vcc
	v_add_co_u32_e32 v11, vcc, v11, v13
	v_mul_hi_u32 v9, v5, v7
	v_addc_co_u32_e32 v11, vcc, v16, v12, vcc
	v_addc_co_u32_e32 v9, vcc, 0, v9, vcc
	v_mul_lo_u32 v7, v5, v7
	v_add_co_u32_e32 v7, vcc, v11, v7
	v_addc_co_u32_e32 v9, vcc, 0, v9, vcc
	v_add_co_u32_e32 v3, vcc, v3, v7
	v_addc_co_u32_e32 v5, vcc, v5, v9, vcc
	v_ashrrev_i32_e32 v7, 31, v15
	v_add_co_u32_e32 v9, vcc, v14, v7
	v_xor_b32_e32 v9, v9, v7
	v_addc_co_u32_e32 v11, vcc, v15, v7, vcc
	v_mad_u64_u32 v[12:13], s[0:1], v9, v5, 0
	v_mul_hi_u32 v15, v9, v3
	v_xor_b32_e32 v11, v11, v7
	v_add_co_u32_e32 v15, vcc, v15, v12
	v_addc_co_u32_e32 v18, vcc, 0, v13, vcc
	v_mad_u64_u32 v[16:17], s[0:1], v11, v3, 0
	v_add_co_u32_e32 v3, vcc, v15, v16
	v_mad_u64_u32 v[12:13], s[0:1], v11, v5, 0
	v_addc_co_u32_e32 v3, vcc, v18, v17, vcc
	v_addc_co_u32_e32 v5, vcc, 0, v13, vcc
	v_add_co_u32_e32 v3, vcc, v3, v12
	v_addc_co_u32_e32 v5, vcc, 0, v5, vcc
	v_mul_lo_u32 v15, s41, v3
	v_mul_lo_u32 v16, s40, v5
	v_mad_u64_u32 v[12:13], s[0:1], s40, v3, 0
	v_add3_u32 v13, v13, v16, v15
	v_sub_u32_e32 v15, v11, v13
	v_mov_b32_e32 v16, s41
	v_sub_co_u32_e32 v9, vcc, v9, v12
	v_subb_co_u32_e64 v12, s[0:1], v15, v16, vcc
	v_subrev_co_u32_e64 v15, s[0:1], s40, v9
	v_subbrev_co_u32_e64 v12, s[0:1], 0, v12, s[0:1]
	v_cmp_le_u32_e64 s[0:1], s41, v12
	v_cndmask_b32_e64 v16, 0, -1, s[0:1]
	v_cmp_le_u32_e64 s[0:1], s40, v15
	v_cndmask_b32_e64 v15, 0, -1, s[0:1]
	v_cmp_eq_u32_e64 s[0:1], s41, v12
	v_cndmask_b32_e64 v12, v16, v15, s[0:1]
	v_add_co_u32_e64 v15, s[0:1], 2, v3
	v_subb_co_u32_e32 v11, vcc, v11, v13, vcc
	v_addc_co_u32_e64 v16, s[0:1], 0, v5, s[0:1]
	v_cmp_le_u32_e32 vcc, s41, v11
	v_add_co_u32_e64 v17, s[0:1], 1, v3
	v_cndmask_b32_e64 v13, 0, -1, vcc
	v_cmp_le_u32_e32 vcc, s40, v9
	v_addc_co_u32_e64 v18, s[0:1], 0, v5, s[0:1]
	v_cndmask_b32_e64 v9, 0, -1, vcc
	v_cmp_eq_u32_e32 vcc, s41, v11
	v_cmp_ne_u32_e64 s[0:1], 0, v12
	v_cndmask_b32_e32 v9, v13, v9, vcc
	v_cmp_ne_u32_e32 vcc, 0, v9
	v_cndmask_b32_e64 v9, v17, v15, s[0:1]
	v_cndmask_b32_e64 v12, v18, v16, s[0:1]
	v_cndmask_b32_e32 v3, v3, v9, vcc
	v_xor_b32_e32 v9, s39, v7
	v_xor_b32_e32 v7, s38, v7
	v_cndmask_b32_e32 v5, v5, v12, vcc
	v_xor_b32_e32 v3, v3, v7
	v_xor_b32_e32 v5, v5, v9
	v_sub_co_u32_e32 v12, vcc, v3, v7
	v_subb_co_u32_e32 v13, vcc, v5, v9, vcc
.LBB37_39:                              ;   in Loop: Header=BB37_37 Depth=2
	s_andn2_saveexec_b64 s[0:1], s[36:37]
	s_cbranch_execz .LBB37_36
; %bb.40:                               ;   in Loop: Header=BB37_37 Depth=2
	v_cvt_f32_u32_e32 v3, s54
	s_sub_i32 s36, 0, s54
	v_mov_b32_e32 v13, v2
	v_rcp_iflag_f32_e32 v3, v3
	v_mul_f32_e32 v3, 0x4f7ffffe, v3
	v_cvt_u32_f32_e32 v3, v3
	v_mul_lo_u32 v5, s36, v3
	v_mul_hi_u32 v5, v3, v5
	v_add_u32_e32 v3, v3, v5
	v_mul_hi_u32 v3, v14, v3
	v_mul_lo_u32 v5, v3, s54
	v_sub_u32_e32 v5, v14, v5
	v_add_u32_e32 v7, 1, v3
	v_subrev_u32_e32 v9, s54, v5
	v_cmp_le_u32_e32 vcc, s54, v5
	v_cndmask_b32_e32 v5, v5, v9, vcc
	v_cndmask_b32_e32 v3, v3, v7, vcc
	v_add_u32_e32 v7, 1, v3
	v_cmp_le_u32_e32 vcc, s54, v5
	v_cndmask_b32_e32 v12, v3, v7, vcc
	s_branch .LBB37_36
.LBB37_41:                              ;   in Loop: Header=BB37_3 Depth=1
	v_mov_b32_e32 v3, v4
	v_sub_u32_e32 v4, v4, v8
	v_ashrrev_i32_e32 v5, 31, v4
	v_cmp_ge_i64_e32 vcc, s[8:9], v[4:5]
                                        ; implicit-def: $vgpr9
                                        ; implicit-def: $vgpr11
                                        ; implicit-def: $vgpr13
                                        ; implicit-def: $vgpr12
	s_and_saveexec_b64 s[0:1], vcc
	s_xor_b64 s[0:1], exec, s[0:1]
	s_cbranch_execnz .LBB37_44
; %bb.42:                               ;   in Loop: Header=BB37_3 Depth=1
	s_andn2_saveexec_b64 s[0:1], s[0:1]
	s_cbranch_execnz .LBB37_49
.LBB37_43:                              ;   in Loop: Header=BB37_3 Depth=1
	s_or_b64 exec, exec, s[0:1]
	v_cmp_gt_i32_e32 vcc, s13, v3
	s_and_saveexec_b64 s[0:1], vcc
	s_cbranch_execz .LBB37_2
	s_branch .LBB37_50
.LBB37_44:                              ;   in Loop: Header=BB37_3 Depth=1
	v_cmp_gt_i32_e32 vcc, s13, v3
	v_mov_b32_e32 v4, 0
	v_mov_b32_e32 v7, 0
	;; [unrolled: 1-line block ×4, first 2 shown]
	s_and_saveexec_b64 s[2:3], vcc
	s_cbranch_execz .LBB37_48
; %bb.45:                               ;   in Loop: Header=BB37_3 Depth=1
	v_ashrrev_i32_e32 v11, 31, v10
	v_lshlrev_b64 v[4:5], 2, v[10:11]
	v_mov_b32_e32 v7, s7
	v_add_co_u32_e32 v4, vcc, s6, v4
	v_addc_co_u32_e32 v5, vcc, v7, v5, vcc
	global_load_dword v7, v[4:5], off
	v_add_u32_e32 v9, 1, v3
	v_cmp_gt_i32_e32 vcc, s13, v9
	v_mov_b32_e32 v9, 0
	v_mov_b32_e32 v11, 0
	s_and_saveexec_b64 s[34:35], vcc
	s_xor_b64 s[34:35], exec, s[34:35]
	s_cbranch_execz .LBB37_47
; %bb.46:                               ;   in Loop: Header=BB37_3 Depth=1
	v_mov_b32_e32 v9, s29
	v_add_co_u32_e32 v4, vcc, s28, v4
	v_addc_co_u32_e32 v5, vcc, v5, v9, vcc
	global_load_dword v9, v[4:5], off
	s_waitcnt vmcnt(0)
	v_and_b32_e32 v11, 0xffff0000, v9
.LBB37_47:                              ;   in Loop: Header=BB37_3 Depth=1
	s_or_b64 exec, exec, s[34:35]
	s_waitcnt vmcnt(0)
	v_lshrrev_b32_e32 v4, 16, v7
.LBB37_48:                              ;   in Loop: Header=BB37_3 Depth=1
	s_or_b64 exec, exec, s[2:3]
	v_sub_u32_e32 v14, v3, v8
	v_ashrrev_i32_e32 v15, 31, v14
	v_cmp_lt_i64_e32 vcc, s[8:9], v[14:15]
	v_cndmask_b32_e64 v12, v4, 0, vcc
	v_add_u32_e32 v4, 1, v14
	v_ashrrev_i32_e32 v5, 31, v4
	v_cndmask_b32_e64 v13, v7, 0, vcc
	v_cmp_lt_i64_e32 vcc, s[8:9], v[4:5]
	v_cndmask_b32_e64 v9, v9, 0, vcc
	v_cndmask_b32_e64 v11, v11, 0, vcc
	s_andn2_saveexec_b64 s[0:1], s[0:1]
	s_cbranch_execz .LBB37_43
.LBB37_49:                              ;   in Loop: Header=BB37_3 Depth=1
	v_mov_b32_e32 v12, 0
	v_mov_b32_e32 v13, 0
	;; [unrolled: 1-line block ×4, first 2 shown]
	s_or_b64 exec, exec, s[0:1]
	v_cmp_gt_i32_e32 vcc, s13, v3
	s_and_saveexec_b64 s[0:1], vcc
	s_cbranch_execz .LBB37_2
.LBB37_50:                              ;   in Loop: Header=BB37_3 Depth=1
	v_ashrrev_i32_e32 v7, 31, v6
	v_lshlrev_b64 v[4:5], 2, v[6:7]
	v_mov_b32_e32 v6, s5
	v_add_co_u32_e32 v4, vcc, s4, v4
	v_addc_co_u32_e32 v5, vcc, v6, v5, vcc
	v_and_b32_e32 v6, 0xffff, v13
	v_add_u32_e32 v3, 1, v3
	v_lshl_or_b32 v6, v12, 16, v6
	v_cmp_gt_i32_e32 vcc, s13, v3
	global_store_dword v[4:5], v6, off
	s_and_saveexec_b64 s[2:3], vcc
	s_xor_b64 s[2:3], exec, s[2:3]
	s_cbranch_execz .LBB37_2
; %bb.51:                               ;   in Loop: Header=BB37_3 Depth=1
	v_mov_b32_e32 v3, s31
	v_add_co_u32_e32 v4, vcc, s30, v4
	v_addc_co_u32_e32 v5, vcc, v5, v3, vcc
	v_bfi_b32 v3, s52, v11, v9
	global_store_dword v[4:5], v3, off
	s_branch .LBB37_2
.LBB37_52:
	s_endpgm
	.section	.rodata,"a",@progbits
	.p2align	6, 0x0
	.amdhsa_kernel _ZN2at6native16triu_tril_kernelIN3c107complexINS2_4HalfEEEiLb0ELi2ELb0EEEvNS_4cuda6detail10TensorInfoIT_T0_EENS8_IKS9_SA_EEllSA_
		.amdhsa_group_segment_fixed_size 0
		.amdhsa_private_segment_fixed_size 0
		.amdhsa_kernarg_size 712
		.amdhsa_user_sgpr_count 6
		.amdhsa_user_sgpr_private_segment_buffer 1
		.amdhsa_user_sgpr_dispatch_ptr 0
		.amdhsa_user_sgpr_queue_ptr 0
		.amdhsa_user_sgpr_kernarg_segment_ptr 1
		.amdhsa_user_sgpr_dispatch_id 0
		.amdhsa_user_sgpr_flat_scratch_init 0
		.amdhsa_user_sgpr_kernarg_preload_length 0
		.amdhsa_user_sgpr_kernarg_preload_offset 0
		.amdhsa_user_sgpr_private_segment_size 0
		.amdhsa_uses_dynamic_stack 0
		.amdhsa_system_sgpr_private_segment_wavefront_offset 0
		.amdhsa_system_sgpr_workgroup_id_x 1
		.amdhsa_system_sgpr_workgroup_id_y 0
		.amdhsa_system_sgpr_workgroup_id_z 0
		.amdhsa_system_sgpr_workgroup_info 0
		.amdhsa_system_vgpr_workitem_id 0
		.amdhsa_next_free_vgpr 26
		.amdhsa_next_free_sgpr 63
		.amdhsa_accum_offset 28
		.amdhsa_reserve_vcc 1
		.amdhsa_reserve_flat_scratch 0
		.amdhsa_float_round_mode_32 0
		.amdhsa_float_round_mode_16_64 0
		.amdhsa_float_denorm_mode_32 3
		.amdhsa_float_denorm_mode_16_64 3
		.amdhsa_dx10_clamp 1
		.amdhsa_ieee_mode 1
		.amdhsa_fp16_overflow 0
		.amdhsa_tg_split 0
		.amdhsa_exception_fp_ieee_invalid_op 0
		.amdhsa_exception_fp_denorm_src 0
		.amdhsa_exception_fp_ieee_div_zero 0
		.amdhsa_exception_fp_ieee_overflow 0
		.amdhsa_exception_fp_ieee_underflow 0
		.amdhsa_exception_fp_ieee_inexact 0
		.amdhsa_exception_int_div_zero 0
	.end_amdhsa_kernel
	.section	.text._ZN2at6native16triu_tril_kernelIN3c107complexINS2_4HalfEEEiLb0ELi2ELb0EEEvNS_4cuda6detail10TensorInfoIT_T0_EENS8_IKS9_SA_EEllSA_,"axG",@progbits,_ZN2at6native16triu_tril_kernelIN3c107complexINS2_4HalfEEEiLb0ELi2ELb0EEEvNS_4cuda6detail10TensorInfoIT_T0_EENS8_IKS9_SA_EEllSA_,comdat
.Lfunc_end37:
	.size	_ZN2at6native16triu_tril_kernelIN3c107complexINS2_4HalfEEEiLb0ELi2ELb0EEEvNS_4cuda6detail10TensorInfoIT_T0_EENS8_IKS9_SA_EEllSA_, .Lfunc_end37-_ZN2at6native16triu_tril_kernelIN3c107complexINS2_4HalfEEEiLb0ELi2ELb0EEEvNS_4cuda6detail10TensorInfoIT_T0_EENS8_IKS9_SA_EEllSA_
                                        ; -- End function
	.section	.AMDGPU.csdata,"",@progbits
; Kernel info:
; codeLenInByte = 7728
; NumSgprs: 67
; NumVgprs: 26
; NumAgprs: 0
; TotalNumVgprs: 26
; ScratchSize: 0
; MemoryBound: 0
; FloatMode: 240
; IeeeMode: 1
; LDSByteSize: 0 bytes/workgroup (compile time only)
; SGPRBlocks: 8
; VGPRBlocks: 3
; NumSGPRsForWavesPerEU: 67
; NumVGPRsForWavesPerEU: 26
; AccumOffset: 28
; Occupancy: 8
; WaveLimiterHint : 0
; COMPUTE_PGM_RSRC2:SCRATCH_EN: 0
; COMPUTE_PGM_RSRC2:USER_SGPR: 6
; COMPUTE_PGM_RSRC2:TRAP_HANDLER: 0
; COMPUTE_PGM_RSRC2:TGID_X_EN: 1
; COMPUTE_PGM_RSRC2:TGID_Y_EN: 0
; COMPUTE_PGM_RSRC2:TGID_Z_EN: 0
; COMPUTE_PGM_RSRC2:TIDIG_COMP_CNT: 0
; COMPUTE_PGM_RSRC3_GFX90A:ACCUM_OFFSET: 6
; COMPUTE_PGM_RSRC3_GFX90A:TG_SPLIT: 0
	.section	.text._ZN2at6native16triu_tril_kernelIN3c107complexINS2_4HalfEEElLb0ELi2ELb1EEEvNS_4cuda6detail10TensorInfoIT_T0_EENS8_IKS9_SA_EEllSA_,"axG",@progbits,_ZN2at6native16triu_tril_kernelIN3c107complexINS2_4HalfEEElLb0ELi2ELb1EEEvNS_4cuda6detail10TensorInfoIT_T0_EENS8_IKS9_SA_EEllSA_,comdat
	.protected	_ZN2at6native16triu_tril_kernelIN3c107complexINS2_4HalfEEElLb0ELi2ELb1EEEvNS_4cuda6detail10TensorInfoIT_T0_EENS8_IKS9_SA_EEllSA_ ; -- Begin function _ZN2at6native16triu_tril_kernelIN3c107complexINS2_4HalfEEElLb0ELi2ELb1EEEvNS_4cuda6detail10TensorInfoIT_T0_EENS8_IKS9_SA_EEllSA_
	.globl	_ZN2at6native16triu_tril_kernelIN3c107complexINS2_4HalfEEElLb0ELi2ELb1EEEvNS_4cuda6detail10TensorInfoIT_T0_EENS8_IKS9_SA_EEllSA_
	.p2align	8
	.type	_ZN2at6native16triu_tril_kernelIN3c107complexINS2_4HalfEEElLb0ELi2ELb1EEEvNS_4cuda6detail10TensorInfoIT_T0_EENS8_IKS9_SA_EEllSA_,@function
_ZN2at6native16triu_tril_kernelIN3c107complexINS2_4HalfEEElLb0ELi2ELb1EEEvNS_4cuda6detail10TensorInfoIT_T0_EENS8_IKS9_SA_EEllSA_: ; @_ZN2at6native16triu_tril_kernelIN3c107complexINS2_4HalfEEElLb0ELi2ELb1EEEvNS_4cuda6detail10TensorInfoIT_T0_EENS8_IKS9_SA_EEllSA_
; %bb.0:
	s_load_dword s2, s[4:5], 0x364
	s_load_dwordx4 s[8:11], s[4:5], 0x340
	s_add_u32 s0, s4, 0x358
	v_mov_b32_e32 v2, 0
	s_addc_u32 s1, s5, 0
	s_waitcnt lgkmcnt(0)
	s_and_b32 s12, s2, 0xffff
	v_mov_b32_e32 v1, v2
	v_mov_b32_e32 v3, s6
	v_mad_u64_u32 v[0:1], s[2:3], s12, v3, v[0:1]
	v_lshlrev_b64 v[0:1], 1, v[0:1]
	v_cmp_gt_i64_e32 vcc, s[10:11], v[0:1]
	s_and_saveexec_b64 s[2:3], vcc
	s_cbranch_execz .LBB38_23
; %bb.1:
	s_load_dword s13, s[0:1], 0x0
	s_load_dword s18, s[4:5], 0x338
	s_load_dwordx2 s[2:3], s[4:5], 0x350
	s_load_dwordx2 s[6:7], s[4:5], 0x0
	s_mov_b32 s48, 0
	s_waitcnt lgkmcnt(0)
	s_mul_i32 s20, s13, s12
	s_ashr_i32 s19, s18, 31
	s_add_u32 s24, s4, 0x1a8
	s_addc_u32 s25, s5, 0
	s_lshl_b64 s[0:1], s[18:19], 3
	s_add_u32 s16, s0, -16
	s_addc_u32 s17, s1, -1
	s_add_u32 s14, s24, s16
	s_addc_u32 s15, s25, s17
	v_cmp_gt_i64_e64 s[12:13], s[18:19], 2
	s_add_u32 s19, s0, -8
	s_addc_u32 s21, s1, -1
	s_add_u32 s26, s4, 0xd0
	s_addc_u32 s27, s5, 0
	s_add_u32 s4, s26, s19
	v_cvt_f32_u32_e32 v3, s2
	s_addc_u32 s5, s27, s21
	s_add_u32 s16, s26, s16
	s_addc_u32 s17, s27, s17
	s_add_i32 s0, s18, -3
	s_ashr_i32 s1, s0, 31
	v_rcp_iflag_f32_e32 v3, v3
	s_add_u32 s18, s24, s19
	s_addc_u32 s19, s25, s21
	s_lshl_b32 s33, s20, 1
	s_lshl_b64 s[22:23], s[0:1], 3
	s_add_u32 s20, s26, s22
	s_load_dwordx2 s[14:15], s[14:15], 0x0
	s_addc_u32 s21, s27, s23
	v_mul_f32_e32 v3, 0x4f7ffffe, v3
	s_add_u32 s22, s24, s22
	v_cvt_u32_f32_e32 v14, v3
	s_addc_u32 s23, s25, s23
	s_add_u32 s24, s0, 1
	s_addc_u32 s25, s1, 0
	s_mov_b64 s[26:27], 0
	s_branch .LBB38_3
.LBB38_2:                               ;   in Loop: Header=BB38_3 Depth=1
	s_or_b64 exec, exec, s[28:29]
	v_mov_b32_e32 v3, s48
	v_add_co_u32_e32 v0, vcc, s33, v0
	v_addc_co_u32_e32 v1, vcc, v1, v3, vcc
	v_cmp_le_i64_e32 vcc, s[10:11], v[0:1]
	s_or_b64 s[26:27], vcc, s[26:27]
	s_andn2_b64 exec, exec, s[26:27]
	s_cbranch_execz .LBB38_23
.LBB38_3:                               ; =>This Loop Header: Depth=1
                                        ;     Child Loop BB38_19 Depth 2
	v_or_b32_e32 v3, s3, v1
	v_cmp_ne_u64_e32 vcc, 0, v[2:3]
                                        ; implicit-def: $vgpr6_vgpr7
	s_and_saveexec_b64 s[0:1], vcc
	s_xor_b64 s[28:29], exec, s[0:1]
	s_cbranch_execz .LBB38_5
; %bb.4:                                ;   in Loop: Header=BB38_3 Depth=1
	s_ashr_i32 s30, s3, 31
	s_add_u32 s0, s2, s30
	s_mov_b32 s31, s30
	s_addc_u32 s1, s3, s30
	s_xor_b64 s[34:35], s[0:1], s[30:31]
	v_cvt_f32_u32_e32 v3, s34
	v_cvt_f32_u32_e32 v4, s35
	s_sub_u32 s0, 0, s34
	s_subb_u32 s1, 0, s35
	v_mac_f32_e32 v3, 0x4f800000, v4
	v_rcp_f32_e32 v3, v3
	v_mul_f32_e32 v3, 0x5f7ffffc, v3
	v_mul_f32_e32 v4, 0x2f800000, v3
	v_trunc_f32_e32 v4, v4
	v_mac_f32_e32 v3, 0xcf800000, v4
	v_cvt_u32_f32_e32 v4, v4
	v_cvt_u32_f32_e32 v3, v3
	v_mul_lo_u32 v5, s0, v4
	v_mul_hi_u32 v7, s0, v3
	v_mul_lo_u32 v6, s1, v3
	v_add_u32_e32 v5, v7, v5
	v_mul_lo_u32 v8, s0, v3
	v_add_u32_e32 v5, v5, v6
	v_mul_lo_u32 v7, v3, v5
	v_mul_hi_u32 v9, v3, v8
	v_mul_hi_u32 v6, v3, v5
	v_add_co_u32_e32 v7, vcc, v9, v7
	v_addc_co_u32_e32 v6, vcc, 0, v6, vcc
	v_mul_hi_u32 v10, v4, v8
	v_mul_lo_u32 v8, v4, v8
	v_add_co_u32_e32 v7, vcc, v7, v8
	v_mul_hi_u32 v9, v4, v5
	v_addc_co_u32_e32 v6, vcc, v6, v10, vcc
	v_addc_co_u32_e32 v7, vcc, 0, v9, vcc
	v_mul_lo_u32 v5, v4, v5
	v_add_co_u32_e32 v5, vcc, v6, v5
	v_addc_co_u32_e32 v6, vcc, 0, v7, vcc
	v_add_co_u32_e32 v3, vcc, v3, v5
	v_addc_co_u32_e32 v4, vcc, v4, v6, vcc
	v_mul_lo_u32 v5, s0, v4
	v_mul_hi_u32 v6, s0, v3
	v_add_u32_e32 v5, v6, v5
	v_mul_lo_u32 v6, s1, v3
	v_add_u32_e32 v5, v5, v6
	v_mul_lo_u32 v7, s0, v3
	v_mul_hi_u32 v8, v4, v7
	v_mul_lo_u32 v9, v4, v7
	v_mul_lo_u32 v11, v3, v5
	v_mul_hi_u32 v7, v3, v7
	v_mul_hi_u32 v10, v3, v5
	v_add_co_u32_e32 v7, vcc, v7, v11
	v_addc_co_u32_e32 v10, vcc, 0, v10, vcc
	v_add_co_u32_e32 v7, vcc, v7, v9
	v_mul_hi_u32 v6, v4, v5
	v_addc_co_u32_e32 v7, vcc, v10, v8, vcc
	v_addc_co_u32_e32 v6, vcc, 0, v6, vcc
	v_mul_lo_u32 v5, v4, v5
	v_add_co_u32_e32 v5, vcc, v7, v5
	v_addc_co_u32_e32 v6, vcc, 0, v6, vcc
	v_add_co_u32_e32 v3, vcc, v3, v5
	v_addc_co_u32_e32 v6, vcc, v4, v6, vcc
	v_ashrrev_i32_e32 v8, 31, v1
	v_add_co_u32_e32 v4, vcc, v0, v8
	v_addc_co_u32_e32 v5, vcc, v1, v8, vcc
	v_xor_b32_e32 v10, v4, v8
	v_xor_b32_e32 v9, v5, v8
	v_mad_u64_u32 v[4:5], s[0:1], v10, v6, 0
	v_mul_hi_u32 v7, v10, v3
	v_add_co_u32_e32 v11, vcc, v7, v4
	v_addc_co_u32_e32 v12, vcc, 0, v5, vcc
	v_mad_u64_u32 v[4:5], s[0:1], v9, v6, 0
	v_mad_u64_u32 v[6:7], s[0:1], v9, v3, 0
	v_add_co_u32_e32 v3, vcc, v11, v6
	v_addc_co_u32_e32 v3, vcc, v12, v7, vcc
	v_addc_co_u32_e32 v5, vcc, 0, v5, vcc
	v_add_co_u32_e32 v3, vcc, v3, v4
	v_addc_co_u32_e32 v6, vcc, 0, v5, vcc
	v_mul_lo_u32 v7, s35, v3
	v_mul_lo_u32 v11, s34, v6
	v_mad_u64_u32 v[4:5], s[0:1], s34, v3, 0
	v_add3_u32 v5, v5, v11, v7
	v_sub_u32_e32 v7, v9, v5
	v_mov_b32_e32 v11, s35
	v_sub_co_u32_e32 v4, vcc, v10, v4
	v_subb_co_u32_e64 v7, s[0:1], v7, v11, vcc
	v_subrev_co_u32_e64 v10, s[0:1], s34, v4
	v_subbrev_co_u32_e64 v7, s[0:1], 0, v7, s[0:1]
	v_cmp_le_u32_e64 s[0:1], s35, v7
	v_cndmask_b32_e64 v11, 0, -1, s[0:1]
	v_cmp_le_u32_e64 s[0:1], s34, v10
	v_cndmask_b32_e64 v10, 0, -1, s[0:1]
	v_cmp_eq_u32_e64 s[0:1], s35, v7
	v_cndmask_b32_e64 v7, v11, v10, s[0:1]
	v_add_co_u32_e64 v10, s[0:1], 2, v3
	v_subb_co_u32_e32 v5, vcc, v9, v5, vcc
	v_addc_co_u32_e64 v11, s[0:1], 0, v6, s[0:1]
	v_cmp_le_u32_e32 vcc, s35, v5
	v_add_co_u32_e64 v12, s[0:1], 1, v3
	v_cndmask_b32_e64 v9, 0, -1, vcc
	v_cmp_le_u32_e32 vcc, s34, v4
	v_addc_co_u32_e64 v13, s[0:1], 0, v6, s[0:1]
	v_cndmask_b32_e64 v4, 0, -1, vcc
	v_cmp_eq_u32_e32 vcc, s35, v5
	v_cmp_ne_u32_e64 s[0:1], 0, v7
	v_cndmask_b32_e32 v4, v9, v4, vcc
	v_cmp_ne_u32_e32 vcc, 0, v4
	v_cndmask_b32_e64 v5, v12, v10, s[0:1]
	v_cndmask_b32_e64 v7, v13, v11, s[0:1]
	v_cndmask_b32_e32 v3, v3, v5, vcc
	v_xor_b32_e32 v5, s30, v8
	v_cndmask_b32_e32 v4, v6, v7, vcc
	v_xor_b32_e32 v3, v3, v5
	v_xor_b32_e32 v4, v4, v5
	v_sub_co_u32_e32 v6, vcc, v3, v5
	v_subb_co_u32_e32 v7, vcc, v4, v5, vcc
.LBB38_5:                               ;   in Loop: Header=BB38_3 Depth=1
	s_andn2_saveexec_b64 s[0:1], s[28:29]
	s_cbranch_execz .LBB38_7
; %bb.6:                                ;   in Loop: Header=BB38_3 Depth=1
	s_sub_i32 s28, 0, s2
	v_mul_lo_u32 v3, s28, v14
	v_mul_hi_u32 v3, v14, v3
	v_add_u32_e32 v3, v14, v3
	v_mul_hi_u32 v3, v0, v3
	v_mul_lo_u32 v4, v3, s2
	v_sub_u32_e32 v4, v0, v4
	v_subrev_u32_e32 v5, s2, v4
	v_cmp_le_u32_e32 vcc, s2, v4
	v_cndmask_b32_e32 v4, v4, v5, vcc
	v_add_u32_e32 v5, 1, v3
	v_cndmask_b32_e32 v3, v3, v5, vcc
	v_add_u32_e32 v5, 1, v3
	v_cmp_le_u32_e32 vcc, s2, v4
	v_cndmask_b32_e32 v6, v3, v5, vcc
	v_mov_b32_e32 v7, v2
.LBB38_7:                               ;   in Loop: Header=BB38_3 Depth=1
	s_or_b64 exec, exec, s[0:1]
	s_waitcnt lgkmcnt(0)
	v_or_b32_e32 v3, s15, v7
	v_cmp_ne_u64_e32 vcc, 0, v[2:3]
                                        ; implicit-def: $vgpr8_vgpr9
	s_and_saveexec_b64 s[0:1], vcc
	s_xor_b64 s[28:29], exec, s[0:1]
	s_cbranch_execz .LBB38_9
; %bb.8:                                ;   in Loop: Header=BB38_3 Depth=1
	s_ashr_i32 s30, s15, 31
	s_add_u32 s0, s14, s30
	s_mov_b32 s31, s30
	s_addc_u32 s1, s15, s30
	s_xor_b64 s[34:35], s[0:1], s[30:31]
	v_cvt_f32_u32_e32 v3, s34
	v_cvt_f32_u32_e32 v4, s35
	s_sub_u32 s0, 0, s34
	s_subb_u32 s1, 0, s35
	v_mac_f32_e32 v3, 0x4f800000, v4
	v_rcp_f32_e32 v3, v3
	v_mul_f32_e32 v3, 0x5f7ffffc, v3
	v_mul_f32_e32 v4, 0x2f800000, v3
	v_trunc_f32_e32 v4, v4
	v_mac_f32_e32 v3, 0xcf800000, v4
	v_cvt_u32_f32_e32 v4, v4
	v_cvt_u32_f32_e32 v3, v3
	v_mul_lo_u32 v5, s0, v4
	v_mul_hi_u32 v9, s0, v3
	v_mul_lo_u32 v8, s1, v3
	v_add_u32_e32 v5, v9, v5
	v_mul_lo_u32 v10, s0, v3
	v_add_u32_e32 v5, v5, v8
	v_mul_lo_u32 v9, v3, v5
	v_mul_hi_u32 v11, v3, v10
	v_mul_hi_u32 v8, v3, v5
	v_add_co_u32_e32 v9, vcc, v11, v9
	v_addc_co_u32_e32 v8, vcc, 0, v8, vcc
	v_mul_hi_u32 v12, v4, v10
	v_mul_lo_u32 v10, v4, v10
	v_add_co_u32_e32 v9, vcc, v9, v10
	v_mul_hi_u32 v11, v4, v5
	v_addc_co_u32_e32 v8, vcc, v8, v12, vcc
	v_addc_co_u32_e32 v9, vcc, 0, v11, vcc
	v_mul_lo_u32 v5, v4, v5
	v_add_co_u32_e32 v5, vcc, v8, v5
	v_addc_co_u32_e32 v8, vcc, 0, v9, vcc
	v_add_co_u32_e32 v3, vcc, v3, v5
	v_addc_co_u32_e32 v4, vcc, v4, v8, vcc
	v_mul_lo_u32 v5, s0, v4
	v_mul_hi_u32 v8, s0, v3
	v_add_u32_e32 v5, v8, v5
	v_mul_lo_u32 v8, s1, v3
	v_add_u32_e32 v5, v5, v8
	v_mul_lo_u32 v9, s0, v3
	v_mul_hi_u32 v10, v4, v9
	v_mul_lo_u32 v11, v4, v9
	v_mul_lo_u32 v13, v3, v5
	v_mul_hi_u32 v9, v3, v9
	v_mul_hi_u32 v12, v3, v5
	v_add_co_u32_e32 v9, vcc, v9, v13
	v_addc_co_u32_e32 v12, vcc, 0, v12, vcc
	v_add_co_u32_e32 v9, vcc, v9, v11
	v_mul_hi_u32 v8, v4, v5
	v_addc_co_u32_e32 v9, vcc, v12, v10, vcc
	v_addc_co_u32_e32 v8, vcc, 0, v8, vcc
	v_mul_lo_u32 v5, v4, v5
	v_add_co_u32_e32 v5, vcc, v9, v5
	v_addc_co_u32_e32 v8, vcc, 0, v8, vcc
	v_add_co_u32_e32 v3, vcc, v3, v5
	v_addc_co_u32_e32 v8, vcc, v4, v8, vcc
	v_ashrrev_i32_e32 v10, 31, v7
	v_add_co_u32_e32 v4, vcc, v6, v10
	v_addc_co_u32_e32 v5, vcc, v7, v10, vcc
	v_xor_b32_e32 v12, v4, v10
	v_xor_b32_e32 v11, v5, v10
	v_mad_u64_u32 v[4:5], s[0:1], v12, v8, 0
	v_mul_hi_u32 v9, v12, v3
	v_add_co_u32_e32 v13, vcc, v9, v4
	v_addc_co_u32_e32 v15, vcc, 0, v5, vcc
	v_mad_u64_u32 v[4:5], s[0:1], v11, v8, 0
	v_mad_u64_u32 v[8:9], s[0:1], v11, v3, 0
	v_add_co_u32_e32 v3, vcc, v13, v8
	v_addc_co_u32_e32 v3, vcc, v15, v9, vcc
	v_addc_co_u32_e32 v5, vcc, 0, v5, vcc
	v_add_co_u32_e32 v3, vcc, v3, v4
	v_addc_co_u32_e32 v8, vcc, 0, v5, vcc
	v_mul_lo_u32 v9, s35, v3
	v_mul_lo_u32 v13, s34, v8
	v_mad_u64_u32 v[4:5], s[0:1], s34, v3, 0
	v_add3_u32 v5, v5, v13, v9
	v_sub_u32_e32 v9, v11, v5
	v_mov_b32_e32 v13, s35
	v_sub_co_u32_e32 v4, vcc, v12, v4
	v_subb_co_u32_e64 v9, s[0:1], v9, v13, vcc
	v_subrev_co_u32_e64 v12, s[0:1], s34, v4
	v_subbrev_co_u32_e64 v9, s[0:1], 0, v9, s[0:1]
	v_cmp_le_u32_e64 s[0:1], s35, v9
	v_cndmask_b32_e64 v13, 0, -1, s[0:1]
	v_cmp_le_u32_e64 s[0:1], s34, v12
	v_cndmask_b32_e64 v12, 0, -1, s[0:1]
	v_cmp_eq_u32_e64 s[0:1], s35, v9
	v_cndmask_b32_e64 v9, v13, v12, s[0:1]
	v_add_co_u32_e64 v12, s[0:1], 2, v3
	v_subb_co_u32_e32 v5, vcc, v11, v5, vcc
	v_addc_co_u32_e64 v13, s[0:1], 0, v8, s[0:1]
	v_cmp_le_u32_e32 vcc, s35, v5
	v_add_co_u32_e64 v15, s[0:1], 1, v3
	v_cndmask_b32_e64 v11, 0, -1, vcc
	v_cmp_le_u32_e32 vcc, s34, v4
	v_addc_co_u32_e64 v16, s[0:1], 0, v8, s[0:1]
	v_cndmask_b32_e64 v4, 0, -1, vcc
	v_cmp_eq_u32_e32 vcc, s35, v5
	v_cmp_ne_u32_e64 s[0:1], 0, v9
	v_cndmask_b32_e32 v4, v11, v4, vcc
	v_cmp_ne_u32_e32 vcc, 0, v4
	v_cndmask_b32_e64 v5, v15, v12, s[0:1]
	v_cndmask_b32_e64 v9, v16, v13, s[0:1]
	v_cndmask_b32_e32 v3, v3, v5, vcc
	v_xor_b32_e32 v5, s30, v10
	v_cndmask_b32_e32 v4, v8, v9, vcc
	v_xor_b32_e32 v3, v3, v5
	v_xor_b32_e32 v4, v4, v5
	v_sub_co_u32_e32 v8, vcc, v3, v5
	v_subb_co_u32_e32 v9, vcc, v4, v5, vcc
.LBB38_9:                               ;   in Loop: Header=BB38_3 Depth=1
	s_andn2_saveexec_b64 s[0:1], s[28:29]
	s_cbranch_execz .LBB38_11
; %bb.10:                               ;   in Loop: Header=BB38_3 Depth=1
	v_cvt_f32_u32_e32 v3, s14
	s_sub_i32 s28, 0, s14
	v_mov_b32_e32 v9, v2
	v_rcp_iflag_f32_e32 v3, v3
	v_mul_f32_e32 v3, 0x4f7ffffe, v3
	v_cvt_u32_f32_e32 v3, v3
	v_mul_lo_u32 v4, s28, v3
	v_mul_hi_u32 v4, v3, v4
	v_add_u32_e32 v3, v3, v4
	v_mul_hi_u32 v3, v6, v3
	v_mul_lo_u32 v4, v3, s14
	v_sub_u32_e32 v4, v6, v4
	v_add_u32_e32 v5, 1, v3
	v_subrev_u32_e32 v8, s14, v4
	v_cmp_le_u32_e32 vcc, s14, v4
	v_cndmask_b32_e32 v4, v4, v8, vcc
	v_cndmask_b32_e32 v3, v3, v5, vcc
	v_add_u32_e32 v5, 1, v3
	v_cmp_le_u32_e32 vcc, s14, v4
	v_cndmask_b32_e32 v8, v3, v5, vcc
.LBB38_11:                              ;   in Loop: Header=BB38_3 Depth=1
	s_or_b64 exec, exec, s[0:1]
	v_mul_lo_u32 v3, v7, s2
	v_mul_lo_u32 v10, v6, s3
	v_mad_u64_u32 v[4:5], s[0:1], v6, s2, 0
	v_add3_u32 v3, v5, v10, v3
	v_sub_co_u32_e32 v4, vcc, v0, v4
	v_subb_co_u32_e32 v5, vcc, v1, v3, vcc
	v_mul_lo_u32 v3, v9, s14
	v_mul_lo_u32 v12, v8, s15
	v_mad_u64_u32 v[10:11], s[0:1], v8, s14, 0
	v_add3_u32 v3, v11, v12, v3
	v_sub_co_u32_e32 v15, vcc, v6, v10
	v_subb_co_u32_e32 v16, vcc, v7, v3, vcc
	v_sub_co_u32_e32 v6, vcc, v4, v15
	v_subb_co_u32_e32 v7, vcc, v5, v16, vcc
	v_add_co_u32_e32 v10, vcc, 2, v6
	v_addc_co_u32_e32 v11, vcc, 0, v7, vcc
	v_cmp_lt_i64_e32 vcc, s[8:9], v[10:11]
	s_and_saveexec_b64 s[28:29], vcc
	s_cbranch_execz .LBB38_2
; %bb.12:                               ;   in Loop: Header=BB38_3 Depth=1
	s_load_dwordx2 s[30:31], s[4:5], 0x0
	s_load_dwordx2 s[0:1], s[16:17], 0x0
	s_and_b64 vcc, exec, s[12:13]
	s_mov_b64 s[36:37], s[22:23]
	s_mov_b64 s[38:39], s[20:21]
	s_waitcnt lgkmcnt(0)
	v_mul_lo_u32 v3, s31, v4
	v_mul_lo_u32 v12, s30, v5
	v_mad_u64_u32 v[10:11], s[34:35], s30, v4, 0
	v_add3_u32 v11, v11, v12, v3
	v_mad_u64_u32 v[10:11], s[34:35], s0, v15, v[10:11]
	v_mul_lo_u32 v3, s0, v16
	v_mul_lo_u32 v12, s1, v15
	v_add3_u32 v11, v12, v11, v3
	s_mov_b64 s[34:35], s[24:25]
	s_cbranch_vccnz .LBB38_19
.LBB38_13:                              ;   in Loop: Header=BB38_3 Depth=1
	s_load_dwordx2 s[0:1], s[18:19], 0x0
	s_waitcnt lgkmcnt(0)
	v_cmp_gt_i64_e32 vcc, s[0:1], v[4:5]
	s_and_b64 exec, exec, vcc
	s_cbranch_execz .LBB38_2
; %bb.14:                               ;   in Loop: Header=BB38_3 Depth=1
	v_lshlrev_b64 v[8:9], 2, v[10:11]
	v_mov_b32_e32 v3, s7
	v_add_co_u32_e32 v8, vcc, s6, v8
	v_addc_co_u32_e32 v9, vcc, v3, v9, vcc
	v_cmp_lt_i64_e32 vcc, s[8:9], v[6:7]
	s_and_saveexec_b64 s[34:35], vcc
	s_cbranch_execz .LBB38_16
; %bb.15:                               ;   in Loop: Header=BB38_3 Depth=1
	global_store_dword v[8:9], v2, off
.LBB38_16:                              ;   in Loop: Header=BB38_3 Depth=1
	s_or_b64 exec, exec, s[34:35]
	v_add_co_u32_e32 v4, vcc, 1, v4
	v_addc_co_u32_e32 v5, vcc, 0, v5, vcc
	v_cmp_gt_i64_e32 vcc, s[0:1], v[4:5]
	v_sub_co_u32_e64 v4, s[0:1], v4, v15
	v_subb_co_u32_e64 v5, s[0:1], v5, v16, s[0:1]
	v_cmp_lt_i64_e64 s[0:1], s[8:9], v[4:5]
	s_and_b64 s[0:1], vcc, s[0:1]
	s_and_b64 exec, exec, s[0:1]
	s_cbranch_execz .LBB38_2
; %bb.17:                               ;   in Loop: Header=BB38_3 Depth=1
	s_lshl_b64 s[0:1], s[30:31], 2
	v_mov_b32_e32 v3, s1
	v_add_co_u32_e32 v4, vcc, s0, v8
	v_addc_co_u32_e32 v5, vcc, v9, v3, vcc
	global_store_dword v[4:5], v2, off
	s_branch .LBB38_2
.LBB38_18:                              ;   in Loop: Header=BB38_19 Depth=2
	s_or_b64 exec, exec, s[0:1]
	v_mad_u64_u32 v[18:19], s[0:1], v12, s40, 0
	s_load_dwordx2 s[0:1], s[38:39], 0x0
	s_add_u32 s38, s38, -8
	s_addc_u32 s39, s39, -1
	v_mul_lo_u32 v3, v13, s40
	v_mul_lo_u32 v17, v12, s41
	s_add_u32 s36, s36, -8
	v_add3_u32 v3, v19, v17, v3
	v_sub_co_u32_e32 v8, vcc, v8, v18
	s_addc_u32 s37, s37, -1
	v_subb_co_u32_e32 v3, vcc, v9, v3, vcc
	s_add_u32 s34, s34, -1
	s_waitcnt lgkmcnt(0)
	v_mul_lo_u32 v3, s0, v3
	v_mul_lo_u32 v9, s1, v8
	v_mad_u64_u32 v[10:11], s[0:1], s0, v8, v[10:11]
	s_addc_u32 s35, s35, -1
	v_cmp_lt_i64_e64 s[0:1], s[34:35], 1
	v_add3_u32 v11, v9, v11, v3
	s_and_b64 vcc, exec, s[0:1]
	v_pk_mov_b32 v[8:9], v[12:13], v[12:13] op_sel:[0,1]
	s_cbranch_vccnz .LBB38_13
.LBB38_19:                              ;   Parent Loop BB38_3 Depth=1
                                        ; =>  This Inner Loop Header: Depth=2
	s_load_dwordx2 s[40:41], s[36:37], 0x0
                                        ; implicit-def: $vgpr12_vgpr13
	s_waitcnt lgkmcnt(0)
	v_or_b32_e32 v3, s41, v9
	v_cmp_ne_u64_e32 vcc, 0, v[2:3]
	s_and_saveexec_b64 s[0:1], vcc
	s_xor_b64 s[42:43], exec, s[0:1]
	s_cbranch_execz .LBB38_21
; %bb.20:                               ;   in Loop: Header=BB38_19 Depth=2
	s_ashr_i32 s44, s41, 31
	s_add_u32 s0, s40, s44
	s_mov_b32 s45, s44
	s_addc_u32 s1, s41, s44
	s_xor_b64 s[46:47], s[0:1], s[44:45]
	v_cvt_f32_u32_e32 v3, s46
	v_cvt_f32_u32_e32 v12, s47
	s_sub_u32 s0, 0, s46
	s_subb_u32 s1, 0, s47
	v_mac_f32_e32 v3, 0x4f800000, v12
	v_rcp_f32_e32 v3, v3
	v_mul_f32_e32 v3, 0x5f7ffffc, v3
	v_mul_f32_e32 v12, 0x2f800000, v3
	v_trunc_f32_e32 v12, v12
	v_mac_f32_e32 v3, 0xcf800000, v12
	v_cvt_u32_f32_e32 v12, v12
	v_cvt_u32_f32_e32 v3, v3
	v_mul_lo_u32 v13, s0, v12
	v_mul_hi_u32 v18, s0, v3
	v_mul_lo_u32 v17, s1, v3
	v_add_u32_e32 v13, v18, v13
	v_mul_lo_u32 v19, s0, v3
	v_add_u32_e32 v13, v13, v17
	v_mul_lo_u32 v18, v3, v13
	v_mul_hi_u32 v20, v3, v19
	v_mul_hi_u32 v17, v3, v13
	v_add_co_u32_e32 v18, vcc, v20, v18
	v_addc_co_u32_e32 v17, vcc, 0, v17, vcc
	v_mul_hi_u32 v21, v12, v19
	v_mul_lo_u32 v19, v12, v19
	v_add_co_u32_e32 v18, vcc, v18, v19
	v_mul_hi_u32 v20, v12, v13
	v_addc_co_u32_e32 v17, vcc, v17, v21, vcc
	v_addc_co_u32_e32 v18, vcc, 0, v20, vcc
	v_mul_lo_u32 v13, v12, v13
	v_add_co_u32_e32 v13, vcc, v17, v13
	v_addc_co_u32_e32 v17, vcc, 0, v18, vcc
	v_add_co_u32_e32 v3, vcc, v3, v13
	v_addc_co_u32_e32 v12, vcc, v12, v17, vcc
	v_mul_lo_u32 v13, s0, v12
	v_mul_hi_u32 v17, s0, v3
	v_add_u32_e32 v13, v17, v13
	v_mul_lo_u32 v17, s1, v3
	v_add_u32_e32 v13, v13, v17
	v_mul_lo_u32 v18, s0, v3
	v_mul_hi_u32 v19, v12, v18
	v_mul_lo_u32 v20, v12, v18
	v_mul_lo_u32 v22, v3, v13
	v_mul_hi_u32 v18, v3, v18
	v_mul_hi_u32 v21, v3, v13
	v_add_co_u32_e32 v18, vcc, v18, v22
	v_addc_co_u32_e32 v21, vcc, 0, v21, vcc
	v_add_co_u32_e32 v18, vcc, v18, v20
	v_mul_hi_u32 v17, v12, v13
	v_addc_co_u32_e32 v18, vcc, v21, v19, vcc
	v_addc_co_u32_e32 v17, vcc, 0, v17, vcc
	v_mul_lo_u32 v13, v12, v13
	v_add_co_u32_e32 v13, vcc, v18, v13
	v_addc_co_u32_e32 v17, vcc, 0, v17, vcc
	v_add_co_u32_e32 v3, vcc, v3, v13
	v_addc_co_u32_e32 v17, vcc, v12, v17, vcc
	v_ashrrev_i32_e32 v20, 31, v9
	v_add_co_u32_e32 v12, vcc, v8, v20
	v_addc_co_u32_e32 v13, vcc, v9, v20, vcc
	v_xor_b32_e32 v22, v12, v20
	v_xor_b32_e32 v21, v13, v20
	v_mad_u64_u32 v[12:13], s[0:1], v22, v17, 0
	v_mul_hi_u32 v18, v22, v3
	v_add_co_u32_e32 v23, vcc, v18, v12
	v_addc_co_u32_e32 v24, vcc, 0, v13, vcc
	v_mad_u64_u32 v[18:19], s[0:1], v21, v3, 0
	v_add_co_u32_e32 v3, vcc, v23, v18
	v_mad_u64_u32 v[12:13], s[0:1], v21, v17, 0
	v_addc_co_u32_e32 v3, vcc, v24, v19, vcc
	v_addc_co_u32_e32 v13, vcc, 0, v13, vcc
	v_add_co_u32_e32 v3, vcc, v3, v12
	v_addc_co_u32_e32 v17, vcc, 0, v13, vcc
	v_mul_lo_u32 v18, s47, v3
	v_mul_lo_u32 v19, s46, v17
	v_mad_u64_u32 v[12:13], s[0:1], s46, v3, 0
	v_add3_u32 v13, v13, v19, v18
	v_sub_u32_e32 v18, v21, v13
	v_mov_b32_e32 v19, s47
	v_sub_co_u32_e32 v12, vcc, v22, v12
	v_subb_co_u32_e64 v18, s[0:1], v18, v19, vcc
	v_subrev_co_u32_e64 v19, s[0:1], s46, v12
	v_subbrev_co_u32_e64 v18, s[0:1], 0, v18, s[0:1]
	v_cmp_le_u32_e64 s[0:1], s47, v18
	v_cndmask_b32_e64 v22, 0, -1, s[0:1]
	v_cmp_le_u32_e64 s[0:1], s46, v19
	v_cndmask_b32_e64 v19, 0, -1, s[0:1]
	v_cmp_eq_u32_e64 s[0:1], s47, v18
	v_cndmask_b32_e64 v18, v22, v19, s[0:1]
	v_add_co_u32_e64 v19, s[0:1], 2, v3
	v_subb_co_u32_e32 v13, vcc, v21, v13, vcc
	v_addc_co_u32_e64 v22, s[0:1], 0, v17, s[0:1]
	v_cmp_le_u32_e32 vcc, s47, v13
	v_add_co_u32_e64 v23, s[0:1], 1, v3
	v_cndmask_b32_e64 v21, 0, -1, vcc
	v_cmp_le_u32_e32 vcc, s46, v12
	v_addc_co_u32_e64 v24, s[0:1], 0, v17, s[0:1]
	v_cndmask_b32_e64 v12, 0, -1, vcc
	v_cmp_eq_u32_e32 vcc, s47, v13
	v_cmp_ne_u32_e64 s[0:1], 0, v18
	v_cndmask_b32_e32 v12, v21, v12, vcc
	v_cmp_ne_u32_e32 vcc, 0, v12
	v_cndmask_b32_e64 v13, v23, v19, s[0:1]
	v_cndmask_b32_e64 v18, v24, v22, s[0:1]
	v_cndmask_b32_e32 v3, v3, v13, vcc
	v_xor_b32_e32 v13, s44, v20
	v_cndmask_b32_e32 v12, v17, v18, vcc
	v_xor_b32_e32 v3, v3, v13
	v_xor_b32_e32 v17, v12, v13
	v_sub_co_u32_e32 v12, vcc, v3, v13
	v_subb_co_u32_e32 v13, vcc, v17, v13, vcc
.LBB38_21:                              ;   in Loop: Header=BB38_19 Depth=2
	s_andn2_saveexec_b64 s[0:1], s[42:43]
	s_cbranch_execz .LBB38_18
; %bb.22:                               ;   in Loop: Header=BB38_19 Depth=2
	v_cvt_f32_u32_e32 v3, s40
	s_sub_i32 s42, 0, s40
	v_rcp_iflag_f32_e32 v3, v3
	v_mul_f32_e32 v3, 0x4f7ffffe, v3
	v_cvt_u32_f32_e32 v3, v3
	v_mul_lo_u32 v12, s42, v3
	v_mul_hi_u32 v12, v3, v12
	v_add_u32_e32 v3, v3, v12
	v_mul_hi_u32 v3, v8, v3
	v_mul_lo_u32 v12, v3, s40
	v_sub_u32_e32 v12, v8, v12
	v_add_u32_e32 v13, 1, v3
	v_subrev_u32_e32 v17, s40, v12
	v_cmp_le_u32_e32 vcc, s40, v12
	v_cndmask_b32_e32 v12, v12, v17, vcc
	v_cndmask_b32_e32 v3, v3, v13, vcc
	v_add_u32_e32 v13, 1, v3
	v_cmp_le_u32_e32 vcc, s40, v12
	v_cndmask_b32_e32 v12, v3, v13, vcc
	v_mov_b32_e32 v13, v2
	s_branch .LBB38_18
.LBB38_23:
	s_endpgm
	.section	.rodata,"a",@progbits
	.p2align	6, 0x0
	.amdhsa_kernel _ZN2at6native16triu_tril_kernelIN3c107complexINS2_4HalfEEElLb0ELi2ELb1EEEvNS_4cuda6detail10TensorInfoIT_T0_EENS8_IKS9_SA_EEllSA_
		.amdhsa_group_segment_fixed_size 0
		.amdhsa_private_segment_fixed_size 0
		.amdhsa_kernarg_size 1112
		.amdhsa_user_sgpr_count 6
		.amdhsa_user_sgpr_private_segment_buffer 1
		.amdhsa_user_sgpr_dispatch_ptr 0
		.amdhsa_user_sgpr_queue_ptr 0
		.amdhsa_user_sgpr_kernarg_segment_ptr 1
		.amdhsa_user_sgpr_dispatch_id 0
		.amdhsa_user_sgpr_flat_scratch_init 0
		.amdhsa_user_sgpr_kernarg_preload_length 0
		.amdhsa_user_sgpr_kernarg_preload_offset 0
		.amdhsa_user_sgpr_private_segment_size 0
		.amdhsa_uses_dynamic_stack 0
		.amdhsa_system_sgpr_private_segment_wavefront_offset 0
		.amdhsa_system_sgpr_workgroup_id_x 1
		.amdhsa_system_sgpr_workgroup_id_y 0
		.amdhsa_system_sgpr_workgroup_id_z 0
		.amdhsa_system_sgpr_workgroup_info 0
		.amdhsa_system_vgpr_workitem_id 0
		.amdhsa_next_free_vgpr 25
		.amdhsa_next_free_sgpr 49
		.amdhsa_accum_offset 28
		.amdhsa_reserve_vcc 1
		.amdhsa_reserve_flat_scratch 0
		.amdhsa_float_round_mode_32 0
		.amdhsa_float_round_mode_16_64 0
		.amdhsa_float_denorm_mode_32 3
		.amdhsa_float_denorm_mode_16_64 3
		.amdhsa_dx10_clamp 1
		.amdhsa_ieee_mode 1
		.amdhsa_fp16_overflow 0
		.amdhsa_tg_split 0
		.amdhsa_exception_fp_ieee_invalid_op 0
		.amdhsa_exception_fp_denorm_src 0
		.amdhsa_exception_fp_ieee_div_zero 0
		.amdhsa_exception_fp_ieee_overflow 0
		.amdhsa_exception_fp_ieee_underflow 0
		.amdhsa_exception_fp_ieee_inexact 0
		.amdhsa_exception_int_div_zero 0
	.end_amdhsa_kernel
	.section	.text._ZN2at6native16triu_tril_kernelIN3c107complexINS2_4HalfEEElLb0ELi2ELb1EEEvNS_4cuda6detail10TensorInfoIT_T0_EENS8_IKS9_SA_EEllSA_,"axG",@progbits,_ZN2at6native16triu_tril_kernelIN3c107complexINS2_4HalfEEElLb0ELi2ELb1EEEvNS_4cuda6detail10TensorInfoIT_T0_EENS8_IKS9_SA_EEllSA_,comdat
.Lfunc_end38:
	.size	_ZN2at6native16triu_tril_kernelIN3c107complexINS2_4HalfEEElLb0ELi2ELb1EEEvNS_4cuda6detail10TensorInfoIT_T0_EENS8_IKS9_SA_EEllSA_, .Lfunc_end38-_ZN2at6native16triu_tril_kernelIN3c107complexINS2_4HalfEEElLb0ELi2ELb1EEEvNS_4cuda6detail10TensorInfoIT_T0_EENS8_IKS9_SA_EEllSA_
                                        ; -- End function
	.section	.AMDGPU.csdata,"",@progbits
; Kernel info:
; codeLenInByte = 3212
; NumSgprs: 53
; NumVgprs: 25
; NumAgprs: 0
; TotalNumVgprs: 25
; ScratchSize: 0
; MemoryBound: 0
; FloatMode: 240
; IeeeMode: 1
; LDSByteSize: 0 bytes/workgroup (compile time only)
; SGPRBlocks: 6
; VGPRBlocks: 3
; NumSGPRsForWavesPerEU: 53
; NumVGPRsForWavesPerEU: 25
; AccumOffset: 28
; Occupancy: 8
; WaveLimiterHint : 0
; COMPUTE_PGM_RSRC2:SCRATCH_EN: 0
; COMPUTE_PGM_RSRC2:USER_SGPR: 6
; COMPUTE_PGM_RSRC2:TRAP_HANDLER: 0
; COMPUTE_PGM_RSRC2:TGID_X_EN: 1
; COMPUTE_PGM_RSRC2:TGID_Y_EN: 0
; COMPUTE_PGM_RSRC2:TGID_Z_EN: 0
; COMPUTE_PGM_RSRC2:TIDIG_COMP_CNT: 0
; COMPUTE_PGM_RSRC3_GFX90A:ACCUM_OFFSET: 6
; COMPUTE_PGM_RSRC3_GFX90A:TG_SPLIT: 0
	.section	.text._ZN2at6native16triu_tril_kernelIN3c107complexINS2_4HalfEEElLb0ELi2ELb0EEEvNS_4cuda6detail10TensorInfoIT_T0_EENS8_IKS9_SA_EEllSA_,"axG",@progbits,_ZN2at6native16triu_tril_kernelIN3c107complexINS2_4HalfEEElLb0ELi2ELb0EEEvNS_4cuda6detail10TensorInfoIT_T0_EENS8_IKS9_SA_EEllSA_,comdat
	.protected	_ZN2at6native16triu_tril_kernelIN3c107complexINS2_4HalfEEElLb0ELi2ELb0EEEvNS_4cuda6detail10TensorInfoIT_T0_EENS8_IKS9_SA_EEllSA_ ; -- Begin function _ZN2at6native16triu_tril_kernelIN3c107complexINS2_4HalfEEElLb0ELi2ELb0EEEvNS_4cuda6detail10TensorInfoIT_T0_EENS8_IKS9_SA_EEllSA_
	.globl	_ZN2at6native16triu_tril_kernelIN3c107complexINS2_4HalfEEElLb0ELi2ELb0EEEvNS_4cuda6detail10TensorInfoIT_T0_EENS8_IKS9_SA_EEllSA_
	.p2align	8
	.type	_ZN2at6native16triu_tril_kernelIN3c107complexINS2_4HalfEEElLb0ELi2ELb0EEEvNS_4cuda6detail10TensorInfoIT_T0_EENS8_IKS9_SA_EEllSA_,@function
_ZN2at6native16triu_tril_kernelIN3c107complexINS2_4HalfEEElLb0ELi2ELb0EEEvNS_4cuda6detail10TensorInfoIT_T0_EENS8_IKS9_SA_EEllSA_: ; @_ZN2at6native16triu_tril_kernelIN3c107complexINS2_4HalfEEElLb0ELi2ELb0EEEvNS_4cuda6detail10TensorInfoIT_T0_EENS8_IKS9_SA_EEllSA_
; %bb.0:
	s_load_dword s2, s[4:5], 0x364
	s_load_dwordx4 s[8:11], s[4:5], 0x340
	s_add_u32 s0, s4, 0x358
	v_mov_b32_e32 v2, 0
	s_addc_u32 s1, s5, 0
	s_waitcnt lgkmcnt(0)
	s_and_b32 s7, s2, 0xffff
	v_mov_b32_e32 v1, v2
	v_mov_b32_e32 v3, s6
	v_mad_u64_u32 v[0:1], s[2:3], s7, v3, v[0:1]
	v_lshlrev_b64 v[0:1], 1, v[0:1]
	v_cmp_gt_i64_e32 vcc, s[10:11], v[0:1]
	s_and_saveexec_b64 s[2:3], vcc
	s_cbranch_execz .LBB39_26
; %bb.1:
	s_load_dword s6, s[0:1], 0x0
	s_load_dwordx2 s[2:3], s[4:5], 0x350
	s_load_dword s26, s[4:5], 0x338
	s_add_u32 s12, s4, 0x1a0
	s_addc_u32 s13, s5, 0
	s_waitcnt lgkmcnt(0)
	s_mul_i32 s28, s6, s7
	v_cvt_f32_u32_e32 v3, s2
	s_ashr_i32 s27, s26, 31
	s_add_u32 s30, s4, 0x1a8
	s_addc_u32 s31, s5, 0
	s_lshl_b64 s[0:1], s[26:27], 3
	s_add_u32 s22, s0, -16
	s_addc_u32 s23, s1, -1
	s_add_u32 s0, s30, s22
	s_addc_u32 s1, s31, s23
	s_add_u32 s20, s12, s22
	s_addc_u32 s21, s13, s23
	v_cmp_gt_i64_e64 s[24:25], s[26:27], 2
	s_add_u32 s27, s4, 0xd0
	s_addc_u32 s34, s5, 0
	s_load_dwordx4 s[12:15], s[0:1], 0x0
	s_load_dwordx4 s[16:19], s[20:21], 0xd0
	s_add_u32 s0, s27, s22
	s_addc_u32 s1, s34, s23
	s_load_dwordx2 s[6:7], s[4:5], 0x1a0
	s_load_dwordx4 s[20:23], s[0:1], 0x0
	v_rcp_iflag_f32_e32 v3, v3
	s_load_dwordx2 s[4:5], s[4:5], 0x0
	s_add_i32 s0, s26, -3
	s_ashr_i32 s1, s0, 31
	s_lshl_b32 s33, s28, 1
	s_lshl_b64 s[28:29], s[0:1], 3
	s_add_u32 s26, s27, s28
	s_addc_u32 s27, s34, s29
	v_mul_f32_e32 v3, 0x4f7ffffe, v3
	s_add_u32 s28, s30, s28
	v_cvt_u32_f32_e32 v14, v3
	s_addc_u32 s29, s31, s29
	s_add_u32 s30, s0, 1
	s_mov_b32 s50, 0
	s_addc_u32 s31, s1, 0
	s_mov_b64 s[34:35], 0
	s_mov_b32 s51, 0xffff0000
	s_branch .LBB39_3
.LBB39_2:                               ;   in Loop: Header=BB39_3 Depth=1
	s_or_b64 exec, exec, s[0:1]
	v_mov_b32_e32 v3, s50
	v_add_co_u32_e32 v0, vcc, s33, v0
	v_addc_co_u32_e32 v1, vcc, v1, v3, vcc
	v_cmp_le_i64_e32 vcc, s[10:11], v[0:1]
	s_or_b64 s[34:35], vcc, s[34:35]
	s_andn2_b64 exec, exec, s[34:35]
	s_cbranch_execz .LBB39_26
.LBB39_3:                               ; =>This Loop Header: Depth=1
                                        ;     Child Loop BB39_22 Depth 2
	v_or_b32_e32 v3, s3, v1
	v_cmp_ne_u64_e32 vcc, 0, v[2:3]
                                        ; implicit-def: $vgpr6_vgpr7
	s_and_saveexec_b64 s[0:1], vcc
	s_xor_b64 s[36:37], exec, s[0:1]
	s_cbranch_execz .LBB39_5
; %bb.4:                                ;   in Loop: Header=BB39_3 Depth=1
	s_ashr_i32 s38, s3, 31
	s_add_u32 s0, s2, s38
	s_mov_b32 s39, s38
	s_addc_u32 s1, s3, s38
	s_xor_b64 s[40:41], s[0:1], s[38:39]
	v_cvt_f32_u32_e32 v3, s40
	v_cvt_f32_u32_e32 v4, s41
	s_sub_u32 s0, 0, s40
	s_subb_u32 s1, 0, s41
	v_mac_f32_e32 v3, 0x4f800000, v4
	v_rcp_f32_e32 v3, v3
	v_mul_f32_e32 v3, 0x5f7ffffc, v3
	v_mul_f32_e32 v4, 0x2f800000, v3
	v_trunc_f32_e32 v4, v4
	v_mac_f32_e32 v3, 0xcf800000, v4
	v_cvt_u32_f32_e32 v4, v4
	v_cvt_u32_f32_e32 v3, v3
	v_mul_lo_u32 v5, s0, v4
	v_mul_hi_u32 v7, s0, v3
	v_mul_lo_u32 v6, s1, v3
	v_add_u32_e32 v5, v7, v5
	v_mul_lo_u32 v8, s0, v3
	v_add_u32_e32 v5, v5, v6
	v_mul_lo_u32 v7, v3, v5
	v_mul_hi_u32 v9, v3, v8
	v_mul_hi_u32 v6, v3, v5
	v_add_co_u32_e32 v7, vcc, v9, v7
	v_addc_co_u32_e32 v6, vcc, 0, v6, vcc
	v_mul_hi_u32 v10, v4, v8
	v_mul_lo_u32 v8, v4, v8
	v_add_co_u32_e32 v7, vcc, v7, v8
	v_mul_hi_u32 v9, v4, v5
	v_addc_co_u32_e32 v6, vcc, v6, v10, vcc
	v_addc_co_u32_e32 v7, vcc, 0, v9, vcc
	v_mul_lo_u32 v5, v4, v5
	v_add_co_u32_e32 v5, vcc, v6, v5
	v_addc_co_u32_e32 v6, vcc, 0, v7, vcc
	v_add_co_u32_e32 v3, vcc, v3, v5
	v_addc_co_u32_e32 v4, vcc, v4, v6, vcc
	v_mul_lo_u32 v5, s0, v4
	v_mul_hi_u32 v6, s0, v3
	v_add_u32_e32 v5, v6, v5
	v_mul_lo_u32 v6, s1, v3
	v_add_u32_e32 v5, v5, v6
	v_mul_lo_u32 v7, s0, v3
	v_mul_hi_u32 v8, v4, v7
	v_mul_lo_u32 v9, v4, v7
	v_mul_lo_u32 v11, v3, v5
	v_mul_hi_u32 v7, v3, v7
	v_mul_hi_u32 v10, v3, v5
	v_add_co_u32_e32 v7, vcc, v7, v11
	v_addc_co_u32_e32 v10, vcc, 0, v10, vcc
	v_add_co_u32_e32 v7, vcc, v7, v9
	v_mul_hi_u32 v6, v4, v5
	v_addc_co_u32_e32 v7, vcc, v10, v8, vcc
	v_addc_co_u32_e32 v6, vcc, 0, v6, vcc
	v_mul_lo_u32 v5, v4, v5
	v_add_co_u32_e32 v5, vcc, v7, v5
	v_addc_co_u32_e32 v6, vcc, 0, v6, vcc
	v_add_co_u32_e32 v3, vcc, v3, v5
	v_addc_co_u32_e32 v6, vcc, v4, v6, vcc
	v_ashrrev_i32_e32 v8, 31, v1
	v_add_co_u32_e32 v4, vcc, v0, v8
	v_addc_co_u32_e32 v5, vcc, v1, v8, vcc
	v_xor_b32_e32 v10, v4, v8
	v_xor_b32_e32 v9, v5, v8
	v_mad_u64_u32 v[4:5], s[0:1], v10, v6, 0
	v_mul_hi_u32 v7, v10, v3
	v_add_co_u32_e32 v11, vcc, v7, v4
	v_addc_co_u32_e32 v12, vcc, 0, v5, vcc
	v_mad_u64_u32 v[4:5], s[0:1], v9, v6, 0
	v_mad_u64_u32 v[6:7], s[0:1], v9, v3, 0
	v_add_co_u32_e32 v3, vcc, v11, v6
	v_addc_co_u32_e32 v3, vcc, v12, v7, vcc
	v_addc_co_u32_e32 v5, vcc, 0, v5, vcc
	v_add_co_u32_e32 v3, vcc, v3, v4
	v_addc_co_u32_e32 v6, vcc, 0, v5, vcc
	v_mul_lo_u32 v7, s41, v3
	v_mul_lo_u32 v11, s40, v6
	v_mad_u64_u32 v[4:5], s[0:1], s40, v3, 0
	v_add3_u32 v5, v5, v11, v7
	v_sub_u32_e32 v7, v9, v5
	v_mov_b32_e32 v11, s41
	v_sub_co_u32_e32 v4, vcc, v10, v4
	v_subb_co_u32_e64 v7, s[0:1], v7, v11, vcc
	v_subrev_co_u32_e64 v10, s[0:1], s40, v4
	v_subbrev_co_u32_e64 v7, s[0:1], 0, v7, s[0:1]
	v_cmp_le_u32_e64 s[0:1], s41, v7
	v_cndmask_b32_e64 v11, 0, -1, s[0:1]
	v_cmp_le_u32_e64 s[0:1], s40, v10
	v_cndmask_b32_e64 v10, 0, -1, s[0:1]
	v_cmp_eq_u32_e64 s[0:1], s41, v7
	v_cndmask_b32_e64 v7, v11, v10, s[0:1]
	v_add_co_u32_e64 v10, s[0:1], 2, v3
	v_subb_co_u32_e32 v5, vcc, v9, v5, vcc
	v_addc_co_u32_e64 v11, s[0:1], 0, v6, s[0:1]
	v_cmp_le_u32_e32 vcc, s41, v5
	v_add_co_u32_e64 v12, s[0:1], 1, v3
	v_cndmask_b32_e64 v9, 0, -1, vcc
	v_cmp_le_u32_e32 vcc, s40, v4
	v_addc_co_u32_e64 v13, s[0:1], 0, v6, s[0:1]
	v_cndmask_b32_e64 v4, 0, -1, vcc
	v_cmp_eq_u32_e32 vcc, s41, v5
	v_cmp_ne_u32_e64 s[0:1], 0, v7
	v_cndmask_b32_e32 v4, v9, v4, vcc
	v_cmp_ne_u32_e32 vcc, 0, v4
	v_cndmask_b32_e64 v5, v12, v10, s[0:1]
	v_cndmask_b32_e64 v7, v13, v11, s[0:1]
	v_cndmask_b32_e32 v3, v3, v5, vcc
	v_xor_b32_e32 v5, s38, v8
	v_cndmask_b32_e32 v4, v6, v7, vcc
	v_xor_b32_e32 v3, v3, v5
	v_xor_b32_e32 v4, v4, v5
	v_sub_co_u32_e32 v6, vcc, v3, v5
	v_subb_co_u32_e32 v7, vcc, v4, v5, vcc
.LBB39_5:                               ;   in Loop: Header=BB39_3 Depth=1
	s_andn2_saveexec_b64 s[0:1], s[36:37]
	s_cbranch_execz .LBB39_7
; %bb.6:                                ;   in Loop: Header=BB39_3 Depth=1
	s_sub_i32 s36, 0, s2
	v_mul_lo_u32 v3, s36, v14
	v_mul_hi_u32 v3, v14, v3
	v_add_u32_e32 v3, v14, v3
	v_mul_hi_u32 v3, v0, v3
	v_mul_lo_u32 v4, v3, s2
	v_sub_u32_e32 v4, v0, v4
	v_subrev_u32_e32 v5, s2, v4
	v_cmp_le_u32_e32 vcc, s2, v4
	v_cndmask_b32_e32 v4, v4, v5, vcc
	v_add_u32_e32 v5, 1, v3
	v_cndmask_b32_e32 v3, v3, v5, vcc
	v_add_u32_e32 v5, 1, v3
	v_cmp_le_u32_e32 vcc, s2, v4
	v_cndmask_b32_e32 v6, v3, v5, vcc
	v_mov_b32_e32 v7, v2
.LBB39_7:                               ;   in Loop: Header=BB39_3 Depth=1
	s_or_b64 exec, exec, s[0:1]
	s_waitcnt lgkmcnt(0)
	v_or_b32_e32 v3, s13, v7
	v_cmp_ne_u64_e32 vcc, 0, v[2:3]
                                        ; implicit-def: $vgpr10_vgpr11
	s_and_saveexec_b64 s[0:1], vcc
	s_xor_b64 s[36:37], exec, s[0:1]
	s_cbranch_execz .LBB39_9
; %bb.8:                                ;   in Loop: Header=BB39_3 Depth=1
	s_ashr_i32 s38, s13, 31
	s_add_u32 s0, s12, s38
	s_mov_b32 s39, s38
	s_addc_u32 s1, s13, s38
	s_xor_b64 s[40:41], s[0:1], s[38:39]
	v_cvt_f32_u32_e32 v3, s40
	v_cvt_f32_u32_e32 v4, s41
	s_sub_u32 s0, 0, s40
	s_subb_u32 s1, 0, s41
	v_mac_f32_e32 v3, 0x4f800000, v4
	v_rcp_f32_e32 v3, v3
	v_mul_f32_e32 v3, 0x5f7ffffc, v3
	v_mul_f32_e32 v4, 0x2f800000, v3
	v_trunc_f32_e32 v4, v4
	v_mac_f32_e32 v3, 0xcf800000, v4
	v_cvt_u32_f32_e32 v4, v4
	v_cvt_u32_f32_e32 v3, v3
	v_mul_lo_u32 v5, s0, v4
	v_mul_hi_u32 v9, s0, v3
	v_mul_lo_u32 v8, s1, v3
	v_add_u32_e32 v5, v9, v5
	v_mul_lo_u32 v10, s0, v3
	v_add_u32_e32 v5, v5, v8
	v_mul_lo_u32 v9, v3, v5
	v_mul_hi_u32 v11, v3, v10
	v_mul_hi_u32 v8, v3, v5
	v_add_co_u32_e32 v9, vcc, v11, v9
	v_addc_co_u32_e32 v8, vcc, 0, v8, vcc
	v_mul_hi_u32 v12, v4, v10
	v_mul_lo_u32 v10, v4, v10
	v_add_co_u32_e32 v9, vcc, v9, v10
	v_mul_hi_u32 v11, v4, v5
	v_addc_co_u32_e32 v8, vcc, v8, v12, vcc
	v_addc_co_u32_e32 v9, vcc, 0, v11, vcc
	v_mul_lo_u32 v5, v4, v5
	v_add_co_u32_e32 v5, vcc, v8, v5
	v_addc_co_u32_e32 v8, vcc, 0, v9, vcc
	v_add_co_u32_e32 v3, vcc, v3, v5
	v_addc_co_u32_e32 v4, vcc, v4, v8, vcc
	v_mul_lo_u32 v5, s0, v4
	v_mul_hi_u32 v8, s0, v3
	v_add_u32_e32 v5, v8, v5
	v_mul_lo_u32 v8, s1, v3
	v_add_u32_e32 v5, v5, v8
	v_mul_lo_u32 v9, s0, v3
	v_mul_hi_u32 v10, v4, v9
	v_mul_lo_u32 v11, v4, v9
	v_mul_lo_u32 v13, v3, v5
	v_mul_hi_u32 v9, v3, v9
	v_mul_hi_u32 v12, v3, v5
	v_add_co_u32_e32 v9, vcc, v9, v13
	v_addc_co_u32_e32 v12, vcc, 0, v12, vcc
	v_add_co_u32_e32 v9, vcc, v9, v11
	v_mul_hi_u32 v8, v4, v5
	v_addc_co_u32_e32 v9, vcc, v12, v10, vcc
	v_addc_co_u32_e32 v8, vcc, 0, v8, vcc
	v_mul_lo_u32 v5, v4, v5
	v_add_co_u32_e32 v5, vcc, v9, v5
	v_addc_co_u32_e32 v8, vcc, 0, v8, vcc
	v_add_co_u32_e32 v3, vcc, v3, v5
	v_addc_co_u32_e32 v8, vcc, v4, v8, vcc
	v_ashrrev_i32_e32 v10, 31, v7
	v_add_co_u32_e32 v4, vcc, v6, v10
	v_addc_co_u32_e32 v5, vcc, v7, v10, vcc
	v_xor_b32_e32 v12, v4, v10
	v_xor_b32_e32 v11, v5, v10
	v_mad_u64_u32 v[4:5], s[0:1], v12, v8, 0
	v_mul_hi_u32 v9, v12, v3
	v_add_co_u32_e32 v13, vcc, v9, v4
	v_addc_co_u32_e32 v15, vcc, 0, v5, vcc
	v_mad_u64_u32 v[4:5], s[0:1], v11, v8, 0
	v_mad_u64_u32 v[8:9], s[0:1], v11, v3, 0
	v_add_co_u32_e32 v3, vcc, v13, v8
	v_addc_co_u32_e32 v3, vcc, v15, v9, vcc
	v_addc_co_u32_e32 v5, vcc, 0, v5, vcc
	v_add_co_u32_e32 v3, vcc, v3, v4
	v_addc_co_u32_e32 v8, vcc, 0, v5, vcc
	v_mul_lo_u32 v9, s41, v3
	v_mul_lo_u32 v13, s40, v8
	v_mad_u64_u32 v[4:5], s[0:1], s40, v3, 0
	v_add3_u32 v5, v5, v13, v9
	v_sub_u32_e32 v9, v11, v5
	v_mov_b32_e32 v13, s41
	v_sub_co_u32_e32 v4, vcc, v12, v4
	v_subb_co_u32_e64 v9, s[0:1], v9, v13, vcc
	v_subrev_co_u32_e64 v12, s[0:1], s40, v4
	v_subbrev_co_u32_e64 v9, s[0:1], 0, v9, s[0:1]
	v_cmp_le_u32_e64 s[0:1], s41, v9
	v_cndmask_b32_e64 v13, 0, -1, s[0:1]
	v_cmp_le_u32_e64 s[0:1], s40, v12
	v_cndmask_b32_e64 v12, 0, -1, s[0:1]
	v_cmp_eq_u32_e64 s[0:1], s41, v9
	v_cndmask_b32_e64 v9, v13, v12, s[0:1]
	v_add_co_u32_e64 v12, s[0:1], 2, v3
	v_subb_co_u32_e32 v5, vcc, v11, v5, vcc
	v_addc_co_u32_e64 v13, s[0:1], 0, v8, s[0:1]
	v_cmp_le_u32_e32 vcc, s41, v5
	v_add_co_u32_e64 v15, s[0:1], 1, v3
	v_cndmask_b32_e64 v11, 0, -1, vcc
	v_cmp_le_u32_e32 vcc, s40, v4
	v_addc_co_u32_e64 v16, s[0:1], 0, v8, s[0:1]
	v_cndmask_b32_e64 v4, 0, -1, vcc
	v_cmp_eq_u32_e32 vcc, s41, v5
	v_cmp_ne_u32_e64 s[0:1], 0, v9
	v_cndmask_b32_e32 v4, v11, v4, vcc
	v_cmp_ne_u32_e32 vcc, 0, v4
	v_cndmask_b32_e64 v5, v15, v12, s[0:1]
	v_cndmask_b32_e64 v9, v16, v13, s[0:1]
	v_cndmask_b32_e32 v3, v3, v5, vcc
	v_xor_b32_e32 v5, s38, v10
	v_cndmask_b32_e32 v4, v8, v9, vcc
	v_xor_b32_e32 v3, v3, v5
	v_xor_b32_e32 v4, v4, v5
	v_sub_co_u32_e32 v10, vcc, v3, v5
	v_subb_co_u32_e32 v11, vcc, v4, v5, vcc
.LBB39_9:                               ;   in Loop: Header=BB39_3 Depth=1
	s_andn2_saveexec_b64 s[0:1], s[36:37]
	s_cbranch_execz .LBB39_11
; %bb.10:                               ;   in Loop: Header=BB39_3 Depth=1
	v_cvt_f32_u32_e32 v3, s12
	s_sub_i32 s36, 0, s12
	v_mov_b32_e32 v11, v2
	v_rcp_iflag_f32_e32 v3, v3
	v_mul_f32_e32 v3, 0x4f7ffffe, v3
	v_cvt_u32_f32_e32 v3, v3
	v_mul_lo_u32 v4, s36, v3
	v_mul_hi_u32 v4, v3, v4
	v_add_u32_e32 v3, v3, v4
	v_mul_hi_u32 v3, v6, v3
	v_mul_lo_u32 v4, v3, s12
	v_sub_u32_e32 v4, v6, v4
	v_add_u32_e32 v5, 1, v3
	v_subrev_u32_e32 v8, s12, v4
	v_cmp_le_u32_e32 vcc, s12, v4
	v_cndmask_b32_e32 v4, v4, v8, vcc
	v_cndmask_b32_e32 v3, v3, v5, vcc
	v_add_u32_e32 v5, 1, v3
	v_cmp_le_u32_e32 vcc, s12, v4
	v_cndmask_b32_e32 v10, v3, v5, vcc
.LBB39_11:                              ;   in Loop: Header=BB39_3 Depth=1
	s_or_b64 exec, exec, s[0:1]
	v_mul_lo_u32 v3, v7, s2
	v_mul_lo_u32 v8, v6, s3
	v_mad_u64_u32 v[4:5], s[0:1], v6, s2, 0
	v_add3_u32 v3, v5, v8, v3
	v_sub_co_u32_e32 v4, vcc, v0, v4
	v_subb_co_u32_e32 v5, vcc, v1, v3, vcc
	v_mul_lo_u32 v3, v11, s12
	v_mul_lo_u32 v12, v10, s13
	v_mad_u64_u32 v[8:9], s[0:1], v10, s12, 0
	v_add3_u32 v3, v9, v12, v3
	v_sub_co_u32_e32 v15, vcc, v6, v8
	v_subb_co_u32_e32 v16, vcc, v7, v3, vcc
	v_mul_lo_u32 v3, s19, v4
	v_mul_lo_u32 v8, s18, v5
	v_mad_u64_u32 v[6:7], s[0:1], s18, v4, 0
	v_add3_u32 v7, v7, v8, v3
	v_mul_lo_u32 v3, s23, v4
	v_mul_lo_u32 v8, s22, v5
	v_mad_u64_u32 v[12:13], s[0:1], s22, v4, 0
	v_add3_u32 v13, v13, v8, v3
	v_mad_u64_u32 v[8:9], s[0:1], s16, v15, v[6:7]
	v_mul_lo_u32 v3, s16, v16
	v_mul_lo_u32 v6, s17, v15
	v_add3_u32 v9, v6, v9, v3
	v_mad_u64_u32 v[6:7], s[0:1], s20, v15, v[12:13]
	v_mul_lo_u32 v3, s20, v16
	v_mul_lo_u32 v12, s21, v15
	v_add3_u32 v7, v12, v7, v3
	s_and_b64 vcc, exec, s[24:25]
	s_mov_b64 s[36:37], s[30:31]
	s_mov_b64 s[38:39], s[28:29]
	;; [unrolled: 1-line block ×3, first 2 shown]
	s_cbranch_vccnz .LBB39_22
.LBB39_12:                              ;   in Loop: Header=BB39_3 Depth=1
	v_sub_co_u32_e32 v10, vcc, v4, v15
	v_subb_co_u32_e32 v11, vcc, v5, v16, vcc
	v_cmp_ge_i64_e32 vcc, s[8:9], v[10:11]
	v_mov_b32_e32 v13, 0
	v_mov_b32_e32 v15, 0
	;; [unrolled: 1-line block ×4, first 2 shown]
	s_and_saveexec_b64 s[0:1], vcc
	s_cbranch_execz .LBB39_18
; %bb.13:                               ;   in Loop: Header=BB39_3 Depth=1
	v_cmp_gt_i64_e32 vcc, s[14:15], v[4:5]
	v_mov_b32_e32 v12, 0
	v_mov_b32_e32 v3, 0
	;; [unrolled: 1-line block ×4, first 2 shown]
	s_and_saveexec_b64 s[36:37], vcc
	s_cbranch_execz .LBB39_17
; %bb.14:                               ;   in Loop: Header=BB39_3 Depth=1
	v_lshlrev_b64 v[8:9], 2, v[8:9]
	v_mov_b32_e32 v3, s7
	v_add_co_u32_e32 v8, vcc, s6, v8
	v_addc_co_u32_e32 v9, vcc, v3, v9, vcc
	global_load_dword v3, v[8:9], off
	v_add_co_u32_e32 v12, vcc, 1, v4
	v_addc_co_u32_e32 v13, vcc, 0, v5, vcc
	v_cmp_gt_i64_e32 vcc, s[14:15], v[12:13]
	v_mov_b32_e32 v13, 0
	v_mov_b32_e32 v15, 0
	s_and_saveexec_b64 s[38:39], vcc
	s_cbranch_execz .LBB39_16
; %bb.15:                               ;   in Loop: Header=BB39_3 Depth=1
	s_lshl_b64 s[40:41], s[18:19], 2
	v_mov_b32_e32 v12, s41
	v_add_co_u32_e32 v8, vcc, s40, v8
	v_addc_co_u32_e32 v9, vcc, v9, v12, vcc
	global_load_dword v13, v[8:9], off
	s_waitcnt vmcnt(0)
	v_and_b32_e32 v15, 0xffff0000, v13
.LBB39_16:                              ;   in Loop: Header=BB39_3 Depth=1
	s_or_b64 exec, exec, s[38:39]
	s_waitcnt vmcnt(0)
	v_lshrrev_b32_e32 v12, 16, v3
.LBB39_17:                              ;   in Loop: Header=BB39_3 Depth=1
	s_or_b64 exec, exec, s[36:37]
	v_add_co_u32_e32 v8, vcc, 1, v10
	v_addc_co_u32_e32 v9, vcc, 0, v11, vcc
	v_cmp_lt_i64_e32 vcc, s[8:9], v[8:9]
	v_cndmask_b32_e64 v13, v13, 0, vcc
	v_cndmask_b32_e64 v15, v15, 0, vcc
.LBB39_18:                              ;   in Loop: Header=BB39_3 Depth=1
	s_or_b64 exec, exec, s[0:1]
	v_cmp_gt_i64_e32 vcc, s[14:15], v[4:5]
	s_and_saveexec_b64 s[0:1], vcc
	s_cbranch_execz .LBB39_2
; %bb.19:                               ;   in Loop: Header=BB39_3 Depth=1
	v_lshlrev_b64 v[6:7], 2, v[6:7]
	v_mov_b32_e32 v8, s5
	v_add_co_u32_e32 v6, vcc, s4, v6
	v_addc_co_u32_e32 v7, vcc, v8, v7, vcc
	v_add_co_u32_e32 v4, vcc, 1, v4
	v_and_b32_e32 v3, 0xffff, v3
	v_addc_co_u32_e32 v5, vcc, 0, v5, vcc
	v_lshl_or_b32 v3, v12, 16, v3
	v_cmp_gt_i64_e32 vcc, s[14:15], v[4:5]
	global_store_dword v[6:7], v3, off
	s_and_saveexec_b64 s[36:37], vcc
	s_xor_b64 s[36:37], exec, s[36:37]
	s_cbranch_execz .LBB39_2
; %bb.20:                               ;   in Loop: Header=BB39_3 Depth=1
	s_lshl_b64 s[36:37], s[22:23], 2
	v_mov_b32_e32 v3, s37
	v_add_co_u32_e32 v4, vcc, s36, v6
	v_addc_co_u32_e32 v5, vcc, v7, v3, vcc
	v_bfi_b32 v3, s51, v15, v13
	global_store_dword v[4:5], v3, off
	s_branch .LBB39_2
.LBB39_21:                              ;   in Loop: Header=BB39_22 Depth=2
	s_or_b64 exec, exec, s[0:1]
	v_mad_u64_u32 v[18:19], s[0:1], v12, s42, 0
	v_mul_lo_u32 v3, v13, s42
	v_mul_lo_u32 v17, v12, s43
	s_load_dwordx2 s[0:1], s[38:39], 0xc8
	s_load_dwordx2 s[42:43], s[40:41], 0x0
	s_add_u32 s40, s40, -8
	s_addc_u32 s41, s41, -1
	s_add_u32 s38, s38, -8
	v_add3_u32 v3, v19, v17, v3
	v_sub_co_u32_e32 v10, vcc, v10, v18
	s_addc_u32 s39, s39, -1
	v_subb_co_u32_e32 v3, vcc, v11, v3, vcc
	s_add_u32 s36, s36, -1
	s_waitcnt lgkmcnt(0)
	v_mul_lo_u32 v11, s0, v3
	v_mul_lo_u32 v17, s1, v10
	v_mad_u64_u32 v[8:9], s[0:1], s0, v10, v[8:9]
	v_mad_u64_u32 v[6:7], s[0:1], s42, v10, v[6:7]
	s_addc_u32 s37, s37, -1
	v_add3_u32 v9, v17, v9, v11
	v_mul_lo_u32 v3, s42, v3
	v_mul_lo_u32 v11, s43, v10
	v_cmp_lt_i64_e64 s[0:1], s[36:37], 1
	v_add3_u32 v7, v11, v7, v3
	s_and_b64 vcc, exec, s[0:1]
	v_pk_mov_b32 v[10:11], v[12:13], v[12:13] op_sel:[0,1]
	s_cbranch_vccnz .LBB39_12
.LBB39_22:                              ;   Parent Loop BB39_3 Depth=1
                                        ; =>  This Inner Loop Header: Depth=2
	s_load_dwordx2 s[42:43], s[38:39], 0x0
                                        ; implicit-def: $vgpr12_vgpr13
	s_waitcnt lgkmcnt(0)
	v_or_b32_e32 v3, s43, v11
	v_cmp_ne_u64_e32 vcc, 0, v[2:3]
	s_and_saveexec_b64 s[0:1], vcc
	s_xor_b64 s[44:45], exec, s[0:1]
	s_cbranch_execz .LBB39_24
; %bb.23:                               ;   in Loop: Header=BB39_22 Depth=2
	s_ashr_i32 s46, s43, 31
	s_add_u32 s0, s42, s46
	s_mov_b32 s47, s46
	s_addc_u32 s1, s43, s46
	s_xor_b64 s[48:49], s[0:1], s[46:47]
	v_cvt_f32_u32_e32 v3, s48
	v_cvt_f32_u32_e32 v12, s49
	s_sub_u32 s0, 0, s48
	s_subb_u32 s1, 0, s49
	v_mac_f32_e32 v3, 0x4f800000, v12
	v_rcp_f32_e32 v3, v3
	v_mul_f32_e32 v3, 0x5f7ffffc, v3
	v_mul_f32_e32 v12, 0x2f800000, v3
	v_trunc_f32_e32 v12, v12
	v_mac_f32_e32 v3, 0xcf800000, v12
	v_cvt_u32_f32_e32 v12, v12
	v_cvt_u32_f32_e32 v3, v3
	v_mul_lo_u32 v13, s0, v12
	v_mul_hi_u32 v18, s0, v3
	v_mul_lo_u32 v17, s1, v3
	v_add_u32_e32 v13, v18, v13
	v_mul_lo_u32 v19, s0, v3
	v_add_u32_e32 v13, v13, v17
	v_mul_lo_u32 v18, v3, v13
	v_mul_hi_u32 v20, v3, v19
	v_mul_hi_u32 v17, v3, v13
	v_add_co_u32_e32 v18, vcc, v20, v18
	v_addc_co_u32_e32 v17, vcc, 0, v17, vcc
	v_mul_hi_u32 v21, v12, v19
	v_mul_lo_u32 v19, v12, v19
	v_add_co_u32_e32 v18, vcc, v18, v19
	v_mul_hi_u32 v20, v12, v13
	v_addc_co_u32_e32 v17, vcc, v17, v21, vcc
	v_addc_co_u32_e32 v18, vcc, 0, v20, vcc
	v_mul_lo_u32 v13, v12, v13
	v_add_co_u32_e32 v13, vcc, v17, v13
	v_addc_co_u32_e32 v17, vcc, 0, v18, vcc
	v_add_co_u32_e32 v3, vcc, v3, v13
	v_addc_co_u32_e32 v12, vcc, v12, v17, vcc
	v_mul_lo_u32 v13, s0, v12
	v_mul_hi_u32 v17, s0, v3
	v_add_u32_e32 v13, v17, v13
	v_mul_lo_u32 v17, s1, v3
	v_add_u32_e32 v13, v13, v17
	v_mul_lo_u32 v18, s0, v3
	v_mul_hi_u32 v19, v12, v18
	v_mul_lo_u32 v20, v12, v18
	v_mul_lo_u32 v22, v3, v13
	v_mul_hi_u32 v18, v3, v18
	v_mul_hi_u32 v21, v3, v13
	v_add_co_u32_e32 v18, vcc, v18, v22
	v_addc_co_u32_e32 v21, vcc, 0, v21, vcc
	v_add_co_u32_e32 v18, vcc, v18, v20
	v_mul_hi_u32 v17, v12, v13
	v_addc_co_u32_e32 v18, vcc, v21, v19, vcc
	v_addc_co_u32_e32 v17, vcc, 0, v17, vcc
	v_mul_lo_u32 v13, v12, v13
	v_add_co_u32_e32 v13, vcc, v18, v13
	v_addc_co_u32_e32 v17, vcc, 0, v17, vcc
	v_add_co_u32_e32 v3, vcc, v3, v13
	v_addc_co_u32_e32 v17, vcc, v12, v17, vcc
	v_ashrrev_i32_e32 v20, 31, v11
	v_add_co_u32_e32 v12, vcc, v10, v20
	v_addc_co_u32_e32 v13, vcc, v11, v20, vcc
	v_xor_b32_e32 v22, v12, v20
	v_xor_b32_e32 v21, v13, v20
	v_mad_u64_u32 v[12:13], s[0:1], v22, v17, 0
	v_mul_hi_u32 v18, v22, v3
	v_add_co_u32_e32 v23, vcc, v18, v12
	v_addc_co_u32_e32 v24, vcc, 0, v13, vcc
	v_mad_u64_u32 v[18:19], s[0:1], v21, v3, 0
	v_add_co_u32_e32 v3, vcc, v23, v18
	v_mad_u64_u32 v[12:13], s[0:1], v21, v17, 0
	v_addc_co_u32_e32 v3, vcc, v24, v19, vcc
	v_addc_co_u32_e32 v13, vcc, 0, v13, vcc
	v_add_co_u32_e32 v3, vcc, v3, v12
	v_addc_co_u32_e32 v17, vcc, 0, v13, vcc
	v_mul_lo_u32 v18, s49, v3
	v_mul_lo_u32 v19, s48, v17
	v_mad_u64_u32 v[12:13], s[0:1], s48, v3, 0
	v_add3_u32 v13, v13, v19, v18
	v_sub_u32_e32 v18, v21, v13
	v_mov_b32_e32 v19, s49
	v_sub_co_u32_e32 v12, vcc, v22, v12
	v_subb_co_u32_e64 v18, s[0:1], v18, v19, vcc
	v_subrev_co_u32_e64 v19, s[0:1], s48, v12
	v_subbrev_co_u32_e64 v18, s[0:1], 0, v18, s[0:1]
	v_cmp_le_u32_e64 s[0:1], s49, v18
	v_cndmask_b32_e64 v22, 0, -1, s[0:1]
	v_cmp_le_u32_e64 s[0:1], s48, v19
	v_cndmask_b32_e64 v19, 0, -1, s[0:1]
	v_cmp_eq_u32_e64 s[0:1], s49, v18
	v_cndmask_b32_e64 v18, v22, v19, s[0:1]
	v_add_co_u32_e64 v19, s[0:1], 2, v3
	v_subb_co_u32_e32 v13, vcc, v21, v13, vcc
	v_addc_co_u32_e64 v22, s[0:1], 0, v17, s[0:1]
	v_cmp_le_u32_e32 vcc, s49, v13
	v_add_co_u32_e64 v23, s[0:1], 1, v3
	v_cndmask_b32_e64 v21, 0, -1, vcc
	v_cmp_le_u32_e32 vcc, s48, v12
	v_addc_co_u32_e64 v24, s[0:1], 0, v17, s[0:1]
	v_cndmask_b32_e64 v12, 0, -1, vcc
	v_cmp_eq_u32_e32 vcc, s49, v13
	v_cmp_ne_u32_e64 s[0:1], 0, v18
	v_cndmask_b32_e32 v12, v21, v12, vcc
	v_cmp_ne_u32_e32 vcc, 0, v12
	v_cndmask_b32_e64 v13, v23, v19, s[0:1]
	v_cndmask_b32_e64 v18, v24, v22, s[0:1]
	v_cndmask_b32_e32 v3, v3, v13, vcc
	v_xor_b32_e32 v13, s46, v20
	v_cndmask_b32_e32 v12, v17, v18, vcc
	v_xor_b32_e32 v3, v3, v13
	v_xor_b32_e32 v17, v12, v13
	v_sub_co_u32_e32 v12, vcc, v3, v13
	v_subb_co_u32_e32 v13, vcc, v17, v13, vcc
.LBB39_24:                              ;   in Loop: Header=BB39_22 Depth=2
	s_andn2_saveexec_b64 s[0:1], s[44:45]
	s_cbranch_execz .LBB39_21
; %bb.25:                               ;   in Loop: Header=BB39_22 Depth=2
	v_cvt_f32_u32_e32 v3, s42
	s_sub_i32 s44, 0, s42
	v_rcp_iflag_f32_e32 v3, v3
	v_mul_f32_e32 v3, 0x4f7ffffe, v3
	v_cvt_u32_f32_e32 v3, v3
	v_mul_lo_u32 v12, s44, v3
	v_mul_hi_u32 v12, v3, v12
	v_add_u32_e32 v3, v3, v12
	v_mul_hi_u32 v3, v10, v3
	v_mul_lo_u32 v12, v3, s42
	v_sub_u32_e32 v12, v10, v12
	v_add_u32_e32 v13, 1, v3
	v_subrev_u32_e32 v17, s42, v12
	v_cmp_le_u32_e32 vcc, s42, v12
	v_cndmask_b32_e32 v12, v12, v17, vcc
	v_cndmask_b32_e32 v3, v3, v13, vcc
	v_add_u32_e32 v13, 1, v3
	v_cmp_le_u32_e32 vcc, s42, v12
	v_cndmask_b32_e32 v12, v3, v13, vcc
	v_mov_b32_e32 v13, v2
	s_branch .LBB39_21
.LBB39_26:
	s_endpgm
	.section	.rodata,"a",@progbits
	.p2align	6, 0x0
	.amdhsa_kernel _ZN2at6native16triu_tril_kernelIN3c107complexINS2_4HalfEEElLb0ELi2ELb0EEEvNS_4cuda6detail10TensorInfoIT_T0_EENS8_IKS9_SA_EEllSA_
		.amdhsa_group_segment_fixed_size 0
		.amdhsa_private_segment_fixed_size 0
		.amdhsa_kernarg_size 1112
		.amdhsa_user_sgpr_count 6
		.amdhsa_user_sgpr_private_segment_buffer 1
		.amdhsa_user_sgpr_dispatch_ptr 0
		.amdhsa_user_sgpr_queue_ptr 0
		.amdhsa_user_sgpr_kernarg_segment_ptr 1
		.amdhsa_user_sgpr_dispatch_id 0
		.amdhsa_user_sgpr_flat_scratch_init 0
		.amdhsa_user_sgpr_kernarg_preload_length 0
		.amdhsa_user_sgpr_kernarg_preload_offset 0
		.amdhsa_user_sgpr_private_segment_size 0
		.amdhsa_uses_dynamic_stack 0
		.amdhsa_system_sgpr_private_segment_wavefront_offset 0
		.amdhsa_system_sgpr_workgroup_id_x 1
		.amdhsa_system_sgpr_workgroup_id_y 0
		.amdhsa_system_sgpr_workgroup_id_z 0
		.amdhsa_system_sgpr_workgroup_info 0
		.amdhsa_system_vgpr_workitem_id 0
		.amdhsa_next_free_vgpr 25
		.amdhsa_next_free_sgpr 52
		.amdhsa_accum_offset 28
		.amdhsa_reserve_vcc 1
		.amdhsa_reserve_flat_scratch 0
		.amdhsa_float_round_mode_32 0
		.amdhsa_float_round_mode_16_64 0
		.amdhsa_float_denorm_mode_32 3
		.amdhsa_float_denorm_mode_16_64 3
		.amdhsa_dx10_clamp 1
		.amdhsa_ieee_mode 1
		.amdhsa_fp16_overflow 0
		.amdhsa_tg_split 0
		.amdhsa_exception_fp_ieee_invalid_op 0
		.amdhsa_exception_fp_denorm_src 0
		.amdhsa_exception_fp_ieee_div_zero 0
		.amdhsa_exception_fp_ieee_overflow 0
		.amdhsa_exception_fp_ieee_underflow 0
		.amdhsa_exception_fp_ieee_inexact 0
		.amdhsa_exception_int_div_zero 0
	.end_amdhsa_kernel
	.section	.text._ZN2at6native16triu_tril_kernelIN3c107complexINS2_4HalfEEElLb0ELi2ELb0EEEvNS_4cuda6detail10TensorInfoIT_T0_EENS8_IKS9_SA_EEllSA_,"axG",@progbits,_ZN2at6native16triu_tril_kernelIN3c107complexINS2_4HalfEEElLb0ELi2ELb0EEEvNS_4cuda6detail10TensorInfoIT_T0_EENS8_IKS9_SA_EEllSA_,comdat
.Lfunc_end39:
	.size	_ZN2at6native16triu_tril_kernelIN3c107complexINS2_4HalfEEElLb0ELi2ELb0EEEvNS_4cuda6detail10TensorInfoIT_T0_EENS8_IKS9_SA_EEllSA_, .Lfunc_end39-_ZN2at6native16triu_tril_kernelIN3c107complexINS2_4HalfEEElLb0ELi2ELb0EEEvNS_4cuda6detail10TensorInfoIT_T0_EENS8_IKS9_SA_EEllSA_
                                        ; -- End function
	.section	.AMDGPU.csdata,"",@progbits
; Kernel info:
; codeLenInByte = 3472
; NumSgprs: 56
; NumVgprs: 25
; NumAgprs: 0
; TotalNumVgprs: 25
; ScratchSize: 0
; MemoryBound: 0
; FloatMode: 240
; IeeeMode: 1
; LDSByteSize: 0 bytes/workgroup (compile time only)
; SGPRBlocks: 6
; VGPRBlocks: 3
; NumSGPRsForWavesPerEU: 56
; NumVGPRsForWavesPerEU: 25
; AccumOffset: 28
; Occupancy: 8
; WaveLimiterHint : 0
; COMPUTE_PGM_RSRC2:SCRATCH_EN: 0
; COMPUTE_PGM_RSRC2:USER_SGPR: 6
; COMPUTE_PGM_RSRC2:TRAP_HANDLER: 0
; COMPUTE_PGM_RSRC2:TGID_X_EN: 1
; COMPUTE_PGM_RSRC2:TGID_Y_EN: 0
; COMPUTE_PGM_RSRC2:TGID_Z_EN: 0
; COMPUTE_PGM_RSRC2:TIDIG_COMP_CNT: 0
; COMPUTE_PGM_RSRC3_GFX90A:ACCUM_OFFSET: 6
; COMPUTE_PGM_RSRC3_GFX90A:TG_SPLIT: 0
	.section	.text._ZN2at6native16triu_tril_kernelIN3c104HalfEiLb0ELi4ELb1EEEvNS_4cuda6detail10TensorInfoIT_T0_EENS6_IKS7_S8_EEllS8_,"axG",@progbits,_ZN2at6native16triu_tril_kernelIN3c104HalfEiLb0ELi4ELb1EEEvNS_4cuda6detail10TensorInfoIT_T0_EENS6_IKS7_S8_EEllS8_,comdat
	.protected	_ZN2at6native16triu_tril_kernelIN3c104HalfEiLb0ELi4ELb1EEEvNS_4cuda6detail10TensorInfoIT_T0_EENS6_IKS7_S8_EEllS8_ ; -- Begin function _ZN2at6native16triu_tril_kernelIN3c104HalfEiLb0ELi4ELb1EEEvNS_4cuda6detail10TensorInfoIT_T0_EENS6_IKS7_S8_EEllS8_
	.globl	_ZN2at6native16triu_tril_kernelIN3c104HalfEiLb0ELi4ELb1EEEvNS_4cuda6detail10TensorInfoIT_T0_EENS6_IKS7_S8_EEllS8_
	.p2align	8
	.type	_ZN2at6native16triu_tril_kernelIN3c104HalfEiLb0ELi4ELb1EEEvNS_4cuda6detail10TensorInfoIT_T0_EENS6_IKS7_S8_EEllS8_,@function
_ZN2at6native16triu_tril_kernelIN3c104HalfEiLb0ELi4ELb1EEEvNS_4cuda6detail10TensorInfoIT_T0_EENS6_IKS7_S8_EEllS8_: ; @_ZN2at6native16triu_tril_kernelIN3c104HalfEiLb0ELi4ELb1EEEvNS_4cuda6detail10TensorInfoIT_T0_EENS6_IKS7_S8_EEllS8_
; %bb.0:
	s_load_dword s2, s[4:5], 0x1d4
	s_load_dwordx4 s[8:11], s[4:5], 0x1b0
	s_add_u32 s0, s4, 0x1c8
	v_mov_b32_e32 v2, 0
	s_addc_u32 s1, s5, 0
	s_waitcnt lgkmcnt(0)
	s_and_b32 s7, s2, 0xffff
	v_mov_b32_e32 v1, v2
	v_mov_b32_e32 v3, s6
	v_mad_u64_u32 v[0:1], s[2:3], s7, v3, v[0:1]
	v_lshlrev_b64 v[0:1], 2, v[0:1]
	v_cmp_gt_i64_e32 vcc, s[10:11], v[0:1]
	s_and_saveexec_b64 s[2:3], vcc
	s_cbranch_execz .LBB40_69
; %bb.1:
	s_load_dword s33, s[4:5], 0x1c0
	s_load_dword s14, s[4:5], 0x1a8
	;; [unrolled: 1-line block ×3, first 2 shown]
	s_load_dwordx2 s[2:3], s[4:5], 0x0
	s_mov_b64 s[22:23], 0
	s_waitcnt lgkmcnt(0)
	s_ashr_i32 s38, s33, 31
	s_ashr_i32 s15, s14, 31
	s_add_u32 s39, s4, 0xe0
	s_addc_u32 s40, s5, 0
	s_add_i32 s0, s14, -2
	s_ashr_i32 s1, s0, 31
	s_lshl_b64 s[12:13], s[0:1], 2
	s_add_u32 s16, s39, s12
	s_addc_u32 s17, s40, s13
	s_load_dword s41, s[16:17], 0x0
	s_lshl_b64 s[16:17], s[14:15], 2
	s_mul_i32 s1, s6, s7
	v_cmp_gt_i64_e64 s[6:7], s[14:15], 2
	v_cvt_f32_u32_e32 v3, s33
	s_waitcnt lgkmcnt(0)
	s_ashr_i32 s42, s41, 31
	s_add_u32 s15, s16, -4
	s_addc_u32 s16, s17, -1
	s_add_u32 s43, s4, 0x6c
	s_addc_u32 s44, s5, 0
	s_add_u32 s4, s43, s15
	v_rcp_iflag_f32_e32 v3, v3
	s_addc_u32 s5, s44, s16
	s_add_u32 s12, s43, s12
	s_addc_u32 s13, s44, s13
	s_add_i32 s45, s14, -3
	s_add_u32 s14, s39, s15
	v_mul_f32_e32 v3, 0x4f7ffffe, v3
	s_addc_u32 s15, s40, s16
	s_lshl_b32 s46, s1, 2
	s_and_b32 s48, s0, 7
	v_cvt_u32_f32_e32 v26, v3
	s_cmp_lg_u32 s48, 0
	s_mov_b32 s17, 0
	s_cselect_b64 s[18:19], -1, 0
	s_cmp_gt_u32 s45, 6
	s_mov_b32 s47, s17
	s_cselect_b64 s[20:21], -1, 0
	s_branch .LBB40_3
.LBB40_2:                               ;   in Loop: Header=BB40_3 Depth=1
	s_or_b64 exec, exec, s[24:25]
	v_mov_b32_e32 v3, s47
	v_add_co_u32_e32 v0, vcc, s46, v0
	v_addc_co_u32_e32 v1, vcc, v1, v3, vcc
	v_cmp_le_i64_e32 vcc, s[10:11], v[0:1]
	s_or_b64 s[22:23], vcc, s[22:23]
	s_andn2_b64 exec, exec, s[22:23]
	s_cbranch_execz .LBB40_69
.LBB40_3:                               ; =>This Loop Header: Depth=1
                                        ;     Child Loop BB40_16 Depth 2
                                        ;     Child Loop BB40_23 Depth 2
	v_or_b32_e32 v3, s38, v1
	v_cmp_ne_u64_e32 vcc, 0, v[2:3]
                                        ; implicit-def: $vgpr4_vgpr5
	s_and_saveexec_b64 s[0:1], vcc
	s_xor_b64 s[24:25], exec, s[0:1]
	s_cbranch_execz .LBB40_5
; %bb.4:                                ;   in Loop: Header=BB40_3 Depth=1
	s_add_u32 s0, s33, s38
	s_mov_b32 s26, s38
	s_mov_b32 s27, s38
	s_addc_u32 s1, s38, s38
	s_xor_b64 s[28:29], s[0:1], s[26:27]
	v_cvt_f32_u32_e32 v3, s28
	v_cvt_f32_u32_e32 v4, s29
	s_sub_u32 s0, 0, s28
	s_subb_u32 s1, 0, s29
	v_mac_f32_e32 v3, 0x4f800000, v4
	v_rcp_f32_e32 v3, v3
	v_mul_f32_e32 v3, 0x5f7ffffc, v3
	v_mul_f32_e32 v4, 0x2f800000, v3
	v_trunc_f32_e32 v4, v4
	v_mac_f32_e32 v3, 0xcf800000, v4
	v_cvt_u32_f32_e32 v4, v4
	v_cvt_u32_f32_e32 v3, v3
	v_mul_lo_u32 v5, s0, v4
	v_mul_hi_u32 v7, s0, v3
	v_mul_lo_u32 v6, s1, v3
	v_add_u32_e32 v5, v7, v5
	v_mul_lo_u32 v8, s0, v3
	v_add_u32_e32 v5, v5, v6
	v_mul_lo_u32 v7, v3, v5
	v_mul_hi_u32 v9, v3, v8
	v_mul_hi_u32 v6, v3, v5
	v_add_co_u32_e32 v7, vcc, v9, v7
	v_addc_co_u32_e32 v6, vcc, 0, v6, vcc
	v_mul_hi_u32 v10, v4, v8
	v_mul_lo_u32 v8, v4, v8
	v_add_co_u32_e32 v7, vcc, v7, v8
	v_mul_hi_u32 v9, v4, v5
	v_addc_co_u32_e32 v6, vcc, v6, v10, vcc
	v_addc_co_u32_e32 v7, vcc, 0, v9, vcc
	v_mul_lo_u32 v5, v4, v5
	v_add_co_u32_e32 v5, vcc, v6, v5
	v_addc_co_u32_e32 v6, vcc, 0, v7, vcc
	v_add_co_u32_e32 v3, vcc, v3, v5
	v_addc_co_u32_e32 v4, vcc, v4, v6, vcc
	v_mul_lo_u32 v5, s0, v4
	v_mul_hi_u32 v6, s0, v3
	v_add_u32_e32 v5, v6, v5
	v_mul_lo_u32 v6, s1, v3
	v_add_u32_e32 v5, v5, v6
	v_mul_lo_u32 v7, s0, v3
	v_mul_hi_u32 v8, v4, v7
	v_mul_lo_u32 v9, v4, v7
	v_mul_lo_u32 v11, v3, v5
	v_mul_hi_u32 v7, v3, v7
	v_mul_hi_u32 v10, v3, v5
	v_add_co_u32_e32 v7, vcc, v7, v11
	v_addc_co_u32_e32 v10, vcc, 0, v10, vcc
	v_add_co_u32_e32 v7, vcc, v7, v9
	v_mul_hi_u32 v6, v4, v5
	v_addc_co_u32_e32 v7, vcc, v10, v8, vcc
	v_addc_co_u32_e32 v6, vcc, 0, v6, vcc
	v_mul_lo_u32 v5, v4, v5
	v_add_co_u32_e32 v5, vcc, v7, v5
	v_addc_co_u32_e32 v6, vcc, 0, v6, vcc
	v_add_co_u32_e32 v3, vcc, v3, v5
	v_addc_co_u32_e32 v6, vcc, v4, v6, vcc
	v_ashrrev_i32_e32 v8, 31, v1
	v_add_co_u32_e32 v4, vcc, v0, v8
	v_addc_co_u32_e32 v5, vcc, v1, v8, vcc
	v_xor_b32_e32 v10, v4, v8
	v_xor_b32_e32 v9, v5, v8
	v_mad_u64_u32 v[4:5], s[0:1], v10, v6, 0
	v_mul_hi_u32 v7, v10, v3
	v_add_co_u32_e32 v11, vcc, v7, v4
	v_addc_co_u32_e32 v12, vcc, 0, v5, vcc
	v_mad_u64_u32 v[4:5], s[0:1], v9, v6, 0
	v_mad_u64_u32 v[6:7], s[0:1], v9, v3, 0
	v_add_co_u32_e32 v3, vcc, v11, v6
	v_addc_co_u32_e32 v3, vcc, v12, v7, vcc
	v_addc_co_u32_e32 v5, vcc, 0, v5, vcc
	v_add_co_u32_e32 v3, vcc, v3, v4
	v_addc_co_u32_e32 v6, vcc, 0, v5, vcc
	v_mul_lo_u32 v7, s29, v3
	v_mul_lo_u32 v11, s28, v6
	v_mad_u64_u32 v[4:5], s[0:1], s28, v3, 0
	v_add3_u32 v5, v5, v11, v7
	v_sub_u32_e32 v7, v9, v5
	v_mov_b32_e32 v11, s29
	v_sub_co_u32_e32 v4, vcc, v10, v4
	v_subb_co_u32_e64 v7, s[0:1], v7, v11, vcc
	v_subrev_co_u32_e64 v10, s[0:1], s28, v4
	v_subbrev_co_u32_e64 v7, s[0:1], 0, v7, s[0:1]
	v_cmp_le_u32_e64 s[0:1], s29, v7
	v_cndmask_b32_e64 v11, 0, -1, s[0:1]
	v_cmp_le_u32_e64 s[0:1], s28, v10
	v_cndmask_b32_e64 v10, 0, -1, s[0:1]
	v_cmp_eq_u32_e64 s[0:1], s29, v7
	v_cndmask_b32_e64 v7, v11, v10, s[0:1]
	v_add_co_u32_e64 v10, s[0:1], 2, v3
	v_subb_co_u32_e32 v5, vcc, v9, v5, vcc
	v_addc_co_u32_e64 v11, s[0:1], 0, v6, s[0:1]
	v_cmp_le_u32_e32 vcc, s29, v5
	v_add_co_u32_e64 v12, s[0:1], 1, v3
	v_cndmask_b32_e64 v9, 0, -1, vcc
	v_cmp_le_u32_e32 vcc, s28, v4
	v_addc_co_u32_e64 v13, s[0:1], 0, v6, s[0:1]
	v_cndmask_b32_e64 v4, 0, -1, vcc
	v_cmp_eq_u32_e32 vcc, s29, v5
	v_cmp_ne_u32_e64 s[0:1], 0, v7
	v_cndmask_b32_e32 v4, v9, v4, vcc
	v_cndmask_b32_e64 v7, v13, v11, s[0:1]
	v_cmp_ne_u32_e32 vcc, 0, v4
	v_cndmask_b32_e64 v5, v12, v10, s[0:1]
	v_cndmask_b32_e32 v4, v6, v7, vcc
	v_cndmask_b32_e32 v3, v3, v5, vcc
	v_xor_b32_e32 v6, s26, v8
	v_xor_b32_e32 v5, s27, v8
	;; [unrolled: 1-line block ×4, first 2 shown]
	v_sub_co_u32_e32 v4, vcc, v3, v6
	v_subb_co_u32_e32 v5, vcc, v7, v5, vcc
.LBB40_5:                               ;   in Loop: Header=BB40_3 Depth=1
	s_andn2_saveexec_b64 s[0:1], s[24:25]
	s_cbranch_execz .LBB40_7
; %bb.6:                                ;   in Loop: Header=BB40_3 Depth=1
	s_sub_i32 s16, 0, s33
	v_mul_lo_u32 v3, s16, v26
	v_mul_hi_u32 v3, v26, v3
	v_add_u32_e32 v3, v26, v3
	v_mul_hi_u32 v3, v0, v3
	v_mul_lo_u32 v4, v3, s33
	v_sub_u32_e32 v4, v0, v4
	v_subrev_u32_e32 v5, s33, v4
	v_cmp_le_u32_e32 vcc, s33, v4
	v_cndmask_b32_e32 v4, v4, v5, vcc
	v_add_u32_e32 v5, 1, v3
	v_cndmask_b32_e32 v3, v3, v5, vcc
	v_add_u32_e32 v5, 1, v3
	v_cmp_le_u32_e32 vcc, s33, v4
	v_cndmask_b32_e32 v4, v3, v5, vcc
	v_mov_b32_e32 v5, v2
.LBB40_7:                               ;   in Loop: Header=BB40_3 Depth=1
	s_or_b64 exec, exec, s[0:1]
	v_or_b32_e32 v3, s42, v5
	v_cmp_ne_u64_e32 vcc, 0, v[2:3]
                                        ; implicit-def: $vgpr8_vgpr9
	s_and_saveexec_b64 s[0:1], vcc
	s_xor_b64 s[24:25], exec, s[0:1]
	s_cbranch_execz .LBB40_9
; %bb.8:                                ;   in Loop: Header=BB40_3 Depth=1
	s_add_u32 s0, s41, s42
	s_mov_b32 s26, s42
	s_mov_b32 s27, s42
	s_addc_u32 s1, s42, s42
	s_xor_b64 s[28:29], s[0:1], s[26:27]
	v_cvt_f32_u32_e32 v3, s28
	v_cvt_f32_u32_e32 v6, s29
	s_sub_u32 s0, 0, s28
	s_subb_u32 s1, 0, s29
	v_mac_f32_e32 v3, 0x4f800000, v6
	v_rcp_f32_e32 v3, v3
	v_mul_f32_e32 v3, 0x5f7ffffc, v3
	v_mul_f32_e32 v6, 0x2f800000, v3
	v_trunc_f32_e32 v6, v6
	v_mac_f32_e32 v3, 0xcf800000, v6
	v_cvt_u32_f32_e32 v6, v6
	v_cvt_u32_f32_e32 v3, v3
	v_mul_lo_u32 v7, s0, v6
	v_mul_hi_u32 v9, s0, v3
	v_mul_lo_u32 v8, s1, v3
	v_add_u32_e32 v7, v9, v7
	v_mul_lo_u32 v10, s0, v3
	v_add_u32_e32 v7, v7, v8
	v_mul_lo_u32 v9, v3, v7
	v_mul_hi_u32 v11, v3, v10
	v_mul_hi_u32 v8, v3, v7
	v_add_co_u32_e32 v9, vcc, v11, v9
	v_addc_co_u32_e32 v8, vcc, 0, v8, vcc
	v_mul_hi_u32 v12, v6, v10
	v_mul_lo_u32 v10, v6, v10
	v_add_co_u32_e32 v9, vcc, v9, v10
	v_mul_hi_u32 v11, v6, v7
	v_addc_co_u32_e32 v8, vcc, v8, v12, vcc
	v_addc_co_u32_e32 v9, vcc, 0, v11, vcc
	v_mul_lo_u32 v7, v6, v7
	v_add_co_u32_e32 v7, vcc, v8, v7
	v_addc_co_u32_e32 v8, vcc, 0, v9, vcc
	v_add_co_u32_e32 v3, vcc, v3, v7
	v_addc_co_u32_e32 v6, vcc, v6, v8, vcc
	v_mul_lo_u32 v7, s0, v6
	v_mul_hi_u32 v8, s0, v3
	v_add_u32_e32 v7, v8, v7
	v_mul_lo_u32 v8, s1, v3
	v_add_u32_e32 v7, v7, v8
	v_mul_lo_u32 v9, s0, v3
	v_mul_hi_u32 v10, v6, v9
	v_mul_lo_u32 v11, v6, v9
	v_mul_lo_u32 v13, v3, v7
	v_mul_hi_u32 v9, v3, v9
	v_mul_hi_u32 v12, v3, v7
	v_add_co_u32_e32 v9, vcc, v9, v13
	v_addc_co_u32_e32 v12, vcc, 0, v12, vcc
	v_add_co_u32_e32 v9, vcc, v9, v11
	v_mul_hi_u32 v8, v6, v7
	v_addc_co_u32_e32 v9, vcc, v12, v10, vcc
	v_addc_co_u32_e32 v8, vcc, 0, v8, vcc
	v_mul_lo_u32 v7, v6, v7
	v_add_co_u32_e32 v7, vcc, v9, v7
	v_addc_co_u32_e32 v8, vcc, 0, v8, vcc
	v_add_co_u32_e32 v3, vcc, v3, v7
	v_addc_co_u32_e32 v8, vcc, v6, v8, vcc
	v_ashrrev_i32_e32 v10, 31, v5
	v_add_co_u32_e32 v6, vcc, v4, v10
	v_xor_b32_e32 v11, v6, v10
	v_addc_co_u32_e32 v5, vcc, v5, v10, vcc
	v_mad_u64_u32 v[6:7], s[0:1], v11, v8, 0
	v_mul_hi_u32 v9, v11, v3
	v_xor_b32_e32 v5, v5, v10
	v_add_co_u32_e32 v12, vcc, v9, v6
	v_addc_co_u32_e32 v13, vcc, 0, v7, vcc
	v_mad_u64_u32 v[6:7], s[0:1], v5, v8, 0
	v_mad_u64_u32 v[8:9], s[0:1], v5, v3, 0
	v_add_co_u32_e32 v3, vcc, v12, v8
	v_addc_co_u32_e32 v3, vcc, v13, v9, vcc
	v_addc_co_u32_e32 v7, vcc, 0, v7, vcc
	v_add_co_u32_e32 v3, vcc, v3, v6
	v_addc_co_u32_e32 v8, vcc, 0, v7, vcc
	v_mul_lo_u32 v9, s29, v3
	v_mul_lo_u32 v12, s28, v8
	v_mad_u64_u32 v[6:7], s[0:1], s28, v3, 0
	v_add3_u32 v7, v7, v12, v9
	v_sub_u32_e32 v9, v5, v7
	v_mov_b32_e32 v12, s29
	v_sub_co_u32_e32 v6, vcc, v11, v6
	v_subb_co_u32_e64 v9, s[0:1], v9, v12, vcc
	v_subrev_co_u32_e64 v11, s[0:1], s28, v6
	v_subbrev_co_u32_e64 v9, s[0:1], 0, v9, s[0:1]
	v_cmp_le_u32_e64 s[0:1], s29, v9
	v_cndmask_b32_e64 v12, 0, -1, s[0:1]
	v_cmp_le_u32_e64 s[0:1], s28, v11
	v_cndmask_b32_e64 v11, 0, -1, s[0:1]
	v_cmp_eq_u32_e64 s[0:1], s29, v9
	v_cndmask_b32_e64 v9, v12, v11, s[0:1]
	v_add_co_u32_e64 v11, s[0:1], 2, v3
	v_subb_co_u32_e32 v5, vcc, v5, v7, vcc
	v_addc_co_u32_e64 v12, s[0:1], 0, v8, s[0:1]
	v_cmp_le_u32_e32 vcc, s29, v5
	v_add_co_u32_e64 v13, s[0:1], 1, v3
	v_cndmask_b32_e64 v7, 0, -1, vcc
	v_cmp_le_u32_e32 vcc, s28, v6
	v_addc_co_u32_e64 v14, s[0:1], 0, v8, s[0:1]
	v_cndmask_b32_e64 v6, 0, -1, vcc
	v_cmp_eq_u32_e32 vcc, s29, v5
	v_cmp_ne_u32_e64 s[0:1], 0, v9
	v_cndmask_b32_e32 v5, v7, v6, vcc
	v_cmp_ne_u32_e32 vcc, 0, v5
	v_cndmask_b32_e64 v6, v13, v11, s[0:1]
	v_cndmask_b32_e64 v9, v14, v12, s[0:1]
	v_cndmask_b32_e32 v3, v3, v6, vcc
	v_xor_b32_e32 v7, s26, v10
	v_cndmask_b32_e32 v5, v8, v9, vcc
	v_xor_b32_e32 v6, s27, v10
	v_xor_b32_e32 v3, v3, v7
	;; [unrolled: 1-line block ×3, first 2 shown]
	v_sub_co_u32_e32 v8, vcc, v3, v7
	v_subb_co_u32_e32 v9, vcc, v5, v6, vcc
.LBB40_9:                               ;   in Loop: Header=BB40_3 Depth=1
	s_andn2_saveexec_b64 s[0:1], s[24:25]
	s_cbranch_execz .LBB40_11
; %bb.10:                               ;   in Loop: Header=BB40_3 Depth=1
	v_cvt_f32_u32_e32 v3, s41
	s_sub_i32 s16, 0, s41
	v_mov_b32_e32 v9, v2
	v_rcp_iflag_f32_e32 v3, v3
	v_mul_f32_e32 v3, 0x4f7ffffe, v3
	v_cvt_u32_f32_e32 v3, v3
	v_mul_lo_u32 v5, s16, v3
	v_mul_hi_u32 v5, v3, v5
	v_add_u32_e32 v3, v3, v5
	v_mul_hi_u32 v3, v4, v3
	v_mul_lo_u32 v5, v3, s41
	v_sub_u32_e32 v5, v4, v5
	v_add_u32_e32 v6, 1, v3
	v_subrev_u32_e32 v7, s41, v5
	v_cmp_le_u32_e32 vcc, s41, v5
	v_cndmask_b32_e32 v5, v5, v7, vcc
	v_cndmask_b32_e32 v3, v3, v6, vcc
	v_add_u32_e32 v6, 1, v3
	v_cmp_le_u32_e32 vcc, s41, v5
	v_cndmask_b32_e32 v8, v3, v6, vcc
.LBB40_11:                              ;   in Loop: Header=BB40_3 Depth=1
	s_or_b64 exec, exec, s[0:1]
	v_mad_u64_u32 v[6:7], s[0:1], v4, s33, 0
	v_sub_co_u32_e32 v28, vcc, v0, v6
	v_mad_u64_u32 v[6:7], s[0:1], v8, s41, 0
	v_sub_co_u32_e32 v27, vcc, v4, v6
	v_sub_u32_e32 v6, v28, v27
	v_add_u32_e32 v4, 4, v6
	v_ashrrev_i32_e32 v5, 31, v4
	v_cmp_lt_i64_e32 vcc, s[8:9], v[4:5]
	s_and_saveexec_b64 s[24:25], vcc
	s_cbranch_execz .LBB40_2
; %bb.12:                               ;   in Loop: Header=BB40_3 Depth=1
	s_load_dword s49, s[4:5], 0x0
	s_load_dword s0, s[12:13], 0x0
	s_andn2_b64 vcc, exec, s[6:7]
	s_waitcnt lgkmcnt(0)
	v_mul_lo_u32 v4, s49, v28
	v_mad_u64_u32 v[4:5], s[0:1], s0, v27, v[4:5]
	s_cbranch_vccnz .LBB40_57
; %bb.13:                               ;   in Loop: Header=BB40_3 Depth=1
	s_andn2_b64 vcc, exec, s[18:19]
	s_cbranch_vccnz .LBB40_20
; %bb.14:                               ;   in Loop: Header=BB40_3 Depth=1
	s_mov_b32 s36, s48
	s_mov_b32 s16, s45
	s_branch .LBB40_16
.LBB40_15:                              ;   in Loop: Header=BB40_16 Depth=2
	s_or_b64 exec, exec, s[0:1]
	s_add_u32 s0, s43, s26
	s_addc_u32 s1, s44, s27
	s_load_dword s0, s[0:1], 0x0
	v_mul_lo_u32 v3, v8, s37
	v_sub_u32_e32 v3, v10, v3
	s_add_i32 s16, s16, -1
	s_add_i32 s36, s36, -1
	s_cmp_lg_u32 s36, 0
	s_waitcnt lgkmcnt(0)
	v_mad_u64_u32 v[4:5], s[0:1], s0, v3, v[4:5]
	s_cbranch_scc0 .LBB40_21
.LBB40_16:                              ;   Parent Loop BB40_3 Depth=1
                                        ; =>  This Inner Loop Header: Depth=2
	s_lshl_b64 s[26:27], s[16:17], 2
	s_add_u32 s0, s39, s26
	s_addc_u32 s1, s40, s27
	s_load_dword s37, s[0:1], 0x0
	v_pk_mov_b32 v[10:11], v[8:9], v[8:9] op_sel:[0,1]
                                        ; implicit-def: $vgpr8_vgpr9
	s_waitcnt lgkmcnt(0)
	s_ashr_i32 s0, s37, 31
	v_or_b32_e32 v3, s0, v11
	v_cmp_ne_u64_e32 vcc, 0, v[2:3]
	s_and_saveexec_b64 s[28:29], vcc
	s_xor_b64 s[28:29], exec, s[28:29]
	s_cbranch_execz .LBB40_18
; %bb.17:                               ;   in Loop: Header=BB40_16 Depth=2
	s_add_u32 s34, s37, s0
	s_mov_b32 s30, s0
	s_mov_b32 s31, s0
	s_addc_u32 s35, s0, s0
	s_xor_b64 s[34:35], s[34:35], s[30:31]
	v_cvt_f32_u32_e32 v3, s34
	v_cvt_f32_u32_e32 v5, s35
	s_sub_u32 s0, 0, s34
	s_subb_u32 s1, 0, s35
	v_mac_f32_e32 v3, 0x4f800000, v5
	v_rcp_f32_e32 v3, v3
	v_mul_f32_e32 v3, 0x5f7ffffc, v3
	v_mul_f32_e32 v5, 0x2f800000, v3
	v_trunc_f32_e32 v5, v5
	v_mac_f32_e32 v3, 0xcf800000, v5
	v_cvt_u32_f32_e32 v5, v5
	v_cvt_u32_f32_e32 v3, v3
	v_mul_lo_u32 v7, s0, v5
	v_mul_hi_u32 v9, s0, v3
	v_mul_lo_u32 v8, s1, v3
	v_add_u32_e32 v7, v9, v7
	v_mul_lo_u32 v12, s0, v3
	v_add_u32_e32 v7, v7, v8
	v_mul_lo_u32 v9, v3, v7
	v_mul_hi_u32 v13, v3, v12
	v_mul_hi_u32 v8, v3, v7
	v_add_co_u32_e32 v9, vcc, v13, v9
	v_addc_co_u32_e32 v8, vcc, 0, v8, vcc
	v_mul_hi_u32 v14, v5, v12
	v_mul_lo_u32 v12, v5, v12
	v_add_co_u32_e32 v9, vcc, v9, v12
	v_mul_hi_u32 v13, v5, v7
	v_addc_co_u32_e32 v8, vcc, v8, v14, vcc
	v_addc_co_u32_e32 v9, vcc, 0, v13, vcc
	v_mul_lo_u32 v7, v5, v7
	v_add_co_u32_e32 v7, vcc, v8, v7
	v_addc_co_u32_e32 v8, vcc, 0, v9, vcc
	v_add_co_u32_e32 v3, vcc, v3, v7
	v_addc_co_u32_e32 v5, vcc, v5, v8, vcc
	v_mul_lo_u32 v7, s0, v5
	v_mul_hi_u32 v8, s0, v3
	v_add_u32_e32 v7, v8, v7
	v_mul_lo_u32 v8, s1, v3
	v_add_u32_e32 v7, v7, v8
	v_mul_lo_u32 v9, s0, v3
	v_mul_hi_u32 v12, v5, v9
	v_mul_lo_u32 v13, v5, v9
	v_mul_lo_u32 v15, v3, v7
	v_mul_hi_u32 v9, v3, v9
	v_mul_hi_u32 v14, v3, v7
	v_add_co_u32_e32 v9, vcc, v9, v15
	v_addc_co_u32_e32 v14, vcc, 0, v14, vcc
	v_add_co_u32_e32 v9, vcc, v9, v13
	v_mul_hi_u32 v8, v5, v7
	v_addc_co_u32_e32 v9, vcc, v14, v12, vcc
	v_addc_co_u32_e32 v8, vcc, 0, v8, vcc
	v_mul_lo_u32 v7, v5, v7
	v_add_co_u32_e32 v7, vcc, v9, v7
	v_addc_co_u32_e32 v8, vcc, 0, v8, vcc
	v_add_co_u32_e32 v3, vcc, v3, v7
	v_addc_co_u32_e32 v5, vcc, v5, v8, vcc
	v_ashrrev_i32_e32 v7, 31, v11
	v_add_co_u32_e32 v8, vcc, v10, v7
	v_addc_co_u32_e32 v9, vcc, v11, v7, vcc
	v_xor_b32_e32 v14, v8, v7
	v_xor_b32_e32 v11, v9, v7
	v_mad_u64_u32 v[8:9], s[0:1], v14, v5, 0
	v_mul_hi_u32 v12, v14, v3
	v_add_co_u32_e32 v15, vcc, v12, v8
	v_addc_co_u32_e32 v16, vcc, 0, v9, vcc
	v_mad_u64_u32 v[12:13], s[0:1], v11, v3, 0
	v_add_co_u32_e32 v3, vcc, v15, v12
	v_mad_u64_u32 v[8:9], s[0:1], v11, v5, 0
	v_addc_co_u32_e32 v3, vcc, v16, v13, vcc
	v_addc_co_u32_e32 v5, vcc, 0, v9, vcc
	v_add_co_u32_e32 v3, vcc, v3, v8
	v_addc_co_u32_e32 v5, vcc, 0, v5, vcc
	v_mul_lo_u32 v12, s35, v3
	v_mul_lo_u32 v13, s34, v5
	v_mad_u64_u32 v[8:9], s[0:1], s34, v3, 0
	v_add3_u32 v9, v9, v13, v12
	v_sub_u32_e32 v12, v11, v9
	v_mov_b32_e32 v13, s35
	v_sub_co_u32_e32 v8, vcc, v14, v8
	v_subb_co_u32_e64 v12, s[0:1], v12, v13, vcc
	v_subrev_co_u32_e64 v13, s[0:1], s34, v8
	v_subbrev_co_u32_e64 v12, s[0:1], 0, v12, s[0:1]
	v_cmp_le_u32_e64 s[0:1], s35, v12
	v_cndmask_b32_e64 v14, 0, -1, s[0:1]
	v_cmp_le_u32_e64 s[0:1], s34, v13
	v_cndmask_b32_e64 v13, 0, -1, s[0:1]
	v_cmp_eq_u32_e64 s[0:1], s35, v12
	v_cndmask_b32_e64 v12, v14, v13, s[0:1]
	v_add_co_u32_e64 v13, s[0:1], 2, v3
	v_subb_co_u32_e32 v9, vcc, v11, v9, vcc
	v_addc_co_u32_e64 v14, s[0:1], 0, v5, s[0:1]
	v_cmp_le_u32_e32 vcc, s35, v9
	v_add_co_u32_e64 v15, s[0:1], 1, v3
	v_cndmask_b32_e64 v11, 0, -1, vcc
	v_cmp_le_u32_e32 vcc, s34, v8
	v_addc_co_u32_e64 v16, s[0:1], 0, v5, s[0:1]
	v_cndmask_b32_e64 v8, 0, -1, vcc
	v_cmp_eq_u32_e32 vcc, s35, v9
	v_cmp_ne_u32_e64 s[0:1], 0, v12
	v_cndmask_b32_e32 v8, v11, v8, vcc
	v_cmp_ne_u32_e32 vcc, 0, v8
	v_cndmask_b32_e64 v8, v15, v13, s[0:1]
	v_cndmask_b32_e64 v12, v16, v14, s[0:1]
	v_cndmask_b32_e32 v3, v3, v8, vcc
	v_xor_b32_e32 v9, s31, v7
	v_xor_b32_e32 v7, s30, v7
	v_cndmask_b32_e32 v5, v5, v12, vcc
	v_xor_b32_e32 v3, v3, v7
	v_xor_b32_e32 v5, v5, v9
	v_sub_co_u32_e32 v8, vcc, v3, v7
	v_subb_co_u32_e32 v9, vcc, v5, v9, vcc
.LBB40_18:                              ;   in Loop: Header=BB40_16 Depth=2
	s_andn2_saveexec_b64 s[0:1], s[28:29]
	s_cbranch_execz .LBB40_15
; %bb.19:                               ;   in Loop: Header=BB40_16 Depth=2
	v_cvt_f32_u32_e32 v3, s37
	s_sub_i32 s28, 0, s37
	v_mov_b32_e32 v9, v2
	v_rcp_iflag_f32_e32 v3, v3
	v_mul_f32_e32 v3, 0x4f7ffffe, v3
	v_cvt_u32_f32_e32 v3, v3
	v_mul_lo_u32 v5, s28, v3
	v_mul_hi_u32 v5, v3, v5
	v_add_u32_e32 v3, v3, v5
	v_mul_hi_u32 v3, v10, v3
	v_mul_lo_u32 v5, v3, s37
	v_sub_u32_e32 v5, v10, v5
	v_add_u32_e32 v7, 1, v3
	v_subrev_u32_e32 v8, s37, v5
	v_cmp_le_u32_e32 vcc, s37, v5
	v_cndmask_b32_e32 v5, v5, v8, vcc
	v_cndmask_b32_e32 v3, v3, v7, vcc
	v_add_u32_e32 v7, 1, v3
	v_cmp_le_u32_e32 vcc, s37, v5
	v_cndmask_b32_e32 v8, v3, v7, vcc
	s_branch .LBB40_15
.LBB40_20:                              ;   in Loop: Header=BB40_3 Depth=1
	s_mov_b32 s16, s45
.LBB40_21:                              ;   in Loop: Header=BB40_3 Depth=1
	s_andn2_b64 vcc, exec, s[20:21]
	s_cbranch_vccnz .LBB40_57
; %bb.22:                               ;   in Loop: Header=BB40_3 Depth=1
	s_add_i32 s26, s16, -7
.LBB40_23:                              ;   Parent Loop BB40_3 Depth=1
                                        ; =>  This Inner Loop Header: Depth=2
	s_add_i32 s16, s26, 7
	s_lshl_b64 s[28:29], s[16:17], 2
	s_add_u32 s0, s39, s28
	s_addc_u32 s1, s40, s29
	s_load_dword s50, s[0:1], 0x0
                                        ; implicit-def: $vgpr10_vgpr11
	s_waitcnt lgkmcnt(0)
	s_ashr_i32 s0, s50, 31
	v_or_b32_e32 v3, s0, v9
	v_cmp_ne_u64_e32 vcc, 0, v[2:3]
	s_and_saveexec_b64 s[30:31], vcc
	s_xor_b64 s[30:31], exec, s[30:31]
	s_cbranch_execz .LBB40_25
; %bb.24:                               ;   in Loop: Header=BB40_23 Depth=2
	s_add_u32 s36, s50, s0
	s_mov_b32 s34, s0
	s_mov_b32 s35, s0
	s_addc_u32 s37, s0, s0
	s_xor_b64 s[36:37], s[36:37], s[34:35]
	v_cvt_f32_u32_e32 v3, s36
	v_cvt_f32_u32_e32 v5, s37
	s_sub_u32 s0, 0, s36
	s_subb_u32 s1, 0, s37
	v_mac_f32_e32 v3, 0x4f800000, v5
	v_rcp_f32_e32 v3, v3
	v_mul_f32_e32 v3, 0x5f7ffffc, v3
	v_mul_f32_e32 v5, 0x2f800000, v3
	v_trunc_f32_e32 v5, v5
	v_mac_f32_e32 v3, 0xcf800000, v5
	v_cvt_u32_f32_e32 v5, v5
	v_cvt_u32_f32_e32 v3, v3
	v_mul_lo_u32 v7, s0, v5
	v_mul_hi_u32 v11, s0, v3
	v_mul_lo_u32 v10, s1, v3
	v_add_u32_e32 v7, v11, v7
	v_mul_lo_u32 v12, s0, v3
	v_add_u32_e32 v7, v7, v10
	v_mul_lo_u32 v11, v3, v7
	v_mul_hi_u32 v13, v3, v12
	v_mul_hi_u32 v10, v3, v7
	v_add_co_u32_e32 v11, vcc, v13, v11
	v_addc_co_u32_e32 v10, vcc, 0, v10, vcc
	v_mul_hi_u32 v14, v5, v12
	v_mul_lo_u32 v12, v5, v12
	v_add_co_u32_e32 v11, vcc, v11, v12
	v_mul_hi_u32 v13, v5, v7
	v_addc_co_u32_e32 v10, vcc, v10, v14, vcc
	v_addc_co_u32_e32 v11, vcc, 0, v13, vcc
	v_mul_lo_u32 v7, v5, v7
	v_add_co_u32_e32 v7, vcc, v10, v7
	v_addc_co_u32_e32 v10, vcc, 0, v11, vcc
	v_add_co_u32_e32 v3, vcc, v3, v7
	v_addc_co_u32_e32 v5, vcc, v5, v10, vcc
	v_mul_lo_u32 v7, s0, v5
	v_mul_hi_u32 v10, s0, v3
	v_add_u32_e32 v7, v10, v7
	v_mul_lo_u32 v10, s1, v3
	v_add_u32_e32 v7, v7, v10
	v_mul_lo_u32 v11, s0, v3
	v_mul_hi_u32 v12, v5, v11
	v_mul_lo_u32 v13, v5, v11
	v_mul_lo_u32 v15, v3, v7
	v_mul_hi_u32 v11, v3, v11
	v_mul_hi_u32 v14, v3, v7
	v_add_co_u32_e32 v11, vcc, v11, v15
	v_addc_co_u32_e32 v14, vcc, 0, v14, vcc
	v_add_co_u32_e32 v11, vcc, v11, v13
	v_mul_hi_u32 v10, v5, v7
	v_addc_co_u32_e32 v11, vcc, v14, v12, vcc
	v_addc_co_u32_e32 v10, vcc, 0, v10, vcc
	v_mul_lo_u32 v7, v5, v7
	v_add_co_u32_e32 v7, vcc, v11, v7
	v_addc_co_u32_e32 v10, vcc, 0, v10, vcc
	v_add_co_u32_e32 v3, vcc, v3, v7
	v_addc_co_u32_e32 v5, vcc, v5, v10, vcc
	v_ashrrev_i32_e32 v7, 31, v9
	v_add_co_u32_e32 v10, vcc, v8, v7
	v_xor_b32_e32 v14, v10, v7
	v_addc_co_u32_e32 v9, vcc, v9, v7, vcc
	v_mad_u64_u32 v[10:11], s[0:1], v14, v5, 0
	v_mul_hi_u32 v12, v14, v3
	v_xor_b32_e32 v9, v9, v7
	v_add_co_u32_e32 v15, vcc, v12, v10
	v_addc_co_u32_e32 v16, vcc, 0, v11, vcc
	v_mad_u64_u32 v[12:13], s[0:1], v9, v3, 0
	v_add_co_u32_e32 v3, vcc, v15, v12
	v_mad_u64_u32 v[10:11], s[0:1], v9, v5, 0
	v_addc_co_u32_e32 v3, vcc, v16, v13, vcc
	v_addc_co_u32_e32 v5, vcc, 0, v11, vcc
	v_add_co_u32_e32 v3, vcc, v3, v10
	v_addc_co_u32_e32 v5, vcc, 0, v5, vcc
	v_mul_lo_u32 v12, s37, v3
	v_mul_lo_u32 v13, s36, v5
	v_mad_u64_u32 v[10:11], s[0:1], s36, v3, 0
	v_add3_u32 v11, v11, v13, v12
	v_sub_u32_e32 v12, v9, v11
	v_mov_b32_e32 v13, s37
	v_sub_co_u32_e32 v10, vcc, v14, v10
	v_subb_co_u32_e64 v12, s[0:1], v12, v13, vcc
	v_subrev_co_u32_e64 v13, s[0:1], s36, v10
	v_subbrev_co_u32_e64 v12, s[0:1], 0, v12, s[0:1]
	v_cmp_le_u32_e64 s[0:1], s37, v12
	v_cndmask_b32_e64 v14, 0, -1, s[0:1]
	v_cmp_le_u32_e64 s[0:1], s36, v13
	v_cndmask_b32_e64 v13, 0, -1, s[0:1]
	v_cmp_eq_u32_e64 s[0:1], s37, v12
	v_cndmask_b32_e64 v12, v14, v13, s[0:1]
	v_add_co_u32_e64 v13, s[0:1], 2, v3
	v_subb_co_u32_e32 v9, vcc, v9, v11, vcc
	v_addc_co_u32_e64 v14, s[0:1], 0, v5, s[0:1]
	v_cmp_le_u32_e32 vcc, s37, v9
	v_add_co_u32_e64 v15, s[0:1], 1, v3
	v_cndmask_b32_e64 v11, 0, -1, vcc
	v_cmp_le_u32_e32 vcc, s36, v10
	v_addc_co_u32_e64 v16, s[0:1], 0, v5, s[0:1]
	v_cndmask_b32_e64 v10, 0, -1, vcc
	v_cmp_eq_u32_e32 vcc, s37, v9
	v_cmp_ne_u32_e64 s[0:1], 0, v12
	v_cndmask_b32_e32 v9, v11, v10, vcc
	v_cmp_ne_u32_e32 vcc, 0, v9
	v_cndmask_b32_e64 v9, v15, v13, s[0:1]
	v_cndmask_b32_e64 v12, v16, v14, s[0:1]
	v_cndmask_b32_e32 v3, v3, v9, vcc
	v_xor_b32_e32 v9, s35, v7
	v_xor_b32_e32 v7, s34, v7
	v_cndmask_b32_e32 v5, v5, v12, vcc
	v_xor_b32_e32 v3, v3, v7
	v_xor_b32_e32 v5, v5, v9
	v_sub_co_u32_e32 v10, vcc, v3, v7
	v_subb_co_u32_e32 v11, vcc, v5, v9, vcc
.LBB40_25:                              ;   in Loop: Header=BB40_23 Depth=2
	s_andn2_saveexec_b64 s[0:1], s[30:31]
	s_cbranch_execz .LBB40_27
; %bb.26:                               ;   in Loop: Header=BB40_23 Depth=2
	v_cvt_f32_u32_e32 v3, s50
	s_sub_i32 s16, 0, s50
	v_mov_b32_e32 v11, v2
	v_rcp_iflag_f32_e32 v3, v3
	v_mul_f32_e32 v3, 0x4f7ffffe, v3
	v_cvt_u32_f32_e32 v3, v3
	v_mul_lo_u32 v5, s16, v3
	v_mul_hi_u32 v5, v3, v5
	v_add_u32_e32 v3, v3, v5
	v_mul_hi_u32 v3, v8, v3
	v_mul_lo_u32 v5, v3, s50
	v_sub_u32_e32 v5, v8, v5
	v_add_u32_e32 v7, 1, v3
	v_subrev_u32_e32 v9, s50, v5
	v_cmp_le_u32_e32 vcc, s50, v5
	v_cndmask_b32_e32 v5, v5, v9, vcc
	v_cndmask_b32_e32 v3, v3, v7, vcc
	v_add_u32_e32 v7, 1, v3
	v_cmp_le_u32_e32 vcc, s50, v5
	v_cndmask_b32_e32 v10, v3, v7, vcc
.LBB40_27:                              ;   in Loop: Header=BB40_23 Depth=2
	s_or_b64 exec, exec, s[0:1]
	s_add_u32 s0, s43, s28
	s_addc_u32 s1, s44, s29
	s_add_i32 s16, s26, 6
	s_lshl_b64 s[28:29], s[16:17], 2
	s_add_u32 s30, s39, s28
	s_addc_u32 s31, s40, s29
	s_load_dword s51, s[30:31], 0x0
	s_load_dword s52, s[0:1], 0x0
                                        ; implicit-def: $vgpr12_vgpr13
	s_waitcnt lgkmcnt(0)
	s_ashr_i32 s0, s51, 31
	v_or_b32_e32 v3, s0, v11
	v_cmp_ne_u64_e32 vcc, 0, v[2:3]
	s_and_saveexec_b64 s[30:31], vcc
	s_xor_b64 s[30:31], exec, s[30:31]
	s_cbranch_execz .LBB40_29
; %bb.28:                               ;   in Loop: Header=BB40_23 Depth=2
	s_add_u32 s36, s51, s0
	s_mov_b32 s34, s0
	s_mov_b32 s35, s0
	s_addc_u32 s37, s0, s0
	s_xor_b64 s[36:37], s[36:37], s[34:35]
	v_cvt_f32_u32_e32 v3, s36
	v_cvt_f32_u32_e32 v5, s37
	s_sub_u32 s0, 0, s36
	s_subb_u32 s1, 0, s37
	v_mac_f32_e32 v3, 0x4f800000, v5
	v_rcp_f32_e32 v3, v3
	v_mul_f32_e32 v3, 0x5f7ffffc, v3
	v_mul_f32_e32 v5, 0x2f800000, v3
	v_trunc_f32_e32 v5, v5
	v_mac_f32_e32 v3, 0xcf800000, v5
	v_cvt_u32_f32_e32 v5, v5
	v_cvt_u32_f32_e32 v3, v3
	v_mul_lo_u32 v7, s0, v5
	v_mul_hi_u32 v12, s0, v3
	v_mul_lo_u32 v9, s1, v3
	v_add_u32_e32 v7, v12, v7
	v_mul_lo_u32 v13, s0, v3
	v_add_u32_e32 v7, v7, v9
	v_mul_lo_u32 v12, v3, v7
	v_mul_hi_u32 v14, v3, v13
	v_mul_hi_u32 v9, v3, v7
	v_add_co_u32_e32 v12, vcc, v14, v12
	v_addc_co_u32_e32 v9, vcc, 0, v9, vcc
	v_mul_hi_u32 v15, v5, v13
	v_mul_lo_u32 v13, v5, v13
	v_add_co_u32_e32 v12, vcc, v12, v13
	v_mul_hi_u32 v14, v5, v7
	v_addc_co_u32_e32 v9, vcc, v9, v15, vcc
	v_addc_co_u32_e32 v12, vcc, 0, v14, vcc
	v_mul_lo_u32 v7, v5, v7
	v_add_co_u32_e32 v7, vcc, v9, v7
	v_addc_co_u32_e32 v9, vcc, 0, v12, vcc
	v_add_co_u32_e32 v3, vcc, v3, v7
	v_addc_co_u32_e32 v5, vcc, v5, v9, vcc
	v_mul_lo_u32 v7, s0, v5
	v_mul_hi_u32 v9, s0, v3
	v_add_u32_e32 v7, v9, v7
	v_mul_lo_u32 v9, s1, v3
	v_add_u32_e32 v7, v7, v9
	v_mul_lo_u32 v12, s0, v3
	v_mul_hi_u32 v13, v5, v12
	v_mul_lo_u32 v14, v5, v12
	v_mul_lo_u32 v16, v3, v7
	v_mul_hi_u32 v12, v3, v12
	v_mul_hi_u32 v15, v3, v7
	v_add_co_u32_e32 v12, vcc, v12, v16
	v_addc_co_u32_e32 v15, vcc, 0, v15, vcc
	v_add_co_u32_e32 v12, vcc, v12, v14
	v_mul_hi_u32 v9, v5, v7
	v_addc_co_u32_e32 v12, vcc, v15, v13, vcc
	v_addc_co_u32_e32 v9, vcc, 0, v9, vcc
	v_mul_lo_u32 v7, v5, v7
	v_add_co_u32_e32 v7, vcc, v12, v7
	v_addc_co_u32_e32 v9, vcc, 0, v9, vcc
	v_add_co_u32_e32 v3, vcc, v3, v7
	v_addc_co_u32_e32 v5, vcc, v5, v9, vcc
	v_ashrrev_i32_e32 v7, 31, v11
	v_add_co_u32_e32 v9, vcc, v10, v7
	v_xor_b32_e32 v9, v9, v7
	v_addc_co_u32_e32 v11, vcc, v11, v7, vcc
	v_mad_u64_u32 v[12:13], s[0:1], v9, v5, 0
	v_mul_hi_u32 v14, v9, v3
	v_xor_b32_e32 v11, v11, v7
	v_add_co_u32_e32 v16, vcc, v14, v12
	v_addc_co_u32_e32 v17, vcc, 0, v13, vcc
	v_mad_u64_u32 v[14:15], s[0:1], v11, v3, 0
	v_add_co_u32_e32 v3, vcc, v16, v14
	v_mad_u64_u32 v[12:13], s[0:1], v11, v5, 0
	v_addc_co_u32_e32 v3, vcc, v17, v15, vcc
	v_addc_co_u32_e32 v5, vcc, 0, v13, vcc
	v_add_co_u32_e32 v3, vcc, v3, v12
	v_addc_co_u32_e32 v5, vcc, 0, v5, vcc
	v_mul_lo_u32 v14, s37, v3
	v_mul_lo_u32 v15, s36, v5
	v_mad_u64_u32 v[12:13], s[0:1], s36, v3, 0
	v_add3_u32 v13, v13, v15, v14
	v_sub_u32_e32 v14, v11, v13
	v_mov_b32_e32 v15, s37
	v_sub_co_u32_e32 v9, vcc, v9, v12
	v_subb_co_u32_e64 v12, s[0:1], v14, v15, vcc
	v_subrev_co_u32_e64 v14, s[0:1], s36, v9
	v_subbrev_co_u32_e64 v12, s[0:1], 0, v12, s[0:1]
	v_cmp_le_u32_e64 s[0:1], s37, v12
	v_cndmask_b32_e64 v15, 0, -1, s[0:1]
	v_cmp_le_u32_e64 s[0:1], s36, v14
	v_cndmask_b32_e64 v14, 0, -1, s[0:1]
	v_cmp_eq_u32_e64 s[0:1], s37, v12
	v_cndmask_b32_e64 v12, v15, v14, s[0:1]
	v_add_co_u32_e64 v14, s[0:1], 2, v3
	v_subb_co_u32_e32 v11, vcc, v11, v13, vcc
	v_addc_co_u32_e64 v15, s[0:1], 0, v5, s[0:1]
	v_cmp_le_u32_e32 vcc, s37, v11
	v_add_co_u32_e64 v16, s[0:1], 1, v3
	v_cndmask_b32_e64 v13, 0, -1, vcc
	v_cmp_le_u32_e32 vcc, s36, v9
	v_addc_co_u32_e64 v17, s[0:1], 0, v5, s[0:1]
	v_cndmask_b32_e64 v9, 0, -1, vcc
	v_cmp_eq_u32_e32 vcc, s37, v11
	v_cmp_ne_u32_e64 s[0:1], 0, v12
	v_cndmask_b32_e32 v9, v13, v9, vcc
	v_cmp_ne_u32_e32 vcc, 0, v9
	v_cndmask_b32_e64 v9, v16, v14, s[0:1]
	v_cndmask_b32_e64 v12, v17, v15, s[0:1]
	v_cndmask_b32_e32 v3, v3, v9, vcc
	v_xor_b32_e32 v9, s35, v7
	v_xor_b32_e32 v7, s34, v7
	v_cndmask_b32_e32 v5, v5, v12, vcc
	v_xor_b32_e32 v3, v3, v7
	v_xor_b32_e32 v5, v5, v9
	v_sub_co_u32_e32 v12, vcc, v3, v7
	v_subb_co_u32_e32 v13, vcc, v5, v9, vcc
.LBB40_29:                              ;   in Loop: Header=BB40_23 Depth=2
	s_andn2_saveexec_b64 s[0:1], s[30:31]
	s_cbranch_execz .LBB40_31
; %bb.30:                               ;   in Loop: Header=BB40_23 Depth=2
	v_cvt_f32_u32_e32 v3, s51
	s_sub_i32 s16, 0, s51
	v_mov_b32_e32 v13, v2
	v_rcp_iflag_f32_e32 v3, v3
	v_mul_f32_e32 v3, 0x4f7ffffe, v3
	v_cvt_u32_f32_e32 v3, v3
	v_mul_lo_u32 v5, s16, v3
	v_mul_hi_u32 v5, v3, v5
	v_add_u32_e32 v3, v3, v5
	v_mul_hi_u32 v3, v10, v3
	v_mul_lo_u32 v5, v3, s51
	v_sub_u32_e32 v5, v10, v5
	v_add_u32_e32 v7, 1, v3
	v_subrev_u32_e32 v9, s51, v5
	v_cmp_le_u32_e32 vcc, s51, v5
	v_cndmask_b32_e32 v5, v5, v9, vcc
	v_cndmask_b32_e32 v3, v3, v7, vcc
	v_add_u32_e32 v7, 1, v3
	v_cmp_le_u32_e32 vcc, s51, v5
	v_cndmask_b32_e32 v12, v3, v7, vcc
.LBB40_31:                              ;   in Loop: Header=BB40_23 Depth=2
	s_or_b64 exec, exec, s[0:1]
	s_add_u32 s0, s43, s28
	s_addc_u32 s1, s44, s29
	s_add_i32 s16, s26, 5
	s_lshl_b64 s[28:29], s[16:17], 2
	s_add_u32 s30, s39, s28
	s_addc_u32 s31, s40, s29
	s_load_dword s53, s[30:31], 0x0
	s_load_dword s54, s[0:1], 0x0
                                        ; implicit-def: $vgpr14_vgpr15
	s_waitcnt lgkmcnt(0)
	s_ashr_i32 s0, s53, 31
	v_or_b32_e32 v3, s0, v13
	v_cmp_ne_u64_e32 vcc, 0, v[2:3]
	s_and_saveexec_b64 s[30:31], vcc
	s_xor_b64 s[30:31], exec, s[30:31]
	s_cbranch_execz .LBB40_33
; %bb.32:                               ;   in Loop: Header=BB40_23 Depth=2
	s_add_u32 s36, s53, s0
	s_mov_b32 s34, s0
	s_mov_b32 s35, s0
	s_addc_u32 s37, s0, s0
	s_xor_b64 s[36:37], s[36:37], s[34:35]
	v_cvt_f32_u32_e32 v3, s36
	v_cvt_f32_u32_e32 v5, s37
	s_sub_u32 s0, 0, s36
	s_subb_u32 s1, 0, s37
	v_mac_f32_e32 v3, 0x4f800000, v5
	v_rcp_f32_e32 v3, v3
	v_mul_f32_e32 v3, 0x5f7ffffc, v3
	v_mul_f32_e32 v5, 0x2f800000, v3
	v_trunc_f32_e32 v5, v5
	v_mac_f32_e32 v3, 0xcf800000, v5
	v_cvt_u32_f32_e32 v5, v5
	v_cvt_u32_f32_e32 v3, v3
	v_mul_lo_u32 v7, s0, v5
	v_mul_hi_u32 v11, s0, v3
	v_mul_lo_u32 v9, s1, v3
	v_add_u32_e32 v7, v11, v7
	v_mul_lo_u32 v14, s0, v3
	v_add_u32_e32 v7, v7, v9
	v_mul_lo_u32 v11, v3, v7
	v_mul_hi_u32 v15, v3, v14
	v_mul_hi_u32 v9, v3, v7
	v_add_co_u32_e32 v11, vcc, v15, v11
	v_addc_co_u32_e32 v9, vcc, 0, v9, vcc
	v_mul_hi_u32 v16, v5, v14
	v_mul_lo_u32 v14, v5, v14
	v_add_co_u32_e32 v11, vcc, v11, v14
	v_mul_hi_u32 v15, v5, v7
	v_addc_co_u32_e32 v9, vcc, v9, v16, vcc
	v_addc_co_u32_e32 v11, vcc, 0, v15, vcc
	v_mul_lo_u32 v7, v5, v7
	v_add_co_u32_e32 v7, vcc, v9, v7
	v_addc_co_u32_e32 v9, vcc, 0, v11, vcc
	v_add_co_u32_e32 v3, vcc, v3, v7
	v_addc_co_u32_e32 v5, vcc, v5, v9, vcc
	v_mul_lo_u32 v7, s0, v5
	v_mul_hi_u32 v9, s0, v3
	v_add_u32_e32 v7, v9, v7
	v_mul_lo_u32 v9, s1, v3
	v_add_u32_e32 v7, v7, v9
	v_mul_lo_u32 v11, s0, v3
	v_mul_hi_u32 v14, v5, v11
	v_mul_lo_u32 v15, v5, v11
	v_mul_lo_u32 v17, v3, v7
	v_mul_hi_u32 v11, v3, v11
	v_mul_hi_u32 v16, v3, v7
	v_add_co_u32_e32 v11, vcc, v11, v17
	v_addc_co_u32_e32 v16, vcc, 0, v16, vcc
	v_add_co_u32_e32 v11, vcc, v11, v15
	v_mul_hi_u32 v9, v5, v7
	v_addc_co_u32_e32 v11, vcc, v16, v14, vcc
	v_addc_co_u32_e32 v9, vcc, 0, v9, vcc
	v_mul_lo_u32 v7, v5, v7
	v_add_co_u32_e32 v7, vcc, v11, v7
	v_addc_co_u32_e32 v9, vcc, 0, v9, vcc
	v_add_co_u32_e32 v3, vcc, v3, v7
	v_addc_co_u32_e32 v5, vcc, v5, v9, vcc
	v_ashrrev_i32_e32 v7, 31, v13
	v_add_co_u32_e32 v9, vcc, v12, v7
	v_xor_b32_e32 v9, v9, v7
	v_addc_co_u32_e32 v11, vcc, v13, v7, vcc
	v_mad_u64_u32 v[14:15], s[0:1], v9, v5, 0
	v_mul_hi_u32 v13, v9, v3
	v_xor_b32_e32 v11, v11, v7
	v_add_co_u32_e32 v13, vcc, v13, v14
	v_addc_co_u32_e32 v18, vcc, 0, v15, vcc
	v_mad_u64_u32 v[16:17], s[0:1], v11, v3, 0
	v_add_co_u32_e32 v3, vcc, v13, v16
	v_mad_u64_u32 v[14:15], s[0:1], v11, v5, 0
	v_addc_co_u32_e32 v3, vcc, v18, v17, vcc
	v_addc_co_u32_e32 v5, vcc, 0, v15, vcc
	v_add_co_u32_e32 v3, vcc, v3, v14
	v_addc_co_u32_e32 v5, vcc, 0, v5, vcc
	v_mul_lo_u32 v13, s37, v3
	v_mul_lo_u32 v16, s36, v5
	v_mad_u64_u32 v[14:15], s[0:1], s36, v3, 0
	v_add3_u32 v13, v15, v16, v13
	v_sub_u32_e32 v15, v11, v13
	v_mov_b32_e32 v16, s37
	v_sub_co_u32_e32 v9, vcc, v9, v14
	v_subb_co_u32_e64 v14, s[0:1], v15, v16, vcc
	v_subrev_co_u32_e64 v15, s[0:1], s36, v9
	v_subbrev_co_u32_e64 v14, s[0:1], 0, v14, s[0:1]
	v_cmp_le_u32_e64 s[0:1], s37, v14
	v_cndmask_b32_e64 v16, 0, -1, s[0:1]
	v_cmp_le_u32_e64 s[0:1], s36, v15
	v_cndmask_b32_e64 v15, 0, -1, s[0:1]
	v_cmp_eq_u32_e64 s[0:1], s37, v14
	v_cndmask_b32_e64 v14, v16, v15, s[0:1]
	v_add_co_u32_e64 v15, s[0:1], 2, v3
	v_subb_co_u32_e32 v11, vcc, v11, v13, vcc
	v_addc_co_u32_e64 v16, s[0:1], 0, v5, s[0:1]
	v_cmp_le_u32_e32 vcc, s37, v11
	v_add_co_u32_e64 v17, s[0:1], 1, v3
	v_cndmask_b32_e64 v13, 0, -1, vcc
	v_cmp_le_u32_e32 vcc, s36, v9
	v_addc_co_u32_e64 v18, s[0:1], 0, v5, s[0:1]
	v_cndmask_b32_e64 v9, 0, -1, vcc
	v_cmp_eq_u32_e32 vcc, s37, v11
	v_cmp_ne_u32_e64 s[0:1], 0, v14
	v_cndmask_b32_e32 v9, v13, v9, vcc
	v_cmp_ne_u32_e32 vcc, 0, v9
	v_cndmask_b32_e64 v9, v17, v15, s[0:1]
	v_cndmask_b32_e64 v14, v18, v16, s[0:1]
	v_cndmask_b32_e32 v3, v3, v9, vcc
	v_xor_b32_e32 v9, s35, v7
	v_xor_b32_e32 v7, s34, v7
	v_cndmask_b32_e32 v5, v5, v14, vcc
	v_xor_b32_e32 v3, v3, v7
	v_xor_b32_e32 v5, v5, v9
	v_sub_co_u32_e32 v14, vcc, v3, v7
	v_subb_co_u32_e32 v15, vcc, v5, v9, vcc
.LBB40_33:                              ;   in Loop: Header=BB40_23 Depth=2
	s_andn2_saveexec_b64 s[0:1], s[30:31]
	s_cbranch_execz .LBB40_35
; %bb.34:                               ;   in Loop: Header=BB40_23 Depth=2
	v_cvt_f32_u32_e32 v3, s53
	s_sub_i32 s16, 0, s53
	v_mov_b32_e32 v15, v2
	v_rcp_iflag_f32_e32 v3, v3
	v_mul_f32_e32 v3, 0x4f7ffffe, v3
	v_cvt_u32_f32_e32 v3, v3
	v_mul_lo_u32 v5, s16, v3
	v_mul_hi_u32 v5, v3, v5
	v_add_u32_e32 v3, v3, v5
	v_mul_hi_u32 v3, v12, v3
	v_mul_lo_u32 v5, v3, s53
	v_sub_u32_e32 v5, v12, v5
	v_add_u32_e32 v7, 1, v3
	v_subrev_u32_e32 v9, s53, v5
	v_cmp_le_u32_e32 vcc, s53, v5
	v_cndmask_b32_e32 v5, v5, v9, vcc
	v_cndmask_b32_e32 v3, v3, v7, vcc
	v_add_u32_e32 v7, 1, v3
	v_cmp_le_u32_e32 vcc, s53, v5
	v_cndmask_b32_e32 v14, v3, v7, vcc
.LBB40_35:                              ;   in Loop: Header=BB40_23 Depth=2
	s_or_b64 exec, exec, s[0:1]
	s_add_u32 s0, s43, s28
	s_addc_u32 s1, s44, s29
	s_add_i32 s16, s26, 4
	s_lshl_b64 s[28:29], s[16:17], 2
	s_add_u32 s30, s39, s28
	s_addc_u32 s31, s40, s29
	s_load_dword s55, s[30:31], 0x0
	s_load_dword s56, s[0:1], 0x0
                                        ; implicit-def: $vgpr16_vgpr17
	s_waitcnt lgkmcnt(0)
	s_ashr_i32 s0, s55, 31
	v_or_b32_e32 v3, s0, v15
	v_cmp_ne_u64_e32 vcc, 0, v[2:3]
	s_and_saveexec_b64 s[30:31], vcc
	s_xor_b64 s[30:31], exec, s[30:31]
	s_cbranch_execz .LBB40_37
; %bb.36:                               ;   in Loop: Header=BB40_23 Depth=2
	s_add_u32 s36, s55, s0
	s_mov_b32 s34, s0
	s_mov_b32 s35, s0
	s_addc_u32 s37, s0, s0
	s_xor_b64 s[36:37], s[36:37], s[34:35]
	v_cvt_f32_u32_e32 v3, s36
	v_cvt_f32_u32_e32 v5, s37
	s_sub_u32 s0, 0, s36
	s_subb_u32 s1, 0, s37
	v_mac_f32_e32 v3, 0x4f800000, v5
	v_rcp_f32_e32 v3, v3
	v_mul_f32_e32 v3, 0x5f7ffffc, v3
	v_mul_f32_e32 v5, 0x2f800000, v3
	v_trunc_f32_e32 v5, v5
	v_mac_f32_e32 v3, 0xcf800000, v5
	v_cvt_u32_f32_e32 v5, v5
	v_cvt_u32_f32_e32 v3, v3
	v_mul_lo_u32 v7, s0, v5
	v_mul_hi_u32 v11, s0, v3
	v_mul_lo_u32 v9, s1, v3
	v_add_u32_e32 v7, v11, v7
	v_mul_lo_u32 v13, s0, v3
	v_add_u32_e32 v7, v7, v9
	v_mul_lo_u32 v11, v3, v7
	v_mul_hi_u32 v16, v3, v13
	v_mul_hi_u32 v9, v3, v7
	v_add_co_u32_e32 v11, vcc, v16, v11
	v_addc_co_u32_e32 v9, vcc, 0, v9, vcc
	v_mul_hi_u32 v17, v5, v13
	v_mul_lo_u32 v13, v5, v13
	v_add_co_u32_e32 v11, vcc, v11, v13
	v_mul_hi_u32 v16, v5, v7
	v_addc_co_u32_e32 v9, vcc, v9, v17, vcc
	v_addc_co_u32_e32 v11, vcc, 0, v16, vcc
	v_mul_lo_u32 v7, v5, v7
	v_add_co_u32_e32 v7, vcc, v9, v7
	v_addc_co_u32_e32 v9, vcc, 0, v11, vcc
	v_add_co_u32_e32 v3, vcc, v3, v7
	v_addc_co_u32_e32 v5, vcc, v5, v9, vcc
	v_mul_lo_u32 v7, s0, v5
	v_mul_hi_u32 v9, s0, v3
	v_add_u32_e32 v7, v9, v7
	v_mul_lo_u32 v9, s1, v3
	v_add_u32_e32 v7, v7, v9
	v_mul_lo_u32 v11, s0, v3
	v_mul_hi_u32 v13, v5, v11
	v_mul_lo_u32 v16, v5, v11
	v_mul_lo_u32 v18, v3, v7
	v_mul_hi_u32 v11, v3, v11
	v_mul_hi_u32 v17, v3, v7
	v_add_co_u32_e32 v11, vcc, v11, v18
	v_addc_co_u32_e32 v17, vcc, 0, v17, vcc
	v_add_co_u32_e32 v11, vcc, v11, v16
	v_mul_hi_u32 v9, v5, v7
	v_addc_co_u32_e32 v11, vcc, v17, v13, vcc
	v_addc_co_u32_e32 v9, vcc, 0, v9, vcc
	v_mul_lo_u32 v7, v5, v7
	v_add_co_u32_e32 v7, vcc, v11, v7
	v_addc_co_u32_e32 v9, vcc, 0, v9, vcc
	v_add_co_u32_e32 v3, vcc, v3, v7
	v_addc_co_u32_e32 v5, vcc, v5, v9, vcc
	v_ashrrev_i32_e32 v7, 31, v15
	v_add_co_u32_e32 v9, vcc, v14, v7
	v_xor_b32_e32 v9, v9, v7
	v_addc_co_u32_e32 v11, vcc, v15, v7, vcc
	v_mad_u64_u32 v[16:17], s[0:1], v9, v5, 0
	v_mul_hi_u32 v13, v9, v3
	v_xor_b32_e32 v11, v11, v7
	v_add_co_u32_e32 v13, vcc, v13, v16
	v_addc_co_u32_e32 v15, vcc, 0, v17, vcc
	v_mad_u64_u32 v[18:19], s[0:1], v11, v3, 0
	v_add_co_u32_e32 v3, vcc, v13, v18
	v_mad_u64_u32 v[16:17], s[0:1], v11, v5, 0
	v_addc_co_u32_e32 v3, vcc, v15, v19, vcc
	v_addc_co_u32_e32 v5, vcc, 0, v17, vcc
	v_add_co_u32_e32 v3, vcc, v3, v16
	v_addc_co_u32_e32 v5, vcc, 0, v5, vcc
	v_mul_lo_u32 v13, s37, v3
	v_mul_lo_u32 v15, s36, v5
	v_mad_u64_u32 v[16:17], s[0:1], s36, v3, 0
	v_add3_u32 v13, v17, v15, v13
	v_sub_u32_e32 v15, v11, v13
	v_mov_b32_e32 v17, s37
	v_sub_co_u32_e32 v9, vcc, v9, v16
	v_subb_co_u32_e64 v15, s[0:1], v15, v17, vcc
	v_subrev_co_u32_e64 v16, s[0:1], s36, v9
	v_subbrev_co_u32_e64 v15, s[0:1], 0, v15, s[0:1]
	v_cmp_le_u32_e64 s[0:1], s37, v15
	v_cndmask_b32_e64 v17, 0, -1, s[0:1]
	v_cmp_le_u32_e64 s[0:1], s36, v16
	v_cndmask_b32_e64 v16, 0, -1, s[0:1]
	v_cmp_eq_u32_e64 s[0:1], s37, v15
	v_cndmask_b32_e64 v15, v17, v16, s[0:1]
	v_add_co_u32_e64 v16, s[0:1], 2, v3
	v_subb_co_u32_e32 v11, vcc, v11, v13, vcc
	v_addc_co_u32_e64 v17, s[0:1], 0, v5, s[0:1]
	v_cmp_le_u32_e32 vcc, s37, v11
	v_add_co_u32_e64 v18, s[0:1], 1, v3
	v_cndmask_b32_e64 v13, 0, -1, vcc
	v_cmp_le_u32_e32 vcc, s36, v9
	v_addc_co_u32_e64 v19, s[0:1], 0, v5, s[0:1]
	v_cndmask_b32_e64 v9, 0, -1, vcc
	v_cmp_eq_u32_e32 vcc, s37, v11
	v_cmp_ne_u32_e64 s[0:1], 0, v15
	v_cndmask_b32_e32 v9, v13, v9, vcc
	v_cmp_ne_u32_e32 vcc, 0, v9
	v_cndmask_b32_e64 v9, v18, v16, s[0:1]
	v_cndmask_b32_e64 v15, v19, v17, s[0:1]
	v_cndmask_b32_e32 v3, v3, v9, vcc
	v_xor_b32_e32 v9, s35, v7
	v_xor_b32_e32 v7, s34, v7
	v_cndmask_b32_e32 v5, v5, v15, vcc
	v_xor_b32_e32 v3, v3, v7
	v_xor_b32_e32 v5, v5, v9
	v_sub_co_u32_e32 v16, vcc, v3, v7
	v_subb_co_u32_e32 v17, vcc, v5, v9, vcc
.LBB40_37:                              ;   in Loop: Header=BB40_23 Depth=2
	s_andn2_saveexec_b64 s[0:1], s[30:31]
	s_cbranch_execz .LBB40_39
; %bb.38:                               ;   in Loop: Header=BB40_23 Depth=2
	v_cvt_f32_u32_e32 v3, s55
	s_sub_i32 s16, 0, s55
	v_mov_b32_e32 v17, v2
	v_rcp_iflag_f32_e32 v3, v3
	v_mul_f32_e32 v3, 0x4f7ffffe, v3
	v_cvt_u32_f32_e32 v3, v3
	v_mul_lo_u32 v5, s16, v3
	v_mul_hi_u32 v5, v3, v5
	v_add_u32_e32 v3, v3, v5
	v_mul_hi_u32 v3, v14, v3
	v_mul_lo_u32 v5, v3, s55
	v_sub_u32_e32 v5, v14, v5
	v_add_u32_e32 v7, 1, v3
	v_subrev_u32_e32 v9, s55, v5
	v_cmp_le_u32_e32 vcc, s55, v5
	v_cndmask_b32_e32 v5, v5, v9, vcc
	v_cndmask_b32_e32 v3, v3, v7, vcc
	v_add_u32_e32 v7, 1, v3
	v_cmp_le_u32_e32 vcc, s55, v5
	v_cndmask_b32_e32 v16, v3, v7, vcc
.LBB40_39:                              ;   in Loop: Header=BB40_23 Depth=2
	s_or_b64 exec, exec, s[0:1]
	s_add_u32 s0, s43, s28
	s_addc_u32 s1, s44, s29
	s_add_i32 s16, s26, 3
	s_lshl_b64 s[28:29], s[16:17], 2
	s_add_u32 s30, s39, s28
	s_addc_u32 s31, s40, s29
	s_load_dword s57, s[30:31], 0x0
	s_load_dword s58, s[0:1], 0x0
                                        ; implicit-def: $vgpr18_vgpr19
	s_waitcnt lgkmcnt(0)
	s_ashr_i32 s0, s57, 31
	v_or_b32_e32 v3, s0, v17
	v_cmp_ne_u64_e32 vcc, 0, v[2:3]
	s_and_saveexec_b64 s[30:31], vcc
	s_xor_b64 s[30:31], exec, s[30:31]
	s_cbranch_execz .LBB40_41
; %bb.40:                               ;   in Loop: Header=BB40_23 Depth=2
	s_add_u32 s36, s57, s0
	s_mov_b32 s34, s0
	s_mov_b32 s35, s0
	s_addc_u32 s37, s0, s0
	s_xor_b64 s[36:37], s[36:37], s[34:35]
	v_cvt_f32_u32_e32 v3, s36
	v_cvt_f32_u32_e32 v5, s37
	s_sub_u32 s0, 0, s36
	s_subb_u32 s1, 0, s37
	v_mac_f32_e32 v3, 0x4f800000, v5
	v_rcp_f32_e32 v3, v3
	v_mul_f32_e32 v3, 0x5f7ffffc, v3
	v_mul_f32_e32 v5, 0x2f800000, v3
	v_trunc_f32_e32 v5, v5
	v_mac_f32_e32 v3, 0xcf800000, v5
	v_cvt_u32_f32_e32 v5, v5
	v_cvt_u32_f32_e32 v3, v3
	v_mul_lo_u32 v7, s0, v5
	v_mul_hi_u32 v11, s0, v3
	v_mul_lo_u32 v9, s1, v3
	v_add_u32_e32 v7, v11, v7
	v_mul_lo_u32 v13, s0, v3
	v_add_u32_e32 v7, v7, v9
	v_mul_lo_u32 v11, v3, v7
	v_mul_hi_u32 v15, v3, v13
	v_mul_hi_u32 v9, v3, v7
	v_add_co_u32_e32 v11, vcc, v15, v11
	v_addc_co_u32_e32 v9, vcc, 0, v9, vcc
	v_mul_hi_u32 v18, v5, v13
	v_mul_lo_u32 v13, v5, v13
	v_add_co_u32_e32 v11, vcc, v11, v13
	v_mul_hi_u32 v15, v5, v7
	v_addc_co_u32_e32 v9, vcc, v9, v18, vcc
	v_addc_co_u32_e32 v11, vcc, 0, v15, vcc
	v_mul_lo_u32 v7, v5, v7
	v_add_co_u32_e32 v7, vcc, v9, v7
	v_addc_co_u32_e32 v9, vcc, 0, v11, vcc
	v_add_co_u32_e32 v3, vcc, v3, v7
	v_addc_co_u32_e32 v5, vcc, v5, v9, vcc
	v_mul_lo_u32 v7, s0, v5
	v_mul_hi_u32 v9, s0, v3
	v_add_u32_e32 v7, v9, v7
	v_mul_lo_u32 v9, s1, v3
	v_add_u32_e32 v7, v7, v9
	v_mul_lo_u32 v11, s0, v3
	v_mul_hi_u32 v13, v5, v11
	v_mul_lo_u32 v15, v5, v11
	v_mul_lo_u32 v19, v3, v7
	v_mul_hi_u32 v11, v3, v11
	v_mul_hi_u32 v18, v3, v7
	v_add_co_u32_e32 v11, vcc, v11, v19
	v_addc_co_u32_e32 v18, vcc, 0, v18, vcc
	v_add_co_u32_e32 v11, vcc, v11, v15
	v_mul_hi_u32 v9, v5, v7
	v_addc_co_u32_e32 v11, vcc, v18, v13, vcc
	v_addc_co_u32_e32 v9, vcc, 0, v9, vcc
	v_mul_lo_u32 v7, v5, v7
	v_add_co_u32_e32 v7, vcc, v11, v7
	v_addc_co_u32_e32 v9, vcc, 0, v9, vcc
	v_add_co_u32_e32 v3, vcc, v3, v7
	v_addc_co_u32_e32 v5, vcc, v5, v9, vcc
	v_ashrrev_i32_e32 v7, 31, v17
	v_add_co_u32_e32 v9, vcc, v16, v7
	v_xor_b32_e32 v9, v9, v7
	v_addc_co_u32_e32 v11, vcc, v17, v7, vcc
	v_mad_u64_u32 v[18:19], s[0:1], v9, v5, 0
	v_mul_hi_u32 v13, v9, v3
	v_xor_b32_e32 v11, v11, v7
	v_add_co_u32_e32 v13, vcc, v13, v18
	v_addc_co_u32_e32 v15, vcc, 0, v19, vcc
	v_mad_u64_u32 v[20:21], s[0:1], v11, v3, 0
	v_add_co_u32_e32 v3, vcc, v13, v20
	v_mad_u64_u32 v[18:19], s[0:1], v11, v5, 0
	v_addc_co_u32_e32 v3, vcc, v15, v21, vcc
	v_addc_co_u32_e32 v5, vcc, 0, v19, vcc
	v_add_co_u32_e32 v3, vcc, v3, v18
	v_addc_co_u32_e32 v5, vcc, 0, v5, vcc
	v_mul_lo_u32 v13, s37, v3
	v_mul_lo_u32 v15, s36, v5
	v_mad_u64_u32 v[18:19], s[0:1], s36, v3, 0
	v_add3_u32 v13, v19, v15, v13
	v_sub_u32_e32 v15, v11, v13
	v_mov_b32_e32 v17, s37
	v_sub_co_u32_e32 v9, vcc, v9, v18
	v_subb_co_u32_e64 v15, s[0:1], v15, v17, vcc
	v_subrev_co_u32_e64 v17, s[0:1], s36, v9
	v_subbrev_co_u32_e64 v15, s[0:1], 0, v15, s[0:1]
	v_cmp_le_u32_e64 s[0:1], s37, v15
	v_cndmask_b32_e64 v18, 0, -1, s[0:1]
	v_cmp_le_u32_e64 s[0:1], s36, v17
	v_cndmask_b32_e64 v17, 0, -1, s[0:1]
	v_cmp_eq_u32_e64 s[0:1], s37, v15
	v_cndmask_b32_e64 v15, v18, v17, s[0:1]
	v_add_co_u32_e64 v17, s[0:1], 2, v3
	v_subb_co_u32_e32 v11, vcc, v11, v13, vcc
	v_addc_co_u32_e64 v18, s[0:1], 0, v5, s[0:1]
	v_cmp_le_u32_e32 vcc, s37, v11
	v_add_co_u32_e64 v19, s[0:1], 1, v3
	v_cndmask_b32_e64 v13, 0, -1, vcc
	v_cmp_le_u32_e32 vcc, s36, v9
	v_addc_co_u32_e64 v20, s[0:1], 0, v5, s[0:1]
	v_cndmask_b32_e64 v9, 0, -1, vcc
	v_cmp_eq_u32_e32 vcc, s37, v11
	v_cmp_ne_u32_e64 s[0:1], 0, v15
	v_cndmask_b32_e32 v9, v13, v9, vcc
	v_cmp_ne_u32_e32 vcc, 0, v9
	v_cndmask_b32_e64 v9, v19, v17, s[0:1]
	v_cndmask_b32_e64 v15, v20, v18, s[0:1]
	v_cndmask_b32_e32 v3, v3, v9, vcc
	v_xor_b32_e32 v9, s35, v7
	v_xor_b32_e32 v7, s34, v7
	v_cndmask_b32_e32 v5, v5, v15, vcc
	v_xor_b32_e32 v3, v3, v7
	v_xor_b32_e32 v5, v5, v9
	v_sub_co_u32_e32 v18, vcc, v3, v7
	v_subb_co_u32_e32 v19, vcc, v5, v9, vcc
.LBB40_41:                              ;   in Loop: Header=BB40_23 Depth=2
	s_andn2_saveexec_b64 s[0:1], s[30:31]
	s_cbranch_execz .LBB40_43
; %bb.42:                               ;   in Loop: Header=BB40_23 Depth=2
	v_cvt_f32_u32_e32 v3, s57
	s_sub_i32 s16, 0, s57
	v_mov_b32_e32 v19, v2
	v_rcp_iflag_f32_e32 v3, v3
	v_mul_f32_e32 v3, 0x4f7ffffe, v3
	v_cvt_u32_f32_e32 v3, v3
	v_mul_lo_u32 v5, s16, v3
	v_mul_hi_u32 v5, v3, v5
	v_add_u32_e32 v3, v3, v5
	v_mul_hi_u32 v3, v16, v3
	v_mul_lo_u32 v5, v3, s57
	v_sub_u32_e32 v5, v16, v5
	v_add_u32_e32 v7, 1, v3
	v_subrev_u32_e32 v9, s57, v5
	v_cmp_le_u32_e32 vcc, s57, v5
	v_cndmask_b32_e32 v5, v5, v9, vcc
	v_cndmask_b32_e32 v3, v3, v7, vcc
	v_add_u32_e32 v7, 1, v3
	v_cmp_le_u32_e32 vcc, s57, v5
	v_cndmask_b32_e32 v18, v3, v7, vcc
.LBB40_43:                              ;   in Loop: Header=BB40_23 Depth=2
	s_or_b64 exec, exec, s[0:1]
	s_add_u32 s0, s43, s28
	s_addc_u32 s1, s44, s29
	s_add_i32 s16, s26, 2
	s_lshl_b64 s[28:29], s[16:17], 2
	s_add_u32 s30, s39, s28
	s_addc_u32 s31, s40, s29
	s_load_dword s59, s[30:31], 0x0
	s_load_dword s60, s[0:1], 0x0
                                        ; implicit-def: $vgpr20_vgpr21
	s_waitcnt lgkmcnt(0)
	s_ashr_i32 s0, s59, 31
	v_or_b32_e32 v3, s0, v19
	v_cmp_ne_u64_e32 vcc, 0, v[2:3]
	s_and_saveexec_b64 s[30:31], vcc
	s_xor_b64 s[30:31], exec, s[30:31]
	s_cbranch_execz .LBB40_45
; %bb.44:                               ;   in Loop: Header=BB40_23 Depth=2
	s_add_u32 s36, s59, s0
	s_mov_b32 s34, s0
	s_mov_b32 s35, s0
	s_addc_u32 s37, s0, s0
	s_xor_b64 s[36:37], s[36:37], s[34:35]
	v_cvt_f32_u32_e32 v3, s36
	v_cvt_f32_u32_e32 v5, s37
	s_sub_u32 s0, 0, s36
	s_subb_u32 s1, 0, s37
	v_mac_f32_e32 v3, 0x4f800000, v5
	v_rcp_f32_e32 v3, v3
	v_mul_f32_e32 v3, 0x5f7ffffc, v3
	v_mul_f32_e32 v5, 0x2f800000, v3
	v_trunc_f32_e32 v5, v5
	v_mac_f32_e32 v3, 0xcf800000, v5
	v_cvt_u32_f32_e32 v5, v5
	v_cvt_u32_f32_e32 v3, v3
	v_mul_lo_u32 v7, s0, v5
	v_mul_hi_u32 v11, s0, v3
	v_mul_lo_u32 v9, s1, v3
	v_add_u32_e32 v7, v11, v7
	v_mul_lo_u32 v13, s0, v3
	v_add_u32_e32 v7, v7, v9
	v_mul_lo_u32 v11, v3, v7
	v_mul_hi_u32 v15, v3, v13
	v_mul_hi_u32 v9, v3, v7
	v_add_co_u32_e32 v11, vcc, v15, v11
	v_addc_co_u32_e32 v9, vcc, 0, v9, vcc
	v_mul_hi_u32 v17, v5, v13
	v_mul_lo_u32 v13, v5, v13
	v_add_co_u32_e32 v11, vcc, v11, v13
	v_mul_hi_u32 v15, v5, v7
	v_addc_co_u32_e32 v9, vcc, v9, v17, vcc
	v_addc_co_u32_e32 v11, vcc, 0, v15, vcc
	v_mul_lo_u32 v7, v5, v7
	v_add_co_u32_e32 v7, vcc, v9, v7
	v_addc_co_u32_e32 v9, vcc, 0, v11, vcc
	v_add_co_u32_e32 v3, vcc, v3, v7
	v_addc_co_u32_e32 v5, vcc, v5, v9, vcc
	v_mul_lo_u32 v7, s0, v5
	v_mul_hi_u32 v9, s0, v3
	v_add_u32_e32 v7, v9, v7
	v_mul_lo_u32 v9, s1, v3
	v_add_u32_e32 v7, v7, v9
	v_mul_lo_u32 v11, s0, v3
	v_mul_hi_u32 v13, v5, v11
	v_mul_lo_u32 v15, v5, v11
	v_mul_lo_u32 v20, v3, v7
	v_mul_hi_u32 v11, v3, v11
	v_mul_hi_u32 v17, v3, v7
	v_add_co_u32_e32 v11, vcc, v11, v20
	v_addc_co_u32_e32 v17, vcc, 0, v17, vcc
	v_add_co_u32_e32 v11, vcc, v11, v15
	v_mul_hi_u32 v9, v5, v7
	v_addc_co_u32_e32 v11, vcc, v17, v13, vcc
	v_addc_co_u32_e32 v9, vcc, 0, v9, vcc
	v_mul_lo_u32 v7, v5, v7
	v_add_co_u32_e32 v7, vcc, v11, v7
	v_addc_co_u32_e32 v9, vcc, 0, v9, vcc
	v_add_co_u32_e32 v3, vcc, v3, v7
	v_addc_co_u32_e32 v5, vcc, v5, v9, vcc
	v_ashrrev_i32_e32 v7, 31, v19
	v_add_co_u32_e32 v9, vcc, v18, v7
	v_xor_b32_e32 v9, v9, v7
	v_addc_co_u32_e32 v11, vcc, v19, v7, vcc
	v_mad_u64_u32 v[20:21], s[0:1], v9, v5, 0
	v_mul_hi_u32 v13, v9, v3
	v_xor_b32_e32 v11, v11, v7
	v_add_co_u32_e32 v13, vcc, v13, v20
	v_addc_co_u32_e32 v15, vcc, 0, v21, vcc
	v_mad_u64_u32 v[22:23], s[0:1], v11, v3, 0
	v_add_co_u32_e32 v3, vcc, v13, v22
	v_mad_u64_u32 v[20:21], s[0:1], v11, v5, 0
	v_addc_co_u32_e32 v3, vcc, v15, v23, vcc
	v_addc_co_u32_e32 v5, vcc, 0, v21, vcc
	v_add_co_u32_e32 v3, vcc, v3, v20
	v_addc_co_u32_e32 v5, vcc, 0, v5, vcc
	v_mul_lo_u32 v13, s37, v3
	v_mul_lo_u32 v15, s36, v5
	v_mad_u64_u32 v[20:21], s[0:1], s36, v3, 0
	v_add3_u32 v13, v21, v15, v13
	v_sub_u32_e32 v15, v11, v13
	v_mov_b32_e32 v17, s37
	v_sub_co_u32_e32 v9, vcc, v9, v20
	v_subb_co_u32_e64 v15, s[0:1], v15, v17, vcc
	v_subrev_co_u32_e64 v17, s[0:1], s36, v9
	v_subbrev_co_u32_e64 v15, s[0:1], 0, v15, s[0:1]
	v_cmp_le_u32_e64 s[0:1], s37, v15
	v_cndmask_b32_e64 v19, 0, -1, s[0:1]
	v_cmp_le_u32_e64 s[0:1], s36, v17
	v_cndmask_b32_e64 v17, 0, -1, s[0:1]
	v_cmp_eq_u32_e64 s[0:1], s37, v15
	v_cndmask_b32_e64 v15, v19, v17, s[0:1]
	v_add_co_u32_e64 v17, s[0:1], 2, v3
	v_subb_co_u32_e32 v11, vcc, v11, v13, vcc
	v_addc_co_u32_e64 v19, s[0:1], 0, v5, s[0:1]
	v_cmp_le_u32_e32 vcc, s37, v11
	v_add_co_u32_e64 v20, s[0:1], 1, v3
	v_cndmask_b32_e64 v13, 0, -1, vcc
	v_cmp_le_u32_e32 vcc, s36, v9
	v_addc_co_u32_e64 v21, s[0:1], 0, v5, s[0:1]
	v_cndmask_b32_e64 v9, 0, -1, vcc
	v_cmp_eq_u32_e32 vcc, s37, v11
	v_cmp_ne_u32_e64 s[0:1], 0, v15
	v_cndmask_b32_e32 v9, v13, v9, vcc
	v_cmp_ne_u32_e32 vcc, 0, v9
	v_cndmask_b32_e64 v9, v20, v17, s[0:1]
	v_cndmask_b32_e64 v15, v21, v19, s[0:1]
	v_cndmask_b32_e32 v3, v3, v9, vcc
	v_xor_b32_e32 v9, s35, v7
	v_xor_b32_e32 v7, s34, v7
	v_cndmask_b32_e32 v5, v5, v15, vcc
	v_xor_b32_e32 v3, v3, v7
	v_xor_b32_e32 v5, v5, v9
	v_sub_co_u32_e32 v20, vcc, v3, v7
	v_subb_co_u32_e32 v21, vcc, v5, v9, vcc
.LBB40_45:                              ;   in Loop: Header=BB40_23 Depth=2
	s_andn2_saveexec_b64 s[0:1], s[30:31]
	s_cbranch_execz .LBB40_47
; %bb.46:                               ;   in Loop: Header=BB40_23 Depth=2
	v_cvt_f32_u32_e32 v3, s59
	s_sub_i32 s16, 0, s59
	v_mov_b32_e32 v21, v2
	v_rcp_iflag_f32_e32 v3, v3
	v_mul_f32_e32 v3, 0x4f7ffffe, v3
	v_cvt_u32_f32_e32 v3, v3
	v_mul_lo_u32 v5, s16, v3
	v_mul_hi_u32 v5, v3, v5
	v_add_u32_e32 v3, v3, v5
	v_mul_hi_u32 v3, v18, v3
	v_mul_lo_u32 v5, v3, s59
	v_sub_u32_e32 v5, v18, v5
	v_add_u32_e32 v7, 1, v3
	v_subrev_u32_e32 v9, s59, v5
	v_cmp_le_u32_e32 vcc, s59, v5
	v_cndmask_b32_e32 v5, v5, v9, vcc
	v_cndmask_b32_e32 v3, v3, v7, vcc
	v_add_u32_e32 v7, 1, v3
	v_cmp_le_u32_e32 vcc, s59, v5
	v_cndmask_b32_e32 v20, v3, v7, vcc
.LBB40_47:                              ;   in Loop: Header=BB40_23 Depth=2
	s_or_b64 exec, exec, s[0:1]
	s_add_u32 s0, s43, s28
	s_addc_u32 s1, s44, s29
	s_add_i32 s16, s26, 1
	s_lshl_b64 s[28:29], s[16:17], 2
	s_add_u32 s30, s39, s28
	s_addc_u32 s31, s40, s29
	s_load_dword s16, s[30:31], 0x0
	s_load_dword s61, s[0:1], 0x0
                                        ; implicit-def: $vgpr22_vgpr23
	s_waitcnt lgkmcnt(0)
	s_ashr_i32 s0, s16, 31
	v_or_b32_e32 v3, s0, v21
	v_cmp_ne_u64_e32 vcc, 0, v[2:3]
	s_and_saveexec_b64 s[30:31], vcc
	s_xor_b64 s[30:31], exec, s[30:31]
	s_cbranch_execz .LBB40_49
; %bb.48:                               ;   in Loop: Header=BB40_23 Depth=2
	s_add_u32 s36, s16, s0
	s_mov_b32 s34, s0
	s_mov_b32 s35, s0
	s_addc_u32 s37, s0, s0
	s_xor_b64 s[36:37], s[36:37], s[34:35]
	v_cvt_f32_u32_e32 v3, s36
	v_cvt_f32_u32_e32 v5, s37
	s_sub_u32 s0, 0, s36
	s_subb_u32 s1, 0, s37
	v_mac_f32_e32 v3, 0x4f800000, v5
	v_rcp_f32_e32 v3, v3
	v_mul_f32_e32 v3, 0x5f7ffffc, v3
	v_mul_f32_e32 v5, 0x2f800000, v3
	v_trunc_f32_e32 v5, v5
	v_mac_f32_e32 v3, 0xcf800000, v5
	v_cvt_u32_f32_e32 v5, v5
	v_cvt_u32_f32_e32 v3, v3
	v_mul_lo_u32 v7, s0, v5
	v_mul_hi_u32 v11, s0, v3
	v_mul_lo_u32 v9, s1, v3
	v_add_u32_e32 v7, v11, v7
	v_mul_lo_u32 v13, s0, v3
	v_add_u32_e32 v7, v7, v9
	v_mul_lo_u32 v11, v3, v7
	v_mul_hi_u32 v15, v3, v13
	v_mul_hi_u32 v9, v3, v7
	v_add_co_u32_e32 v11, vcc, v15, v11
	v_addc_co_u32_e32 v9, vcc, 0, v9, vcc
	v_mul_hi_u32 v17, v5, v13
	v_mul_lo_u32 v13, v5, v13
	v_add_co_u32_e32 v11, vcc, v11, v13
	v_mul_hi_u32 v15, v5, v7
	v_addc_co_u32_e32 v9, vcc, v9, v17, vcc
	v_addc_co_u32_e32 v11, vcc, 0, v15, vcc
	v_mul_lo_u32 v7, v5, v7
	v_add_co_u32_e32 v7, vcc, v9, v7
	v_addc_co_u32_e32 v9, vcc, 0, v11, vcc
	v_add_co_u32_e32 v3, vcc, v3, v7
	v_addc_co_u32_e32 v5, vcc, v5, v9, vcc
	v_mul_lo_u32 v7, s0, v5
	v_mul_hi_u32 v9, s0, v3
	v_add_u32_e32 v7, v9, v7
	v_mul_lo_u32 v9, s1, v3
	v_add_u32_e32 v7, v7, v9
	v_mul_lo_u32 v11, s0, v3
	v_mul_hi_u32 v13, v5, v11
	v_mul_lo_u32 v15, v5, v11
	v_mul_lo_u32 v19, v3, v7
	v_mul_hi_u32 v11, v3, v11
	v_mul_hi_u32 v17, v3, v7
	v_add_co_u32_e32 v11, vcc, v11, v19
	v_addc_co_u32_e32 v17, vcc, 0, v17, vcc
	v_add_co_u32_e32 v11, vcc, v11, v15
	v_mul_hi_u32 v9, v5, v7
	v_addc_co_u32_e32 v11, vcc, v17, v13, vcc
	v_addc_co_u32_e32 v9, vcc, 0, v9, vcc
	v_mul_lo_u32 v7, v5, v7
	v_add_co_u32_e32 v7, vcc, v11, v7
	v_addc_co_u32_e32 v9, vcc, 0, v9, vcc
	v_add_co_u32_e32 v3, vcc, v3, v7
	v_addc_co_u32_e32 v5, vcc, v5, v9, vcc
	v_ashrrev_i32_e32 v7, 31, v21
	v_add_co_u32_e32 v9, vcc, v20, v7
	v_xor_b32_e32 v9, v9, v7
	v_addc_co_u32_e32 v11, vcc, v21, v7, vcc
	v_mad_u64_u32 v[22:23], s[0:1], v9, v5, 0
	v_mul_hi_u32 v13, v9, v3
	v_xor_b32_e32 v11, v11, v7
	v_add_co_u32_e32 v13, vcc, v13, v22
	v_addc_co_u32_e32 v15, vcc, 0, v23, vcc
	v_mad_u64_u32 v[24:25], s[0:1], v11, v3, 0
	v_add_co_u32_e32 v3, vcc, v13, v24
	v_mad_u64_u32 v[22:23], s[0:1], v11, v5, 0
	v_addc_co_u32_e32 v3, vcc, v15, v25, vcc
	v_addc_co_u32_e32 v5, vcc, 0, v23, vcc
	v_add_co_u32_e32 v3, vcc, v3, v22
	v_addc_co_u32_e32 v5, vcc, 0, v5, vcc
	v_mul_lo_u32 v13, s37, v3
	v_mul_lo_u32 v15, s36, v5
	v_mad_u64_u32 v[22:23], s[0:1], s36, v3, 0
	v_add3_u32 v13, v23, v15, v13
	v_sub_u32_e32 v15, v11, v13
	v_mov_b32_e32 v17, s37
	v_sub_co_u32_e32 v9, vcc, v9, v22
	v_subb_co_u32_e64 v15, s[0:1], v15, v17, vcc
	v_subrev_co_u32_e64 v17, s[0:1], s36, v9
	v_subbrev_co_u32_e64 v15, s[0:1], 0, v15, s[0:1]
	v_cmp_le_u32_e64 s[0:1], s37, v15
	v_cndmask_b32_e64 v19, 0, -1, s[0:1]
	v_cmp_le_u32_e64 s[0:1], s36, v17
	v_cndmask_b32_e64 v17, 0, -1, s[0:1]
	v_cmp_eq_u32_e64 s[0:1], s37, v15
	v_cndmask_b32_e64 v15, v19, v17, s[0:1]
	v_add_co_u32_e64 v17, s[0:1], 2, v3
	v_subb_co_u32_e32 v11, vcc, v11, v13, vcc
	v_addc_co_u32_e64 v19, s[0:1], 0, v5, s[0:1]
	v_cmp_le_u32_e32 vcc, s37, v11
	v_add_co_u32_e64 v21, s[0:1], 1, v3
	v_cndmask_b32_e64 v13, 0, -1, vcc
	v_cmp_le_u32_e32 vcc, s36, v9
	v_addc_co_u32_e64 v22, s[0:1], 0, v5, s[0:1]
	v_cndmask_b32_e64 v9, 0, -1, vcc
	v_cmp_eq_u32_e32 vcc, s37, v11
	v_cmp_ne_u32_e64 s[0:1], 0, v15
	v_cndmask_b32_e32 v9, v13, v9, vcc
	v_cmp_ne_u32_e32 vcc, 0, v9
	v_cndmask_b32_e64 v9, v21, v17, s[0:1]
	v_cndmask_b32_e64 v15, v22, v19, s[0:1]
	v_cndmask_b32_e32 v3, v3, v9, vcc
	v_xor_b32_e32 v9, s35, v7
	v_xor_b32_e32 v7, s34, v7
	v_cndmask_b32_e32 v5, v5, v15, vcc
	v_xor_b32_e32 v3, v3, v7
	v_xor_b32_e32 v5, v5, v9
	v_sub_co_u32_e32 v22, vcc, v3, v7
	v_subb_co_u32_e32 v23, vcc, v5, v9, vcc
.LBB40_49:                              ;   in Loop: Header=BB40_23 Depth=2
	s_andn2_saveexec_b64 s[0:1], s[30:31]
	s_cbranch_execz .LBB40_51
; %bb.50:                               ;   in Loop: Header=BB40_23 Depth=2
	v_cvt_f32_u32_e32 v3, s16
	s_sub_i32 s27, 0, s16
	v_mov_b32_e32 v23, v2
	v_rcp_iflag_f32_e32 v3, v3
	v_mul_f32_e32 v3, 0x4f7ffffe, v3
	v_cvt_u32_f32_e32 v3, v3
	v_mul_lo_u32 v5, s27, v3
	v_mul_hi_u32 v5, v3, v5
	v_add_u32_e32 v3, v3, v5
	v_mul_hi_u32 v3, v20, v3
	v_mul_lo_u32 v5, v3, s16
	v_sub_u32_e32 v5, v20, v5
	v_add_u32_e32 v7, 1, v3
	v_subrev_u32_e32 v9, s16, v5
	v_cmp_le_u32_e32 vcc, s16, v5
	v_cndmask_b32_e32 v5, v5, v9, vcc
	v_cndmask_b32_e32 v3, v3, v7, vcc
	v_add_u32_e32 v7, 1, v3
	v_cmp_le_u32_e32 vcc, s16, v5
	v_cndmask_b32_e32 v22, v3, v7, vcc
.LBB40_51:                              ;   in Loop: Header=BB40_23 Depth=2
	s_or_b64 exec, exec, s[0:1]
	s_add_u32 s0, s43, s28
	s_mov_b32 s27, s17
	s_addc_u32 s1, s44, s29
	s_lshl_b64 s[28:29], s[26:27], 2
	s_add_u32 s30, s39, s28
	s_addc_u32 s31, s40, s29
	s_load_dword s27, s[30:31], 0x0
	s_load_dword s62, s[0:1], 0x0
                                        ; implicit-def: $vgpr24_vgpr25
	s_waitcnt lgkmcnt(0)
	s_ashr_i32 s0, s27, 31
	v_or_b32_e32 v3, s0, v23
	v_cmp_ne_u64_e32 vcc, 0, v[2:3]
	s_and_saveexec_b64 s[30:31], vcc
	s_xor_b64 s[30:31], exec, s[30:31]
	s_cbranch_execz .LBB40_53
; %bb.52:                               ;   in Loop: Header=BB40_23 Depth=2
	s_add_u32 s36, s27, s0
	s_mov_b32 s34, s0
	s_mov_b32 s35, s0
	s_addc_u32 s37, s0, s0
	s_xor_b64 s[36:37], s[36:37], s[34:35]
	v_cvt_f32_u32_e32 v3, s36
	v_cvt_f32_u32_e32 v5, s37
	s_sub_u32 s0, 0, s36
	s_subb_u32 s1, 0, s37
	v_mac_f32_e32 v3, 0x4f800000, v5
	v_rcp_f32_e32 v3, v3
	v_mul_f32_e32 v3, 0x5f7ffffc, v3
	v_mul_f32_e32 v5, 0x2f800000, v3
	v_trunc_f32_e32 v5, v5
	v_mac_f32_e32 v3, 0xcf800000, v5
	v_cvt_u32_f32_e32 v5, v5
	v_cvt_u32_f32_e32 v3, v3
	v_mul_lo_u32 v7, s0, v5
	v_mul_hi_u32 v11, s0, v3
	v_mul_lo_u32 v9, s1, v3
	v_add_u32_e32 v7, v11, v7
	v_mul_lo_u32 v13, s0, v3
	v_add_u32_e32 v7, v7, v9
	v_mul_lo_u32 v11, v3, v7
	v_mul_hi_u32 v15, v3, v13
	v_mul_hi_u32 v9, v3, v7
	v_add_co_u32_e32 v11, vcc, v15, v11
	v_addc_co_u32_e32 v9, vcc, 0, v9, vcc
	v_mul_hi_u32 v17, v5, v13
	v_mul_lo_u32 v13, v5, v13
	v_add_co_u32_e32 v11, vcc, v11, v13
	v_mul_hi_u32 v15, v5, v7
	v_addc_co_u32_e32 v9, vcc, v9, v17, vcc
	v_addc_co_u32_e32 v11, vcc, 0, v15, vcc
	v_mul_lo_u32 v7, v5, v7
	v_add_co_u32_e32 v7, vcc, v9, v7
	v_addc_co_u32_e32 v9, vcc, 0, v11, vcc
	v_add_co_u32_e32 v3, vcc, v3, v7
	v_addc_co_u32_e32 v5, vcc, v5, v9, vcc
	v_mul_lo_u32 v7, s0, v5
	v_mul_hi_u32 v9, s0, v3
	v_add_u32_e32 v7, v9, v7
	v_mul_lo_u32 v9, s1, v3
	v_add_u32_e32 v7, v7, v9
	v_mul_lo_u32 v11, s0, v3
	v_mul_hi_u32 v13, v5, v11
	v_mul_lo_u32 v15, v5, v11
	v_mul_lo_u32 v19, v3, v7
	v_mul_hi_u32 v11, v3, v11
	v_mul_hi_u32 v17, v3, v7
	v_add_co_u32_e32 v11, vcc, v11, v19
	v_addc_co_u32_e32 v17, vcc, 0, v17, vcc
	v_add_co_u32_e32 v11, vcc, v11, v15
	v_mul_hi_u32 v9, v5, v7
	v_addc_co_u32_e32 v11, vcc, v17, v13, vcc
	v_addc_co_u32_e32 v9, vcc, 0, v9, vcc
	v_mul_lo_u32 v7, v5, v7
	v_add_co_u32_e32 v7, vcc, v11, v7
	v_addc_co_u32_e32 v9, vcc, 0, v9, vcc
	v_add_co_u32_e32 v3, vcc, v3, v7
	v_addc_co_u32_e32 v5, vcc, v5, v9, vcc
	v_ashrrev_i32_e32 v7, 31, v23
	v_add_co_u32_e32 v9, vcc, v22, v7
	v_xor_b32_e32 v9, v9, v7
	v_addc_co_u32_e32 v11, vcc, v23, v7, vcc
	v_mad_u64_u32 v[24:25], s[0:1], v9, v5, 0
	v_mul_hi_u32 v13, v9, v3
	v_xor_b32_e32 v11, v11, v7
	v_add_co_u32_e32 v13, vcc, v13, v24
	v_addc_co_u32_e32 v15, vcc, 0, v25, vcc
	v_mad_u64_u32 v[30:31], s[0:1], v11, v3, 0
	v_add_co_u32_e32 v3, vcc, v13, v30
	v_mad_u64_u32 v[24:25], s[0:1], v11, v5, 0
	v_addc_co_u32_e32 v3, vcc, v15, v31, vcc
	v_addc_co_u32_e32 v5, vcc, 0, v25, vcc
	v_add_co_u32_e32 v3, vcc, v3, v24
	v_addc_co_u32_e32 v5, vcc, 0, v5, vcc
	v_mul_lo_u32 v13, s37, v3
	v_mul_lo_u32 v15, s36, v5
	v_mad_u64_u32 v[24:25], s[0:1], s36, v3, 0
	v_add3_u32 v13, v25, v15, v13
	v_sub_u32_e32 v15, v11, v13
	v_mov_b32_e32 v17, s37
	v_sub_co_u32_e32 v9, vcc, v9, v24
	v_subb_co_u32_e64 v15, s[0:1], v15, v17, vcc
	v_subrev_co_u32_e64 v17, s[0:1], s36, v9
	v_subbrev_co_u32_e64 v15, s[0:1], 0, v15, s[0:1]
	v_cmp_le_u32_e64 s[0:1], s37, v15
	v_cndmask_b32_e64 v19, 0, -1, s[0:1]
	v_cmp_le_u32_e64 s[0:1], s36, v17
	v_cndmask_b32_e64 v17, 0, -1, s[0:1]
	v_cmp_eq_u32_e64 s[0:1], s37, v15
	v_cndmask_b32_e64 v15, v19, v17, s[0:1]
	v_add_co_u32_e64 v17, s[0:1], 2, v3
	v_subb_co_u32_e32 v11, vcc, v11, v13, vcc
	v_addc_co_u32_e64 v19, s[0:1], 0, v5, s[0:1]
	v_cmp_le_u32_e32 vcc, s37, v11
	v_add_co_u32_e64 v21, s[0:1], 1, v3
	v_cndmask_b32_e64 v13, 0, -1, vcc
	v_cmp_le_u32_e32 vcc, s36, v9
	v_addc_co_u32_e64 v23, s[0:1], 0, v5, s[0:1]
	v_cndmask_b32_e64 v9, 0, -1, vcc
	v_cmp_eq_u32_e32 vcc, s37, v11
	v_cmp_ne_u32_e64 s[0:1], 0, v15
	v_cndmask_b32_e32 v9, v13, v9, vcc
	v_cmp_ne_u32_e32 vcc, 0, v9
	v_cndmask_b32_e64 v9, v21, v17, s[0:1]
	v_cndmask_b32_e64 v15, v23, v19, s[0:1]
	v_cndmask_b32_e32 v3, v3, v9, vcc
	v_xor_b32_e32 v9, s35, v7
	v_xor_b32_e32 v7, s34, v7
	v_cndmask_b32_e32 v5, v5, v15, vcc
	v_xor_b32_e32 v3, v3, v7
	v_xor_b32_e32 v5, v5, v9
	v_sub_co_u32_e32 v24, vcc, v3, v7
	v_subb_co_u32_e32 v25, vcc, v5, v9, vcc
.LBB40_53:                              ;   in Loop: Header=BB40_23 Depth=2
	s_andn2_saveexec_b64 s[0:1], s[30:31]
	s_cbranch_execz .LBB40_55
; %bb.54:                               ;   in Loop: Header=BB40_23 Depth=2
	v_cvt_f32_u32_e32 v3, s27
	s_sub_i32 s30, 0, s27
	v_mov_b32_e32 v25, v2
	v_rcp_iflag_f32_e32 v3, v3
	v_mul_f32_e32 v3, 0x4f7ffffe, v3
	v_cvt_u32_f32_e32 v3, v3
	v_mul_lo_u32 v5, s30, v3
	v_mul_hi_u32 v5, v3, v5
	v_add_u32_e32 v3, v3, v5
	v_mul_hi_u32 v3, v22, v3
	v_mul_lo_u32 v5, v3, s27
	v_sub_u32_e32 v5, v22, v5
	v_add_u32_e32 v7, 1, v3
	v_subrev_u32_e32 v9, s27, v5
	v_cmp_le_u32_e32 vcc, s27, v5
	v_cndmask_b32_e32 v5, v5, v9, vcc
	v_cndmask_b32_e32 v3, v3, v7, vcc
	v_add_u32_e32 v7, 1, v3
	v_cmp_le_u32_e32 vcc, s27, v5
	v_cndmask_b32_e32 v24, v3, v7, vcc
.LBB40_55:                              ;   in Loop: Header=BB40_23 Depth=2
	s_or_b64 exec, exec, s[0:1]
	v_mul_lo_u32 v3, v10, s50
	v_mul_lo_u32 v5, v12, s51
	v_sub_u32_e32 v3, v8, v3
	v_sub_u32_e32 v5, v10, v5
	v_mul_lo_u32 v3, s52, v3
	v_mul_lo_u32 v5, s54, v5
	v_add3_u32 v3, v3, v4, v5
	v_mul_lo_u32 v4, v14, s53
	v_mul_lo_u32 v5, v16, s55
	v_sub_u32_e32 v4, v12, v4
	v_sub_u32_e32 v5, v14, v5
	s_add_u32 s0, s43, s28
	v_mul_lo_u32 v4, s56, v4
	v_mul_lo_u32 v5, s58, v5
	s_addc_u32 s1, s44, s29
	v_add3_u32 v3, v4, v3, v5
	v_mul_lo_u32 v4, v18, s57
	v_mul_lo_u32 v5, v20, s59
	s_load_dword s0, s[0:1], 0x0
	v_sub_u32_e32 v4, v16, v4
	v_sub_u32_e32 v5, v18, v5
	v_mul_lo_u32 v4, s60, v4
	v_mul_lo_u32 v5, s61, v5
	v_add3_u32 v3, v4, v3, v5
	v_mul_lo_u32 v4, v22, s16
	v_mul_lo_u32 v5, v24, s27
	v_sub_u32_e32 v4, v20, v4
	v_sub_u32_e32 v5, v22, v5
	v_mul_lo_u32 v4, s62, v4
	s_waitcnt lgkmcnt(0)
	v_mul_lo_u32 v5, s0, v5
	s_add_i32 s26, s26, -8
	s_cmp_eq_u32 s26, -8
	v_add3_u32 v4, v4, v3, v5
	s_cbranch_scc1 .LBB40_57
; %bb.56:                               ;   in Loop: Header=BB40_23 Depth=2
	v_pk_mov_b32 v[8:9], v[24:25], v[24:25] op_sel:[0,1]
	s_branch .LBB40_23
.LBB40_57:                              ;   in Loop: Header=BB40_3 Depth=1
	s_load_dword s16, s[14:15], 0x0
	s_waitcnt lgkmcnt(0)
	v_cmp_gt_i32_e32 vcc, s16, v28
	s_and_b64 exec, exec, vcc
	s_cbranch_execz .LBB40_2
; %bb.58:                               ;   in Loop: Header=BB40_3 Depth=1
	v_ashrrev_i32_e32 v7, 31, v6
	v_cmp_lt_i64_e32 vcc, s[8:9], v[6:7]
	s_and_saveexec_b64 s[0:1], vcc
	s_cbranch_execz .LBB40_60
; %bb.59:                               ;   in Loop: Header=BB40_3 Depth=1
	v_ashrrev_i32_e32 v5, 31, v4
	v_lshlrev_b64 v[6:7], 1, v[4:5]
	v_mov_b32_e32 v3, s3
	v_add_co_u32_e32 v6, vcc, s2, v6
	v_addc_co_u32_e32 v7, vcc, v3, v7, vcc
	global_store_short v[6:7], v2, off
.LBB40_60:                              ;   in Loop: Header=BB40_3 Depth=1
	s_or_b64 exec, exec, s[0:1]
	v_add_u32_e32 v3, 1, v28
	v_cmp_gt_i32_e32 vcc, s16, v3
	s_and_b64 exec, exec, vcc
	s_cbranch_execz .LBB40_2
; %bb.61:                               ;   in Loop: Header=BB40_3 Depth=1
	v_sub_u32_e32 v6, v3, v27
	v_ashrrev_i32_e32 v7, 31, v6
	v_cmp_lt_i64_e32 vcc, s[8:9], v[6:7]
	s_and_saveexec_b64 s[0:1], vcc
	s_cbranch_execz .LBB40_63
; %bb.62:                               ;   in Loop: Header=BB40_3 Depth=1
	v_add_u32_e32 v6, s49, v4
	v_ashrrev_i32_e32 v7, 31, v6
	v_lshlrev_b64 v[6:7], 1, v[6:7]
	v_mov_b32_e32 v3, s3
	v_add_co_u32_e32 v6, vcc, s2, v6
	v_addc_co_u32_e32 v7, vcc, v3, v7, vcc
	global_store_short v[6:7], v2, off
.LBB40_63:                              ;   in Loop: Header=BB40_3 Depth=1
	s_or_b64 exec, exec, s[0:1]
	v_add_u32_e32 v3, 2, v28
	v_cmp_gt_i32_e32 vcc, s16, v3
	s_and_b64 exec, exec, vcc
	s_cbranch_execz .LBB40_2
; %bb.64:                               ;   in Loop: Header=BB40_3 Depth=1
	v_sub_u32_e32 v6, v3, v27
	v_ashrrev_i32_e32 v7, 31, v6
	v_cmp_lt_i64_e32 vcc, s[8:9], v[6:7]
	s_and_saveexec_b64 s[0:1], vcc
	s_cbranch_execz .LBB40_66
; %bb.65:                               ;   in Loop: Header=BB40_3 Depth=1
	v_lshl_add_u32 v6, s49, 1, v4
	v_ashrrev_i32_e32 v7, 31, v6
	v_lshlrev_b64 v[6:7], 1, v[6:7]
	v_mov_b32_e32 v3, s3
	v_add_co_u32_e32 v6, vcc, s2, v6
	v_addc_co_u32_e32 v7, vcc, v3, v7, vcc
	global_store_short v[6:7], v2, off
.LBB40_66:                              ;   in Loop: Header=BB40_3 Depth=1
	s_or_b64 exec, exec, s[0:1]
	v_add_u32_e32 v3, 3, v28
	v_cmp_gt_i32_e32 vcc, s16, v3
	s_and_b64 exec, exec, vcc
	s_cbranch_execz .LBB40_2
; %bb.67:                               ;   in Loop: Header=BB40_3 Depth=1
	v_sub_u32_e32 v6, v3, v27
	v_ashrrev_i32_e32 v7, 31, v6
	v_cmp_lt_i64_e32 vcc, s[8:9], v[6:7]
	s_and_b64 exec, exec, vcc
	s_cbranch_execz .LBB40_2
; %bb.68:                               ;   in Loop: Header=BB40_3 Depth=1
	v_mad_u64_u32 v[4:5], s[0:1], s49, 3, v[4:5]
	v_ashrrev_i32_e32 v5, 31, v4
	v_lshlrev_b64 v[4:5], 1, v[4:5]
	v_mov_b32_e32 v3, s3
	v_add_co_u32_e32 v4, vcc, s2, v4
	v_addc_co_u32_e32 v5, vcc, v3, v5, vcc
	global_store_short v[4:5], v2, off
	s_branch .LBB40_2
.LBB40_69:
	s_endpgm
	.section	.rodata,"a",@progbits
	.p2align	6, 0x0
	.amdhsa_kernel _ZN2at6native16triu_tril_kernelIN3c104HalfEiLb0ELi4ELb1EEEvNS_4cuda6detail10TensorInfoIT_T0_EENS6_IKS7_S8_EEllS8_
		.amdhsa_group_segment_fixed_size 0
		.amdhsa_private_segment_fixed_size 0
		.amdhsa_kernarg_size 712
		.amdhsa_user_sgpr_count 6
		.amdhsa_user_sgpr_private_segment_buffer 1
		.amdhsa_user_sgpr_dispatch_ptr 0
		.amdhsa_user_sgpr_queue_ptr 0
		.amdhsa_user_sgpr_kernarg_segment_ptr 1
		.amdhsa_user_sgpr_dispatch_id 0
		.amdhsa_user_sgpr_flat_scratch_init 0
		.amdhsa_user_sgpr_kernarg_preload_length 0
		.amdhsa_user_sgpr_kernarg_preload_offset 0
		.amdhsa_user_sgpr_private_segment_size 0
		.amdhsa_uses_dynamic_stack 0
		.amdhsa_system_sgpr_private_segment_wavefront_offset 0
		.amdhsa_system_sgpr_workgroup_id_x 1
		.amdhsa_system_sgpr_workgroup_id_y 0
		.amdhsa_system_sgpr_workgroup_id_z 0
		.amdhsa_system_sgpr_workgroup_info 0
		.amdhsa_system_vgpr_workitem_id 0
		.amdhsa_next_free_vgpr 32
		.amdhsa_next_free_sgpr 63
		.amdhsa_accum_offset 32
		.amdhsa_reserve_vcc 1
		.amdhsa_reserve_flat_scratch 0
		.amdhsa_float_round_mode_32 0
		.amdhsa_float_round_mode_16_64 0
		.amdhsa_float_denorm_mode_32 3
		.amdhsa_float_denorm_mode_16_64 3
		.amdhsa_dx10_clamp 1
		.amdhsa_ieee_mode 1
		.amdhsa_fp16_overflow 0
		.amdhsa_tg_split 0
		.amdhsa_exception_fp_ieee_invalid_op 0
		.amdhsa_exception_fp_denorm_src 0
		.amdhsa_exception_fp_ieee_div_zero 0
		.amdhsa_exception_fp_ieee_overflow 0
		.amdhsa_exception_fp_ieee_underflow 0
		.amdhsa_exception_fp_ieee_inexact 0
		.amdhsa_exception_int_div_zero 0
	.end_amdhsa_kernel
	.section	.text._ZN2at6native16triu_tril_kernelIN3c104HalfEiLb0ELi4ELb1EEEvNS_4cuda6detail10TensorInfoIT_T0_EENS6_IKS7_S8_EEllS8_,"axG",@progbits,_ZN2at6native16triu_tril_kernelIN3c104HalfEiLb0ELi4ELb1EEEvNS_4cuda6detail10TensorInfoIT_T0_EENS6_IKS7_S8_EEllS8_,comdat
.Lfunc_end40:
	.size	_ZN2at6native16triu_tril_kernelIN3c104HalfEiLb0ELi4ELb1EEEvNS_4cuda6detail10TensorInfoIT_T0_EENS6_IKS7_S8_EEllS8_, .Lfunc_end40-_ZN2at6native16triu_tril_kernelIN3c104HalfEiLb0ELi4ELb1EEEvNS_4cuda6detail10TensorInfoIT_T0_EENS6_IKS7_S8_EEllS8_
                                        ; -- End function
	.section	.AMDGPU.csdata,"",@progbits
; Kernel info:
; codeLenInByte = 10296
; NumSgprs: 67
; NumVgprs: 32
; NumAgprs: 0
; TotalNumVgprs: 32
; ScratchSize: 0
; MemoryBound: 0
; FloatMode: 240
; IeeeMode: 1
; LDSByteSize: 0 bytes/workgroup (compile time only)
; SGPRBlocks: 8
; VGPRBlocks: 3
; NumSGPRsForWavesPerEU: 67
; NumVGPRsForWavesPerEU: 32
; AccumOffset: 32
; Occupancy: 8
; WaveLimiterHint : 0
; COMPUTE_PGM_RSRC2:SCRATCH_EN: 0
; COMPUTE_PGM_RSRC2:USER_SGPR: 6
; COMPUTE_PGM_RSRC2:TRAP_HANDLER: 0
; COMPUTE_PGM_RSRC2:TGID_X_EN: 1
; COMPUTE_PGM_RSRC2:TGID_Y_EN: 0
; COMPUTE_PGM_RSRC2:TGID_Z_EN: 0
; COMPUTE_PGM_RSRC2:TIDIG_COMP_CNT: 0
; COMPUTE_PGM_RSRC3_GFX90A:ACCUM_OFFSET: 7
; COMPUTE_PGM_RSRC3_GFX90A:TG_SPLIT: 0
	.section	.text._ZN2at6native16triu_tril_kernelIN3c104HalfEiLb0ELi4ELb0EEEvNS_4cuda6detail10TensorInfoIT_T0_EENS6_IKS7_S8_EEllS8_,"axG",@progbits,_ZN2at6native16triu_tril_kernelIN3c104HalfEiLb0ELi4ELb0EEEvNS_4cuda6detail10TensorInfoIT_T0_EENS6_IKS7_S8_EEllS8_,comdat
	.protected	_ZN2at6native16triu_tril_kernelIN3c104HalfEiLb0ELi4ELb0EEEvNS_4cuda6detail10TensorInfoIT_T0_EENS6_IKS7_S8_EEllS8_ ; -- Begin function _ZN2at6native16triu_tril_kernelIN3c104HalfEiLb0ELi4ELb0EEEvNS_4cuda6detail10TensorInfoIT_T0_EENS6_IKS7_S8_EEllS8_
	.globl	_ZN2at6native16triu_tril_kernelIN3c104HalfEiLb0ELi4ELb0EEEvNS_4cuda6detail10TensorInfoIT_T0_EENS6_IKS7_S8_EEllS8_
	.p2align	8
	.type	_ZN2at6native16triu_tril_kernelIN3c104HalfEiLb0ELi4ELb0EEEvNS_4cuda6detail10TensorInfoIT_T0_EENS6_IKS7_S8_EEllS8_,@function
_ZN2at6native16triu_tril_kernelIN3c104HalfEiLb0ELi4ELb0EEEvNS_4cuda6detail10TensorInfoIT_T0_EENS6_IKS7_S8_EEllS8_: ; @_ZN2at6native16triu_tril_kernelIN3c104HalfEiLb0ELi4ELb0EEEvNS_4cuda6detail10TensorInfoIT_T0_EENS6_IKS7_S8_EEllS8_
; %bb.0:
	s_load_dword s2, s[4:5], 0x1d4
	s_load_dwordx4 s[8:11], s[4:5], 0x1b0
	s_add_u32 s0, s4, 0x1c8
	v_mov_b32_e32 v2, 0
	s_addc_u32 s1, s5, 0
	s_waitcnt lgkmcnt(0)
	s_and_b32 s2, s2, 0xffff
	v_mov_b32_e32 v1, v2
	v_mov_b32_e32 v3, s6
	v_mad_u64_u32 v[0:1], s[6:7], s2, v3, v[0:1]
	v_lshlrev_b64 v[0:1], 2, v[0:1]
	v_cmp_gt_i64_e32 vcc, s[10:11], v[0:1]
	s_and_saveexec_b64 s[6:7], vcc
	s_cbranch_execz .LBB41_58
; %bb.1:
	s_load_dword s20, s[4:5], 0x1a8
	s_add_u32 s33, s4, 0xd8
	s_addc_u32 s42, s5, 0
	s_load_dword s3, s[0:1], 0x0
	s_load_dwordx2 s[6:7], s[4:5], 0xd8
	s_mov_b64 s[30:31], 0
	s_waitcnt lgkmcnt(0)
	s_ashr_i32 s21, s20, 31
	s_lshl_b64 s[0:1], s[20:21], 2
	s_add_u32 s18, s0, -8
	s_addc_u32 s19, s1, -1
	s_add_u32 s0, s33, s18
	s_addc_u32 s1, s42, s19
	s_load_dwordx2 s[12:13], s[0:1], 0x8
	s_load_dword s43, s[4:5], 0x1c0
	s_load_dwordx2 s[16:17], s[0:1], 0x6c
	s_mul_i32 s3, s3, s2
	v_cmp_gt_i64_e64 s[14:15], s[20:21], 2
	s_waitcnt lgkmcnt(0)
	s_ashr_i32 s44, s12, 31
	v_cvt_f32_u32_e32 v3, s43
	s_ashr_i32 s45, s43, 31
	s_add_u32 s46, s4, 0x6c
	s_addc_u32 s47, s5, 0
	v_rcp_iflag_f32_e32 v3, v3
	s_add_u32 s0, s46, s18
	s_addc_u32 s1, s47, s19
	s_load_dwordx2 s[18:19], s[0:1], 0x0
	v_mul_f32_e32 v3, 0x4f7ffffe, v3
	s_load_dwordx2 s[4:5], s[4:5], 0x0
	s_add_i32 s48, s20, -3
	s_lshl_b32 s49, s3, 2
	s_and_b32 s51, s20, 3
	v_cvt_u32_f32_e32 v22, v3
	s_cmp_lg_u32 s51, 2
	s_mov_b32 s21, 0
	s_cselect_b64 s[22:23], -1, 0
	s_cmp_gt_u32 s48, 2
	s_mov_b32 s50, s21
	s_cselect_b64 s[24:25], -1, 0
	s_ashr_i32 s27, s17, 31
	s_mov_b32 s26, s17
	s_waitcnt lgkmcnt(0)
	s_ashr_i32 s29, s19, 31
	s_mov_b32 s28, s19
	s_branch .LBB41_3
.LBB41_2:                               ;   in Loop: Header=BB41_3 Depth=1
	s_or_b64 exec, exec, s[0:1]
	v_mov_b32_e32 v3, s50
	v_add_co_u32_e32 v0, vcc, s49, v0
	v_addc_co_u32_e32 v1, vcc, v1, v3, vcc
	v_cmp_le_i64_e32 vcc, s[10:11], v[0:1]
	s_or_b64 s[30:31], vcc, s[30:31]
	s_andn2_b64 exec, exec, s[30:31]
	s_cbranch_execz .LBB41_58
.LBB41_3:                               ; =>This Loop Header: Depth=1
                                        ;     Child Loop BB41_37 Depth 2
                                        ;     Child Loop BB41_18 Depth 2
	v_or_b32_e32 v3, s45, v1
	v_cmp_ne_u64_e32 vcc, 0, v[2:3]
                                        ; implicit-def: $vgpr4_vgpr5
                                        ; implicit-def: $vgpr14_vgpr15
	s_and_saveexec_b64 s[0:1], vcc
	s_xor_b64 s[34:35], exec, s[0:1]
	s_cbranch_execz .LBB41_5
; %bb.4:                                ;   in Loop: Header=BB41_3 Depth=1
	s_add_u32 s0, s43, s45
	s_mov_b32 s2, s45
	s_mov_b32 s3, s45
	s_addc_u32 s1, s45, s45
	s_xor_b64 s[36:37], s[0:1], s[2:3]
	v_cvt_f32_u32_e32 v3, s36
	v_cvt_f32_u32_e32 v4, s37
	s_sub_u32 s0, 0, s36
	s_subb_u32 s1, 0, s37
	v_mac_f32_e32 v3, 0x4f800000, v4
	v_rcp_f32_e32 v3, v3
	v_mul_f32_e32 v3, 0x5f7ffffc, v3
	v_mul_f32_e32 v4, 0x2f800000, v3
	v_trunc_f32_e32 v4, v4
	v_mac_f32_e32 v3, 0xcf800000, v4
	v_cvt_u32_f32_e32 v4, v4
	v_cvt_u32_f32_e32 v3, v3
	v_mul_lo_u32 v5, s0, v4
	v_mul_hi_u32 v7, s0, v3
	v_mul_lo_u32 v6, s1, v3
	v_add_u32_e32 v5, v7, v5
	v_mul_lo_u32 v8, s0, v3
	v_add_u32_e32 v5, v5, v6
	v_mul_lo_u32 v7, v3, v5
	v_mul_hi_u32 v9, v3, v8
	v_mul_hi_u32 v6, v3, v5
	v_add_co_u32_e32 v7, vcc, v9, v7
	v_addc_co_u32_e32 v6, vcc, 0, v6, vcc
	v_mul_hi_u32 v10, v4, v8
	v_mul_lo_u32 v8, v4, v8
	v_add_co_u32_e32 v7, vcc, v7, v8
	v_mul_hi_u32 v9, v4, v5
	v_addc_co_u32_e32 v6, vcc, v6, v10, vcc
	v_addc_co_u32_e32 v7, vcc, 0, v9, vcc
	v_mul_lo_u32 v5, v4, v5
	v_add_co_u32_e32 v5, vcc, v6, v5
	v_addc_co_u32_e32 v6, vcc, 0, v7, vcc
	v_add_co_u32_e32 v3, vcc, v3, v5
	v_addc_co_u32_e32 v4, vcc, v4, v6, vcc
	v_mul_lo_u32 v5, s0, v4
	v_mul_hi_u32 v6, s0, v3
	v_add_u32_e32 v5, v6, v5
	v_mul_lo_u32 v6, s1, v3
	v_add_u32_e32 v5, v5, v6
	v_mul_lo_u32 v7, s0, v3
	v_mul_hi_u32 v8, v4, v7
	v_mul_lo_u32 v9, v4, v7
	v_mul_lo_u32 v11, v3, v5
	v_mul_hi_u32 v7, v3, v7
	v_mul_hi_u32 v10, v3, v5
	v_add_co_u32_e32 v7, vcc, v7, v11
	v_addc_co_u32_e32 v10, vcc, 0, v10, vcc
	v_add_co_u32_e32 v7, vcc, v7, v9
	v_mul_hi_u32 v6, v4, v5
	v_addc_co_u32_e32 v7, vcc, v10, v8, vcc
	v_addc_co_u32_e32 v6, vcc, 0, v6, vcc
	v_mul_lo_u32 v5, v4, v5
	v_add_co_u32_e32 v5, vcc, v7, v5
	v_addc_co_u32_e32 v6, vcc, 0, v6, vcc
	v_add_co_u32_e32 v3, vcc, v3, v5
	v_addc_co_u32_e32 v6, vcc, v4, v6, vcc
	v_ashrrev_i32_e32 v8, 31, v1
	v_add_co_u32_e32 v4, vcc, v0, v8
	v_addc_co_u32_e32 v5, vcc, v1, v8, vcc
	v_xor_b32_e32 v10, v4, v8
	v_xor_b32_e32 v9, v5, v8
	v_mad_u64_u32 v[4:5], s[0:1], v10, v6, 0
	v_mul_hi_u32 v7, v10, v3
	v_add_co_u32_e32 v11, vcc, v7, v4
	v_addc_co_u32_e32 v12, vcc, 0, v5, vcc
	v_mad_u64_u32 v[4:5], s[0:1], v9, v6, 0
	v_mad_u64_u32 v[6:7], s[0:1], v9, v3, 0
	v_add_co_u32_e32 v3, vcc, v11, v6
	v_addc_co_u32_e32 v3, vcc, v12, v7, vcc
	v_addc_co_u32_e32 v5, vcc, 0, v5, vcc
	v_add_co_u32_e32 v3, vcc, v3, v4
	v_addc_co_u32_e32 v6, vcc, 0, v5, vcc
	v_mul_lo_u32 v7, s37, v3
	v_mul_lo_u32 v11, s36, v6
	v_mad_u64_u32 v[4:5], s[0:1], s36, v3, 0
	v_add3_u32 v5, v5, v11, v7
	v_sub_u32_e32 v7, v9, v5
	v_mov_b32_e32 v11, s37
	v_sub_co_u32_e32 v4, vcc, v10, v4
	v_subb_co_u32_e64 v7, s[0:1], v7, v11, vcc
	v_subrev_co_u32_e64 v10, s[0:1], s36, v4
	v_subbrev_co_u32_e64 v7, s[0:1], 0, v7, s[0:1]
	v_cmp_le_u32_e64 s[0:1], s37, v7
	v_cndmask_b32_e64 v11, 0, -1, s[0:1]
	v_cmp_le_u32_e64 s[0:1], s36, v10
	v_cndmask_b32_e64 v12, 0, -1, s[0:1]
	v_cmp_eq_u32_e64 s[0:1], s37, v7
	v_cndmask_b32_e64 v7, v11, v12, s[0:1]
	v_add_co_u32_e64 v11, s[0:1], 2, v3
	v_addc_co_u32_e64 v12, s[0:1], 0, v6, s[0:1]
	v_add_co_u32_e64 v13, s[0:1], 1, v3
	v_subb_co_u32_e32 v5, vcc, v9, v5, vcc
	v_addc_co_u32_e64 v14, s[0:1], 0, v6, s[0:1]
	v_cmp_le_u32_e32 vcc, s37, v5
	v_cmp_ne_u32_e64 s[0:1], 0, v7
	v_cndmask_b32_e64 v9, 0, -1, vcc
	v_cmp_le_u32_e32 vcc, s36, v4
	v_cndmask_b32_e64 v7, v14, v12, s[0:1]
	v_cndmask_b32_e64 v12, 0, -1, vcc
	v_cmp_eq_u32_e32 vcc, s37, v5
	v_cndmask_b32_e32 v5, v9, v12, vcc
	v_cmp_ne_u32_e32 vcc, 0, v5
	v_cndmask_b32_e32 v5, v6, v7, vcc
	v_cndmask_b32_e64 v6, v13, v11, s[0:1]
	v_cndmask_b32_e32 v3, v3, v6, vcc
	v_xor_b32_e32 v7, s2, v8
	v_xor_b32_e32 v6, s3, v8
	;; [unrolled: 1-line block ×4, first 2 shown]
	v_sub_co_u32_e64 v14, s[2:3], v3, v7
	v_subb_co_u32_e64 v15, s[2:3], v5, v6, s[2:3]
	v_subrev_co_u32_e64 v3, s[2:3], s36, v10
	v_cndmask_b32_e64 v3, v10, v3, s[0:1]
	v_cndmask_b32_e32 v3, v4, v3, vcc
	v_xor_b32_e32 v3, v3, v8
	v_sub_co_u32_e32 v4, vcc, v3, v8
.LBB41_5:                               ;   in Loop: Header=BB41_3 Depth=1
	s_andn2_saveexec_b64 s[2:3], s[34:35]
	s_cbranch_execz .LBB41_7
; %bb.6:                                ;   in Loop: Header=BB41_3 Depth=1
	s_sub_i32 s0, 0, s43
	v_mul_lo_u32 v3, s0, v22
	v_mul_hi_u32 v3, v22, v3
	v_add_u32_e32 v3, v22, v3
	v_mul_hi_u32 v3, v0, v3
	v_mul_lo_u32 v4, v3, s43
	v_sub_u32_e32 v4, v0, v4
	v_subrev_u32_e32 v5, s43, v4
	v_cmp_le_u32_e32 vcc, s43, v4
	v_cndmask_b32_e32 v4, v4, v5, vcc
	v_subrev_u32_e32 v5, s43, v4
	v_cmp_le_u32_e64 s[0:1], s43, v4
	v_cndmask_b32_e64 v4, v4, v5, s[0:1]
	v_add_u32_e32 v5, 1, v3
	v_cndmask_b32_e32 v3, v3, v5, vcc
	v_add_u32_e32 v5, 1, v3
	v_cndmask_b32_e64 v14, v3, v5, s[0:1]
	v_mov_b32_e32 v15, v2
.LBB41_7:                               ;   in Loop: Header=BB41_3 Depth=1
	s_or_b64 exec, exec, s[2:3]
	v_or_b32_e32 v3, s44, v15
	v_cmp_ne_u64_e32 vcc, 0, v[2:3]
                                        ; implicit-def: $vgpr8_vgpr9
	s_and_saveexec_b64 s[0:1], vcc
	s_xor_b64 s[2:3], exec, s[0:1]
	s_cbranch_execz .LBB41_9
; %bb.8:                                ;   in Loop: Header=BB41_3 Depth=1
	s_add_u32 s34, s12, s44
	s_mov_b32 s0, s44
	s_mov_b32 s1, s44
	s_addc_u32 s35, s44, s44
	s_xor_b64 s[34:35], s[34:35], s[0:1]
	v_cvt_f32_u32_e32 v5, s34
	v_cvt_f32_u32_e32 v6, s35
	s_sub_u32 s0, 0, s34
	s_subb_u32 s1, 0, s35
	v_mac_f32_e32 v5, 0x4f800000, v6
	v_rcp_f32_e32 v5, v5
	v_mul_f32_e32 v5, 0x5f7ffffc, v5
	v_mul_f32_e32 v6, 0x2f800000, v5
	v_trunc_f32_e32 v6, v6
	v_mac_f32_e32 v5, 0xcf800000, v6
	v_cvt_u32_f32_e32 v6, v6
	v_cvt_u32_f32_e32 v5, v5
	v_mul_lo_u32 v7, s0, v6
	v_mul_hi_u32 v9, s0, v5
	v_mul_lo_u32 v8, s1, v5
	v_add_u32_e32 v7, v9, v7
	v_mul_lo_u32 v10, s0, v5
	v_add_u32_e32 v7, v7, v8
	v_mul_lo_u32 v9, v5, v7
	v_mul_hi_u32 v11, v5, v10
	v_mul_hi_u32 v8, v5, v7
	v_add_co_u32_e32 v9, vcc, v11, v9
	v_addc_co_u32_e32 v8, vcc, 0, v8, vcc
	v_mul_hi_u32 v12, v6, v10
	v_mul_lo_u32 v10, v6, v10
	v_add_co_u32_e32 v9, vcc, v9, v10
	v_mul_hi_u32 v11, v6, v7
	v_addc_co_u32_e32 v8, vcc, v8, v12, vcc
	v_addc_co_u32_e32 v9, vcc, 0, v11, vcc
	v_mul_lo_u32 v7, v6, v7
	v_add_co_u32_e32 v7, vcc, v8, v7
	v_addc_co_u32_e32 v8, vcc, 0, v9, vcc
	v_add_co_u32_e32 v5, vcc, v5, v7
	v_addc_co_u32_e32 v6, vcc, v6, v8, vcc
	v_mul_lo_u32 v7, s0, v6
	v_mul_hi_u32 v8, s0, v5
	v_add_u32_e32 v7, v8, v7
	v_mul_lo_u32 v8, s1, v5
	v_add_u32_e32 v7, v7, v8
	v_mul_lo_u32 v9, s0, v5
	v_mul_hi_u32 v10, v6, v9
	v_mul_lo_u32 v11, v6, v9
	v_mul_lo_u32 v13, v5, v7
	v_mul_hi_u32 v9, v5, v9
	v_mul_hi_u32 v12, v5, v7
	v_add_co_u32_e32 v9, vcc, v9, v13
	v_addc_co_u32_e32 v12, vcc, 0, v12, vcc
	v_add_co_u32_e32 v9, vcc, v9, v11
	v_mul_hi_u32 v8, v6, v7
	v_addc_co_u32_e32 v9, vcc, v12, v10, vcc
	v_addc_co_u32_e32 v8, vcc, 0, v8, vcc
	v_mul_lo_u32 v7, v6, v7
	v_add_co_u32_e32 v7, vcc, v9, v7
	v_addc_co_u32_e32 v8, vcc, 0, v8, vcc
	v_add_co_u32_e32 v5, vcc, v5, v7
	v_addc_co_u32_e32 v8, vcc, v6, v8, vcc
	v_ashrrev_i32_e32 v10, 31, v15
	v_add_co_u32_e32 v6, vcc, v14, v10
	v_addc_co_u32_e32 v7, vcc, v15, v10, vcc
	v_xor_b32_e32 v12, v6, v10
	v_xor_b32_e32 v11, v7, v10
	v_mad_u64_u32 v[6:7], s[0:1], v12, v8, 0
	v_mul_hi_u32 v9, v12, v5
	v_add_co_u32_e32 v13, vcc, v9, v6
	v_addc_co_u32_e32 v16, vcc, 0, v7, vcc
	v_mad_u64_u32 v[6:7], s[0:1], v11, v8, 0
	v_mad_u64_u32 v[8:9], s[0:1], v11, v5, 0
	v_add_co_u32_e32 v5, vcc, v13, v8
	v_addc_co_u32_e32 v5, vcc, v16, v9, vcc
	v_addc_co_u32_e32 v7, vcc, 0, v7, vcc
	v_add_co_u32_e32 v5, vcc, v5, v6
	v_addc_co_u32_e32 v6, vcc, 0, v7, vcc
	v_mul_lo_u32 v8, s35, v5
	v_mul_lo_u32 v9, s34, v6
	v_mad_u64_u32 v[6:7], s[0:1], s34, v5, 0
	v_add3_u32 v5, v7, v9, v8
	v_sub_u32_e32 v7, v11, v5
	v_mov_b32_e32 v8, s35
	v_sub_co_u32_e32 v6, vcc, v12, v6
	v_subb_co_u32_e64 v7, s[0:1], v7, v8, vcc
	v_subrev_co_u32_e64 v8, s[0:1], s34, v6
	v_subbrev_co_u32_e64 v7, s[0:1], 0, v7, s[0:1]
	v_cmp_le_u32_e64 s[0:1], s35, v7
	v_subb_co_u32_e32 v5, vcc, v11, v5, vcc
	v_cndmask_b32_e64 v9, 0, -1, s[0:1]
	v_cmp_le_u32_e64 s[0:1], s34, v8
	v_cmp_le_u32_e32 vcc, s35, v5
	v_cndmask_b32_e64 v12, 0, -1, s[0:1]
	v_cmp_eq_u32_e64 s[0:1], s35, v7
	v_cndmask_b32_e64 v11, 0, -1, vcc
	v_cmp_le_u32_e32 vcc, s34, v6
	v_cndmask_b32_e64 v7, v9, v12, s[0:1]
	v_cndmask_b32_e64 v12, 0, -1, vcc
	v_cmp_eq_u32_e32 vcc, s35, v5
	v_subrev_co_u32_e64 v9, s[0:1], s34, v8
	v_cndmask_b32_e32 v5, v11, v12, vcc
	v_cmp_ne_u32_e32 vcc, 0, v7
	v_cndmask_b32_e32 v7, v8, v9, vcc
	v_cmp_ne_u32_e32 vcc, 0, v5
	v_cndmask_b32_e32 v5, v6, v7, vcc
	v_xor_b32_e32 v5, v5, v10
	v_sub_co_u32_e32 v8, vcc, v5, v10
.LBB41_9:                               ;   in Loop: Header=BB41_3 Depth=1
	s_andn2_saveexec_b64 s[0:1], s[2:3]
	s_cbranch_execz .LBB41_11
; %bb.10:                               ;   in Loop: Header=BB41_3 Depth=1
	v_cvt_f32_u32_e32 v5, s12
	s_sub_i32 s2, 0, s12
	v_rcp_iflag_f32_e32 v5, v5
	v_mul_f32_e32 v5, 0x4f7ffffe, v5
	v_cvt_u32_f32_e32 v5, v5
	v_mul_lo_u32 v6, s2, v5
	v_mul_hi_u32 v6, v5, v6
	v_add_u32_e32 v5, v5, v6
	v_mul_hi_u32 v5, v14, v5
	v_mul_lo_u32 v5, v5, s12
	v_sub_u32_e32 v5, v14, v5
	v_subrev_u32_e32 v6, s12, v5
	v_cmp_le_u32_e32 vcc, s12, v5
	v_cndmask_b32_e32 v5, v5, v6, vcc
	v_subrev_u32_e32 v6, s12, v5
	v_cmp_le_u32_e32 vcc, s12, v5
	v_cndmask_b32_e32 v8, v5, v6, vcc
.LBB41_11:                              ;   in Loop: Header=BB41_3 Depth=1
	s_or_b64 exec, exec, s[0:1]
	v_mul_lo_u32 v6, s17, v4
	v_mad_u64_u32 v[10:11], s[0:1], s16, v8, v[6:7]
	v_mul_lo_u32 v6, s19, v4
	s_andn2_b64 vcc, exec, s[14:15]
	v_mad_u64_u32 v[6:7], s[0:1], s18, v8, v[6:7]
	s_cbranch_vccnz .LBB41_41
; %bb.12:                               ;   in Loop: Header=BB41_3 Depth=1
	v_cmp_ne_u64_e32 vcc, 0, v[2:3]
                                        ; implicit-def: $vgpr12_vgpr13
	s_and_saveexec_b64 s[0:1], vcc
	s_xor_b64 s[2:3], exec, s[0:1]
	s_cbranch_execz .LBB41_14
; %bb.13:                               ;   in Loop: Header=BB41_3 Depth=1
	s_add_u32 s0, s12, s44
	s_mov_b32 s34, s44
	s_mov_b32 s35, s44
	s_addc_u32 s1, s44, s44
	s_xor_b64 s[36:37], s[0:1], s[34:35]
	v_cvt_f32_u32_e32 v3, s36
	v_cvt_f32_u32_e32 v5, s37
	s_sub_u32 s0, 0, s36
	s_subb_u32 s1, 0, s37
	v_mac_f32_e32 v3, 0x4f800000, v5
	v_rcp_f32_e32 v3, v3
	v_mul_f32_e32 v3, 0x5f7ffffc, v3
	v_mul_f32_e32 v5, 0x2f800000, v3
	v_trunc_f32_e32 v5, v5
	v_mac_f32_e32 v3, 0xcf800000, v5
	v_cvt_u32_f32_e32 v5, v5
	v_cvt_u32_f32_e32 v3, v3
	v_mul_lo_u32 v7, s0, v5
	v_mul_hi_u32 v11, s0, v3
	v_mul_lo_u32 v9, s1, v3
	v_add_u32_e32 v7, v11, v7
	v_mul_lo_u32 v12, s0, v3
	v_add_u32_e32 v7, v7, v9
	v_mul_lo_u32 v11, v3, v7
	v_mul_hi_u32 v13, v3, v12
	v_mul_hi_u32 v9, v3, v7
	v_add_co_u32_e32 v11, vcc, v13, v11
	v_addc_co_u32_e32 v9, vcc, 0, v9, vcc
	v_mul_hi_u32 v16, v5, v12
	v_mul_lo_u32 v12, v5, v12
	v_add_co_u32_e32 v11, vcc, v11, v12
	v_mul_hi_u32 v13, v5, v7
	v_addc_co_u32_e32 v9, vcc, v9, v16, vcc
	v_addc_co_u32_e32 v11, vcc, 0, v13, vcc
	v_mul_lo_u32 v7, v5, v7
	v_add_co_u32_e32 v7, vcc, v9, v7
	v_addc_co_u32_e32 v9, vcc, 0, v11, vcc
	v_add_co_u32_e32 v3, vcc, v3, v7
	v_addc_co_u32_e32 v5, vcc, v5, v9, vcc
	v_mul_lo_u32 v7, s0, v5
	v_mul_hi_u32 v9, s0, v3
	v_add_u32_e32 v7, v9, v7
	v_mul_lo_u32 v9, s1, v3
	v_add_u32_e32 v7, v7, v9
	v_mul_lo_u32 v11, s0, v3
	v_mul_hi_u32 v12, v5, v11
	v_mul_lo_u32 v13, v5, v11
	v_mul_lo_u32 v17, v3, v7
	v_mul_hi_u32 v11, v3, v11
	v_mul_hi_u32 v16, v3, v7
	v_add_co_u32_e32 v11, vcc, v11, v17
	v_addc_co_u32_e32 v16, vcc, 0, v16, vcc
	v_add_co_u32_e32 v11, vcc, v11, v13
	v_mul_hi_u32 v9, v5, v7
	v_addc_co_u32_e32 v11, vcc, v16, v12, vcc
	v_addc_co_u32_e32 v9, vcc, 0, v9, vcc
	v_mul_lo_u32 v7, v5, v7
	v_add_co_u32_e32 v7, vcc, v11, v7
	v_addc_co_u32_e32 v9, vcc, 0, v9, vcc
	v_add_co_u32_e32 v3, vcc, v3, v7
	v_addc_co_u32_e32 v5, vcc, v5, v9, vcc
	v_ashrrev_i32_e32 v7, 31, v15
	v_add_co_u32_e32 v9, vcc, v14, v7
	v_xor_b32_e32 v9, v9, v7
	v_addc_co_u32_e32 v11, vcc, v15, v7, vcc
	v_mad_u64_u32 v[12:13], s[0:1], v9, v5, 0
	v_mul_hi_u32 v14, v9, v3
	v_xor_b32_e32 v11, v11, v7
	v_add_co_u32_e32 v16, vcc, v14, v12
	v_addc_co_u32_e32 v17, vcc, 0, v13, vcc
	v_mad_u64_u32 v[14:15], s[0:1], v11, v3, 0
	v_add_co_u32_e32 v3, vcc, v16, v14
	v_mad_u64_u32 v[12:13], s[0:1], v11, v5, 0
	v_addc_co_u32_e32 v3, vcc, v17, v15, vcc
	v_addc_co_u32_e32 v5, vcc, 0, v13, vcc
	v_add_co_u32_e32 v3, vcc, v3, v12
	v_addc_co_u32_e32 v5, vcc, 0, v5, vcc
	v_mul_lo_u32 v14, s37, v3
	v_mul_lo_u32 v15, s36, v5
	v_mad_u64_u32 v[12:13], s[0:1], s36, v3, 0
	v_add3_u32 v13, v13, v15, v14
	v_sub_u32_e32 v14, v11, v13
	v_mov_b32_e32 v15, s37
	v_sub_co_u32_e32 v9, vcc, v9, v12
	v_subb_co_u32_e64 v12, s[0:1], v14, v15, vcc
	v_subrev_co_u32_e64 v14, s[0:1], s36, v9
	v_subbrev_co_u32_e64 v12, s[0:1], 0, v12, s[0:1]
	v_cmp_le_u32_e64 s[0:1], s37, v12
	v_cndmask_b32_e64 v15, 0, -1, s[0:1]
	v_cmp_le_u32_e64 s[0:1], s36, v14
	v_cndmask_b32_e64 v14, 0, -1, s[0:1]
	v_cmp_eq_u32_e64 s[0:1], s37, v12
	v_cndmask_b32_e64 v12, v15, v14, s[0:1]
	v_add_co_u32_e64 v14, s[0:1], 2, v3
	v_subb_co_u32_e32 v11, vcc, v11, v13, vcc
	v_addc_co_u32_e64 v15, s[0:1], 0, v5, s[0:1]
	v_cmp_le_u32_e32 vcc, s37, v11
	v_add_co_u32_e64 v16, s[0:1], 1, v3
	v_cndmask_b32_e64 v13, 0, -1, vcc
	v_cmp_le_u32_e32 vcc, s36, v9
	v_addc_co_u32_e64 v17, s[0:1], 0, v5, s[0:1]
	v_cndmask_b32_e64 v9, 0, -1, vcc
	v_cmp_eq_u32_e32 vcc, s37, v11
	v_cmp_ne_u32_e64 s[0:1], 0, v12
	v_cndmask_b32_e32 v9, v13, v9, vcc
	v_cmp_ne_u32_e32 vcc, 0, v9
	v_cndmask_b32_e64 v9, v16, v14, s[0:1]
	v_cndmask_b32_e64 v12, v17, v15, s[0:1]
	v_cndmask_b32_e32 v3, v3, v9, vcc
	v_xor_b32_e32 v9, s35, v7
	v_xor_b32_e32 v7, s34, v7
	v_cndmask_b32_e32 v5, v5, v12, vcc
	v_xor_b32_e32 v3, v3, v7
	v_xor_b32_e32 v5, v5, v9
	v_sub_co_u32_e32 v12, vcc, v3, v7
	v_subb_co_u32_e32 v13, vcc, v5, v9, vcc
                                        ; implicit-def: $vgpr14_vgpr15
.LBB41_14:                              ;   in Loop: Header=BB41_3 Depth=1
	s_andn2_saveexec_b64 s[0:1], s[2:3]
	s_cbranch_execz .LBB41_16
; %bb.15:                               ;   in Loop: Header=BB41_3 Depth=1
	v_cvt_f32_u32_e32 v3, s12
	s_sub_i32 s2, 0, s12
	v_mov_b32_e32 v13, v2
	v_rcp_iflag_f32_e32 v3, v3
	v_mul_f32_e32 v3, 0x4f7ffffe, v3
	v_cvt_u32_f32_e32 v3, v3
	v_mul_lo_u32 v5, s2, v3
	v_mul_hi_u32 v5, v3, v5
	v_add_u32_e32 v3, v3, v5
	v_mul_hi_u32 v3, v14, v3
	v_mul_lo_u32 v5, v3, s12
	v_sub_u32_e32 v5, v14, v5
	v_add_u32_e32 v7, 1, v3
	v_subrev_u32_e32 v9, s12, v5
	v_cmp_le_u32_e32 vcc, s12, v5
	v_cndmask_b32_e32 v5, v5, v9, vcc
	v_cndmask_b32_e32 v3, v3, v7, vcc
	v_add_u32_e32 v7, 1, v3
	v_cmp_le_u32_e32 vcc, s12, v5
	v_cndmask_b32_e32 v12, v3, v7, vcc
.LBB41_16:                              ;   in Loop: Header=BB41_3 Depth=1
	s_or_b64 exec, exec, s[0:1]
	s_andn2_b64 vcc, exec, s[22:23]
	s_mov_b32 s52, 1
	s_mov_b32 s20, s48
	s_cbranch_vccz .LBB41_37
.LBB41_17:                              ;   in Loop: Header=BB41_3 Depth=1
	s_and_b64 vcc, exec, s[24:25]
	s_cbranch_vccz .LBB41_41
.LBB41_18:                              ;   Parent Loop BB41_3 Depth=1
                                        ; =>  This Inner Loop Header: Depth=2
	s_lshl_b64 s[2:3], s[20:21], 2
	s_add_u32 s34, s33, s2
	s_addc_u32 s35, s42, s3
	s_load_dword s52, s[34:35], 0x8
                                        ; implicit-def: $vgpr14_vgpr15
	s_waitcnt lgkmcnt(0)
	s_ashr_i32 s0, s52, 31
	v_or_b32_e32 v3, s0, v13
	v_cmp_ne_u64_e32 vcc, 0, v[2:3]
	s_and_saveexec_b64 s[36:37], vcc
	s_xor_b64 s[36:37], exec, s[36:37]
	s_cbranch_execz .LBB41_20
; %bb.19:                               ;   in Loop: Header=BB41_18 Depth=2
	s_add_u32 s40, s52, s0
	s_mov_b32 s38, s0
	s_mov_b32 s39, s0
	s_addc_u32 s41, s0, s0
	s_xor_b64 s[40:41], s[40:41], s[38:39]
	v_cvt_f32_u32_e32 v3, s40
	v_cvt_f32_u32_e32 v5, s41
	s_sub_u32 s0, 0, s40
	s_subb_u32 s1, 0, s41
	v_mac_f32_e32 v3, 0x4f800000, v5
	v_rcp_f32_e32 v3, v3
	v_mul_f32_e32 v3, 0x5f7ffffc, v3
	v_mul_f32_e32 v5, 0x2f800000, v3
	v_trunc_f32_e32 v5, v5
	v_mac_f32_e32 v3, 0xcf800000, v5
	v_cvt_u32_f32_e32 v5, v5
	v_cvt_u32_f32_e32 v3, v3
	v_mul_lo_u32 v7, s0, v5
	v_mul_hi_u32 v11, s0, v3
	v_mul_lo_u32 v9, s1, v3
	v_add_u32_e32 v7, v11, v7
	v_mul_lo_u32 v14, s0, v3
	v_add_u32_e32 v7, v7, v9
	v_mul_lo_u32 v11, v3, v7
	v_mul_hi_u32 v15, v3, v14
	v_mul_hi_u32 v9, v3, v7
	v_add_co_u32_e32 v11, vcc, v15, v11
	v_addc_co_u32_e32 v9, vcc, 0, v9, vcc
	v_mul_hi_u32 v16, v5, v14
	v_mul_lo_u32 v14, v5, v14
	v_add_co_u32_e32 v11, vcc, v11, v14
	v_mul_hi_u32 v15, v5, v7
	v_addc_co_u32_e32 v9, vcc, v9, v16, vcc
	v_addc_co_u32_e32 v11, vcc, 0, v15, vcc
	v_mul_lo_u32 v7, v5, v7
	v_add_co_u32_e32 v7, vcc, v9, v7
	v_addc_co_u32_e32 v9, vcc, 0, v11, vcc
	v_add_co_u32_e32 v3, vcc, v3, v7
	v_addc_co_u32_e32 v5, vcc, v5, v9, vcc
	v_mul_lo_u32 v7, s0, v5
	v_mul_hi_u32 v9, s0, v3
	v_add_u32_e32 v7, v9, v7
	v_mul_lo_u32 v9, s1, v3
	v_add_u32_e32 v7, v7, v9
	v_mul_lo_u32 v11, s0, v3
	v_mul_hi_u32 v14, v5, v11
	v_mul_lo_u32 v15, v5, v11
	v_mul_lo_u32 v17, v3, v7
	v_mul_hi_u32 v11, v3, v11
	v_mul_hi_u32 v16, v3, v7
	v_add_co_u32_e32 v11, vcc, v11, v17
	v_addc_co_u32_e32 v16, vcc, 0, v16, vcc
	v_add_co_u32_e32 v11, vcc, v11, v15
	v_mul_hi_u32 v9, v5, v7
	v_addc_co_u32_e32 v11, vcc, v16, v14, vcc
	v_addc_co_u32_e32 v9, vcc, 0, v9, vcc
	v_mul_lo_u32 v7, v5, v7
	v_add_co_u32_e32 v7, vcc, v11, v7
	v_addc_co_u32_e32 v9, vcc, 0, v9, vcc
	v_add_co_u32_e32 v3, vcc, v3, v7
	v_addc_co_u32_e32 v5, vcc, v5, v9, vcc
	v_ashrrev_i32_e32 v7, 31, v13
	v_add_co_u32_e32 v9, vcc, v12, v7
	v_xor_b32_e32 v9, v9, v7
	v_addc_co_u32_e32 v11, vcc, v13, v7, vcc
	v_mad_u64_u32 v[14:15], s[0:1], v9, v5, 0
	v_mul_hi_u32 v13, v9, v3
	v_xor_b32_e32 v11, v11, v7
	v_add_co_u32_e32 v13, vcc, v13, v14
	v_addc_co_u32_e32 v18, vcc, 0, v15, vcc
	v_mad_u64_u32 v[16:17], s[0:1], v11, v3, 0
	v_add_co_u32_e32 v3, vcc, v13, v16
	v_mad_u64_u32 v[14:15], s[0:1], v11, v5, 0
	v_addc_co_u32_e32 v3, vcc, v18, v17, vcc
	v_addc_co_u32_e32 v5, vcc, 0, v15, vcc
	v_add_co_u32_e32 v3, vcc, v3, v14
	v_addc_co_u32_e32 v5, vcc, 0, v5, vcc
	v_mul_lo_u32 v13, s41, v3
	v_mul_lo_u32 v16, s40, v5
	v_mad_u64_u32 v[14:15], s[0:1], s40, v3, 0
	v_add3_u32 v13, v15, v16, v13
	v_sub_u32_e32 v15, v11, v13
	v_mov_b32_e32 v16, s41
	v_sub_co_u32_e32 v9, vcc, v9, v14
	v_subb_co_u32_e64 v14, s[0:1], v15, v16, vcc
	v_subrev_co_u32_e64 v15, s[0:1], s40, v9
	v_subbrev_co_u32_e64 v14, s[0:1], 0, v14, s[0:1]
	v_cmp_le_u32_e64 s[0:1], s41, v14
	v_cndmask_b32_e64 v16, 0, -1, s[0:1]
	v_cmp_le_u32_e64 s[0:1], s40, v15
	v_cndmask_b32_e64 v15, 0, -1, s[0:1]
	v_cmp_eq_u32_e64 s[0:1], s41, v14
	v_cndmask_b32_e64 v14, v16, v15, s[0:1]
	v_add_co_u32_e64 v15, s[0:1], 2, v3
	v_subb_co_u32_e32 v11, vcc, v11, v13, vcc
	v_addc_co_u32_e64 v16, s[0:1], 0, v5, s[0:1]
	v_cmp_le_u32_e32 vcc, s41, v11
	v_add_co_u32_e64 v17, s[0:1], 1, v3
	v_cndmask_b32_e64 v13, 0, -1, vcc
	v_cmp_le_u32_e32 vcc, s40, v9
	v_addc_co_u32_e64 v18, s[0:1], 0, v5, s[0:1]
	v_cndmask_b32_e64 v9, 0, -1, vcc
	v_cmp_eq_u32_e32 vcc, s41, v11
	v_cmp_ne_u32_e64 s[0:1], 0, v14
	v_cndmask_b32_e32 v9, v13, v9, vcc
	v_cmp_ne_u32_e32 vcc, 0, v9
	v_cndmask_b32_e64 v9, v17, v15, s[0:1]
	v_cndmask_b32_e64 v14, v18, v16, s[0:1]
	v_cndmask_b32_e32 v3, v3, v9, vcc
	v_xor_b32_e32 v9, s39, v7
	v_xor_b32_e32 v7, s38, v7
	v_cndmask_b32_e32 v5, v5, v14, vcc
	v_xor_b32_e32 v3, v3, v7
	v_xor_b32_e32 v5, v5, v9
	v_sub_co_u32_e32 v14, vcc, v3, v7
	v_subb_co_u32_e32 v15, vcc, v5, v9, vcc
.LBB41_20:                              ;   in Loop: Header=BB41_18 Depth=2
	s_andn2_saveexec_b64 s[0:1], s[36:37]
	s_cbranch_execz .LBB41_22
; %bb.21:                               ;   in Loop: Header=BB41_18 Depth=2
	v_cvt_f32_u32_e32 v3, s52
	s_sub_i32 s36, 0, s52
	v_mov_b32_e32 v15, v2
	v_rcp_iflag_f32_e32 v3, v3
	v_mul_f32_e32 v3, 0x4f7ffffe, v3
	v_cvt_u32_f32_e32 v3, v3
	v_mul_lo_u32 v5, s36, v3
	v_mul_hi_u32 v5, v3, v5
	v_add_u32_e32 v3, v3, v5
	v_mul_hi_u32 v3, v12, v3
	v_mul_lo_u32 v5, v3, s52
	v_sub_u32_e32 v5, v12, v5
	v_add_u32_e32 v7, 1, v3
	v_subrev_u32_e32 v9, s52, v5
	v_cmp_le_u32_e32 vcc, s52, v5
	v_cndmask_b32_e32 v5, v5, v9, vcc
	v_cndmask_b32_e32 v3, v3, v7, vcc
	v_add_u32_e32 v7, 1, v3
	v_cmp_le_u32_e32 vcc, s52, v5
	v_cndmask_b32_e32 v14, v3, v7, vcc
.LBB41_22:                              ;   in Loop: Header=BB41_18 Depth=2
	s_or_b64 exec, exec, s[0:1]
	s_add_u32 s0, s46, s2
	s_addc_u32 s1, s47, s3
	s_add_i32 s2, s20, -1
	s_mov_b32 s3, s21
	s_lshl_b64 s[36:37], s[2:3], 2
	s_add_u32 s2, s33, s36
	s_addc_u32 s3, s42, s37
	s_load_dword s53, s[2:3], 0x8
	s_load_dword s54, s[34:35], 0x6c
	;; [unrolled: 1-line block ×3, first 2 shown]
                                        ; implicit-def: $vgpr16_vgpr17
	s_waitcnt lgkmcnt(0)
	s_ashr_i32 s0, s53, 31
	v_or_b32_e32 v3, s0, v15
	v_cmp_ne_u64_e32 vcc, 0, v[2:3]
	s_and_saveexec_b64 s[34:35], vcc
	s_xor_b64 s[34:35], exec, s[34:35]
	s_cbranch_execz .LBB41_24
; %bb.23:                               ;   in Loop: Header=BB41_18 Depth=2
	s_add_u32 s40, s53, s0
	s_mov_b32 s38, s0
	s_mov_b32 s39, s0
	s_addc_u32 s41, s0, s0
	s_xor_b64 s[40:41], s[40:41], s[38:39]
	v_cvt_f32_u32_e32 v3, s40
	v_cvt_f32_u32_e32 v5, s41
	s_sub_u32 s0, 0, s40
	s_subb_u32 s1, 0, s41
	v_mac_f32_e32 v3, 0x4f800000, v5
	v_rcp_f32_e32 v3, v3
	v_mul_f32_e32 v3, 0x5f7ffffc, v3
	v_mul_f32_e32 v5, 0x2f800000, v3
	v_trunc_f32_e32 v5, v5
	v_mac_f32_e32 v3, 0xcf800000, v5
	v_cvt_u32_f32_e32 v5, v5
	v_cvt_u32_f32_e32 v3, v3
	v_mul_lo_u32 v7, s0, v5
	v_mul_hi_u32 v11, s0, v3
	v_mul_lo_u32 v9, s1, v3
	v_add_u32_e32 v7, v11, v7
	v_mul_lo_u32 v13, s0, v3
	v_add_u32_e32 v7, v7, v9
	v_mul_lo_u32 v11, v3, v7
	v_mul_hi_u32 v16, v3, v13
	v_mul_hi_u32 v9, v3, v7
	v_add_co_u32_e32 v11, vcc, v16, v11
	v_addc_co_u32_e32 v9, vcc, 0, v9, vcc
	v_mul_hi_u32 v17, v5, v13
	v_mul_lo_u32 v13, v5, v13
	v_add_co_u32_e32 v11, vcc, v11, v13
	v_mul_hi_u32 v16, v5, v7
	v_addc_co_u32_e32 v9, vcc, v9, v17, vcc
	v_addc_co_u32_e32 v11, vcc, 0, v16, vcc
	v_mul_lo_u32 v7, v5, v7
	v_add_co_u32_e32 v7, vcc, v9, v7
	v_addc_co_u32_e32 v9, vcc, 0, v11, vcc
	v_add_co_u32_e32 v3, vcc, v3, v7
	v_addc_co_u32_e32 v5, vcc, v5, v9, vcc
	v_mul_lo_u32 v7, s0, v5
	v_mul_hi_u32 v9, s0, v3
	v_add_u32_e32 v7, v9, v7
	v_mul_lo_u32 v9, s1, v3
	v_add_u32_e32 v7, v7, v9
	v_mul_lo_u32 v11, s0, v3
	v_mul_hi_u32 v13, v5, v11
	v_mul_lo_u32 v16, v5, v11
	v_mul_lo_u32 v18, v3, v7
	v_mul_hi_u32 v11, v3, v11
	v_mul_hi_u32 v17, v3, v7
	v_add_co_u32_e32 v11, vcc, v11, v18
	v_addc_co_u32_e32 v17, vcc, 0, v17, vcc
	v_add_co_u32_e32 v11, vcc, v11, v16
	v_mul_hi_u32 v9, v5, v7
	v_addc_co_u32_e32 v11, vcc, v17, v13, vcc
	v_addc_co_u32_e32 v9, vcc, 0, v9, vcc
	v_mul_lo_u32 v7, v5, v7
	v_add_co_u32_e32 v7, vcc, v11, v7
	v_addc_co_u32_e32 v9, vcc, 0, v9, vcc
	v_add_co_u32_e32 v3, vcc, v3, v7
	v_addc_co_u32_e32 v5, vcc, v5, v9, vcc
	v_ashrrev_i32_e32 v7, 31, v15
	v_add_co_u32_e32 v9, vcc, v14, v7
	v_xor_b32_e32 v9, v9, v7
	v_addc_co_u32_e32 v11, vcc, v15, v7, vcc
	v_mad_u64_u32 v[16:17], s[0:1], v9, v5, 0
	v_mul_hi_u32 v13, v9, v3
	v_xor_b32_e32 v11, v11, v7
	v_add_co_u32_e32 v13, vcc, v13, v16
	v_addc_co_u32_e32 v15, vcc, 0, v17, vcc
	v_mad_u64_u32 v[18:19], s[0:1], v11, v3, 0
	v_add_co_u32_e32 v3, vcc, v13, v18
	v_mad_u64_u32 v[16:17], s[0:1], v11, v5, 0
	v_addc_co_u32_e32 v3, vcc, v15, v19, vcc
	v_addc_co_u32_e32 v5, vcc, 0, v17, vcc
	v_add_co_u32_e32 v3, vcc, v3, v16
	v_addc_co_u32_e32 v5, vcc, 0, v5, vcc
	v_mul_lo_u32 v13, s41, v3
	v_mul_lo_u32 v15, s40, v5
	v_mad_u64_u32 v[16:17], s[0:1], s40, v3, 0
	v_add3_u32 v13, v17, v15, v13
	v_sub_u32_e32 v15, v11, v13
	v_mov_b32_e32 v17, s41
	v_sub_co_u32_e32 v9, vcc, v9, v16
	v_subb_co_u32_e64 v15, s[0:1], v15, v17, vcc
	v_subrev_co_u32_e64 v16, s[0:1], s40, v9
	v_subbrev_co_u32_e64 v15, s[0:1], 0, v15, s[0:1]
	v_cmp_le_u32_e64 s[0:1], s41, v15
	v_cndmask_b32_e64 v17, 0, -1, s[0:1]
	v_cmp_le_u32_e64 s[0:1], s40, v16
	v_cndmask_b32_e64 v16, 0, -1, s[0:1]
	v_cmp_eq_u32_e64 s[0:1], s41, v15
	v_cndmask_b32_e64 v15, v17, v16, s[0:1]
	v_add_co_u32_e64 v16, s[0:1], 2, v3
	v_subb_co_u32_e32 v11, vcc, v11, v13, vcc
	v_addc_co_u32_e64 v17, s[0:1], 0, v5, s[0:1]
	v_cmp_le_u32_e32 vcc, s41, v11
	v_add_co_u32_e64 v18, s[0:1], 1, v3
	v_cndmask_b32_e64 v13, 0, -1, vcc
	v_cmp_le_u32_e32 vcc, s40, v9
	v_addc_co_u32_e64 v19, s[0:1], 0, v5, s[0:1]
	v_cndmask_b32_e64 v9, 0, -1, vcc
	v_cmp_eq_u32_e32 vcc, s41, v11
	v_cmp_ne_u32_e64 s[0:1], 0, v15
	v_cndmask_b32_e32 v9, v13, v9, vcc
	v_cmp_ne_u32_e32 vcc, 0, v9
	v_cndmask_b32_e64 v9, v18, v16, s[0:1]
	v_cndmask_b32_e64 v15, v19, v17, s[0:1]
	v_cndmask_b32_e32 v3, v3, v9, vcc
	v_xor_b32_e32 v9, s39, v7
	v_xor_b32_e32 v7, s38, v7
	v_cndmask_b32_e32 v5, v5, v15, vcc
	v_xor_b32_e32 v3, v3, v7
	v_xor_b32_e32 v5, v5, v9
	v_sub_co_u32_e32 v16, vcc, v3, v7
	v_subb_co_u32_e32 v17, vcc, v5, v9, vcc
.LBB41_24:                              ;   in Loop: Header=BB41_18 Depth=2
	s_andn2_saveexec_b64 s[0:1], s[34:35]
	s_cbranch_execz .LBB41_26
; %bb.25:                               ;   in Loop: Header=BB41_18 Depth=2
	v_cvt_f32_u32_e32 v3, s53
	s_sub_i32 s34, 0, s53
	v_mov_b32_e32 v17, v2
	v_rcp_iflag_f32_e32 v3, v3
	v_mul_f32_e32 v3, 0x4f7ffffe, v3
	v_cvt_u32_f32_e32 v3, v3
	v_mul_lo_u32 v5, s34, v3
	v_mul_hi_u32 v5, v3, v5
	v_add_u32_e32 v3, v3, v5
	v_mul_hi_u32 v3, v14, v3
	v_mul_lo_u32 v5, v3, s53
	v_sub_u32_e32 v5, v14, v5
	v_add_u32_e32 v7, 1, v3
	v_subrev_u32_e32 v9, s53, v5
	v_cmp_le_u32_e32 vcc, s53, v5
	v_cndmask_b32_e32 v5, v5, v9, vcc
	v_cndmask_b32_e32 v3, v3, v7, vcc
	v_add_u32_e32 v7, 1, v3
	v_cmp_le_u32_e32 vcc, s53, v5
	v_cndmask_b32_e32 v16, v3, v7, vcc
.LBB41_26:                              ;   in Loop: Header=BB41_18 Depth=2
	s_or_b64 exec, exec, s[0:1]
	s_add_u32 s0, s46, s36
	s_addc_u32 s1, s47, s37
	s_add_i32 s34, s20, -2
	s_mov_b32 s35, s21
	s_lshl_b64 s[34:35], s[34:35], 2
	s_add_u32 s36, s33, s34
	s_addc_u32 s37, s42, s35
	s_load_dword s56, s[36:37], 0x8
	s_load_dword s58, s[2:3], 0x6c
	s_load_dword s57, s[0:1], 0x0
                                        ; implicit-def: $vgpr18_vgpr19
	s_waitcnt lgkmcnt(0)
	s_ashr_i32 s0, s56, 31
	v_or_b32_e32 v3, s0, v17
	v_cmp_ne_u64_e32 vcc, 0, v[2:3]
	s_and_saveexec_b64 s[2:3], vcc
	s_xor_b64 s[2:3], exec, s[2:3]
	s_cbranch_execz .LBB41_28
; %bb.27:                               ;   in Loop: Header=BB41_18 Depth=2
	s_add_u32 s40, s56, s0
	s_mov_b32 s38, s0
	s_mov_b32 s39, s0
	s_addc_u32 s41, s0, s0
	s_xor_b64 s[40:41], s[40:41], s[38:39]
	v_cvt_f32_u32_e32 v3, s40
	v_cvt_f32_u32_e32 v5, s41
	s_sub_u32 s0, 0, s40
	s_subb_u32 s1, 0, s41
	v_mac_f32_e32 v3, 0x4f800000, v5
	v_rcp_f32_e32 v3, v3
	v_mul_f32_e32 v3, 0x5f7ffffc, v3
	v_mul_f32_e32 v5, 0x2f800000, v3
	v_trunc_f32_e32 v5, v5
	v_mac_f32_e32 v3, 0xcf800000, v5
	v_cvt_u32_f32_e32 v5, v5
	v_cvt_u32_f32_e32 v3, v3
	v_mul_lo_u32 v7, s0, v5
	v_mul_hi_u32 v11, s0, v3
	v_mul_lo_u32 v9, s1, v3
	v_add_u32_e32 v7, v11, v7
	v_mul_lo_u32 v13, s0, v3
	v_add_u32_e32 v7, v7, v9
	v_mul_lo_u32 v11, v3, v7
	v_mul_hi_u32 v15, v3, v13
	v_mul_hi_u32 v9, v3, v7
	v_add_co_u32_e32 v11, vcc, v15, v11
	v_addc_co_u32_e32 v9, vcc, 0, v9, vcc
	v_mul_hi_u32 v18, v5, v13
	v_mul_lo_u32 v13, v5, v13
	v_add_co_u32_e32 v11, vcc, v11, v13
	v_mul_hi_u32 v15, v5, v7
	v_addc_co_u32_e32 v9, vcc, v9, v18, vcc
	v_addc_co_u32_e32 v11, vcc, 0, v15, vcc
	v_mul_lo_u32 v7, v5, v7
	v_add_co_u32_e32 v7, vcc, v9, v7
	v_addc_co_u32_e32 v9, vcc, 0, v11, vcc
	v_add_co_u32_e32 v3, vcc, v3, v7
	v_addc_co_u32_e32 v5, vcc, v5, v9, vcc
	v_mul_lo_u32 v7, s0, v5
	v_mul_hi_u32 v9, s0, v3
	v_add_u32_e32 v7, v9, v7
	v_mul_lo_u32 v9, s1, v3
	v_add_u32_e32 v7, v7, v9
	v_mul_lo_u32 v11, s0, v3
	v_mul_hi_u32 v13, v5, v11
	v_mul_lo_u32 v15, v5, v11
	v_mul_lo_u32 v19, v3, v7
	v_mul_hi_u32 v11, v3, v11
	v_mul_hi_u32 v18, v3, v7
	v_add_co_u32_e32 v11, vcc, v11, v19
	v_addc_co_u32_e32 v18, vcc, 0, v18, vcc
	v_add_co_u32_e32 v11, vcc, v11, v15
	v_mul_hi_u32 v9, v5, v7
	v_addc_co_u32_e32 v11, vcc, v18, v13, vcc
	v_addc_co_u32_e32 v9, vcc, 0, v9, vcc
	v_mul_lo_u32 v7, v5, v7
	v_add_co_u32_e32 v7, vcc, v11, v7
	v_addc_co_u32_e32 v9, vcc, 0, v9, vcc
	v_add_co_u32_e32 v3, vcc, v3, v7
	v_addc_co_u32_e32 v5, vcc, v5, v9, vcc
	v_ashrrev_i32_e32 v7, 31, v17
	v_add_co_u32_e32 v9, vcc, v16, v7
	v_xor_b32_e32 v9, v9, v7
	v_addc_co_u32_e32 v11, vcc, v17, v7, vcc
	v_mad_u64_u32 v[18:19], s[0:1], v9, v5, 0
	v_mul_hi_u32 v13, v9, v3
	v_xor_b32_e32 v11, v11, v7
	v_add_co_u32_e32 v13, vcc, v13, v18
	v_addc_co_u32_e32 v15, vcc, 0, v19, vcc
	v_mad_u64_u32 v[20:21], s[0:1], v11, v3, 0
	v_add_co_u32_e32 v3, vcc, v13, v20
	v_mad_u64_u32 v[18:19], s[0:1], v11, v5, 0
	v_addc_co_u32_e32 v3, vcc, v15, v21, vcc
	v_addc_co_u32_e32 v5, vcc, 0, v19, vcc
	v_add_co_u32_e32 v3, vcc, v3, v18
	v_addc_co_u32_e32 v5, vcc, 0, v5, vcc
	v_mul_lo_u32 v13, s41, v3
	v_mul_lo_u32 v15, s40, v5
	v_mad_u64_u32 v[18:19], s[0:1], s40, v3, 0
	v_add3_u32 v13, v19, v15, v13
	v_sub_u32_e32 v15, v11, v13
	v_mov_b32_e32 v17, s41
	v_sub_co_u32_e32 v9, vcc, v9, v18
	v_subb_co_u32_e64 v15, s[0:1], v15, v17, vcc
	v_subrev_co_u32_e64 v17, s[0:1], s40, v9
	v_subbrev_co_u32_e64 v15, s[0:1], 0, v15, s[0:1]
	v_cmp_le_u32_e64 s[0:1], s41, v15
	v_cndmask_b32_e64 v18, 0, -1, s[0:1]
	v_cmp_le_u32_e64 s[0:1], s40, v17
	v_cndmask_b32_e64 v17, 0, -1, s[0:1]
	v_cmp_eq_u32_e64 s[0:1], s41, v15
	v_cndmask_b32_e64 v15, v18, v17, s[0:1]
	v_add_co_u32_e64 v17, s[0:1], 2, v3
	v_subb_co_u32_e32 v11, vcc, v11, v13, vcc
	v_addc_co_u32_e64 v18, s[0:1], 0, v5, s[0:1]
	v_cmp_le_u32_e32 vcc, s41, v11
	v_add_co_u32_e64 v19, s[0:1], 1, v3
	v_cndmask_b32_e64 v13, 0, -1, vcc
	v_cmp_le_u32_e32 vcc, s40, v9
	v_addc_co_u32_e64 v20, s[0:1], 0, v5, s[0:1]
	v_cndmask_b32_e64 v9, 0, -1, vcc
	v_cmp_eq_u32_e32 vcc, s41, v11
	v_cmp_ne_u32_e64 s[0:1], 0, v15
	v_cndmask_b32_e32 v9, v13, v9, vcc
	v_cmp_ne_u32_e32 vcc, 0, v9
	v_cndmask_b32_e64 v9, v19, v17, s[0:1]
	v_cndmask_b32_e64 v15, v20, v18, s[0:1]
	v_cndmask_b32_e32 v3, v3, v9, vcc
	v_xor_b32_e32 v9, s39, v7
	v_xor_b32_e32 v7, s38, v7
	v_cndmask_b32_e32 v5, v5, v15, vcc
	v_xor_b32_e32 v3, v3, v7
	v_xor_b32_e32 v5, v5, v9
	v_sub_co_u32_e32 v18, vcc, v3, v7
	v_subb_co_u32_e32 v19, vcc, v5, v9, vcc
.LBB41_28:                              ;   in Loop: Header=BB41_18 Depth=2
	s_andn2_saveexec_b64 s[0:1], s[2:3]
	s_cbranch_execz .LBB41_30
; %bb.29:                               ;   in Loop: Header=BB41_18 Depth=2
	v_cvt_f32_u32_e32 v3, s56
	s_sub_i32 s2, 0, s56
	v_mov_b32_e32 v19, v2
	v_rcp_iflag_f32_e32 v3, v3
	v_mul_f32_e32 v3, 0x4f7ffffe, v3
	v_cvt_u32_f32_e32 v3, v3
	v_mul_lo_u32 v5, s2, v3
	v_mul_hi_u32 v5, v3, v5
	v_add_u32_e32 v3, v3, v5
	v_mul_hi_u32 v3, v16, v3
	v_mul_lo_u32 v5, v3, s56
	v_sub_u32_e32 v5, v16, v5
	v_add_u32_e32 v7, 1, v3
	v_subrev_u32_e32 v9, s56, v5
	v_cmp_le_u32_e32 vcc, s56, v5
	v_cndmask_b32_e32 v5, v5, v9, vcc
	v_cndmask_b32_e32 v3, v3, v7, vcc
	v_add_u32_e32 v7, 1, v3
	v_cmp_le_u32_e32 vcc, s56, v5
	v_cndmask_b32_e32 v18, v3, v7, vcc
.LBB41_30:                              ;   in Loop: Header=BB41_18 Depth=2
	s_or_b64 exec, exec, s[0:1]
	s_add_u32 s0, s46, s34
	s_addc_u32 s1, s47, s35
	s_add_i32 s2, s20, -3
	s_mov_b32 s3, s21
	s_lshl_b64 s[2:3], s[2:3], 2
	s_add_u32 s34, s33, s2
	s_addc_u32 s35, s42, s3
	s_load_dword s59, s[34:35], 0x8
	s_load_dword s60, s[36:37], 0x6c
	;; [unrolled: 1-line block ×3, first 2 shown]
                                        ; implicit-def: $vgpr20_vgpr21
	s_waitcnt lgkmcnt(0)
	s_ashr_i32 s0, s59, 31
	v_or_b32_e32 v3, s0, v19
	v_cmp_ne_u64_e32 vcc, 0, v[2:3]
	s_and_saveexec_b64 s[36:37], vcc
	s_xor_b64 s[36:37], exec, s[36:37]
	s_cbranch_execz .LBB41_32
; %bb.31:                               ;   in Loop: Header=BB41_18 Depth=2
	s_add_u32 s40, s59, s0
	s_mov_b32 s38, s0
	s_mov_b32 s39, s0
	s_addc_u32 s41, s0, s0
	s_xor_b64 s[40:41], s[40:41], s[38:39]
	v_cvt_f32_u32_e32 v3, s40
	v_cvt_f32_u32_e32 v5, s41
	s_sub_u32 s0, 0, s40
	s_subb_u32 s1, 0, s41
	v_mac_f32_e32 v3, 0x4f800000, v5
	v_rcp_f32_e32 v3, v3
	v_mul_f32_e32 v3, 0x5f7ffffc, v3
	v_mul_f32_e32 v5, 0x2f800000, v3
	v_trunc_f32_e32 v5, v5
	v_mac_f32_e32 v3, 0xcf800000, v5
	v_cvt_u32_f32_e32 v5, v5
	v_cvt_u32_f32_e32 v3, v3
	v_mul_lo_u32 v7, s0, v5
	v_mul_hi_u32 v11, s0, v3
	v_mul_lo_u32 v9, s1, v3
	v_add_u32_e32 v7, v11, v7
	v_mul_lo_u32 v13, s0, v3
	v_add_u32_e32 v7, v7, v9
	v_mul_lo_u32 v11, v3, v7
	v_mul_hi_u32 v15, v3, v13
	v_mul_hi_u32 v9, v3, v7
	v_add_co_u32_e32 v11, vcc, v15, v11
	v_addc_co_u32_e32 v9, vcc, 0, v9, vcc
	v_mul_hi_u32 v17, v5, v13
	v_mul_lo_u32 v13, v5, v13
	v_add_co_u32_e32 v11, vcc, v11, v13
	v_mul_hi_u32 v15, v5, v7
	v_addc_co_u32_e32 v9, vcc, v9, v17, vcc
	v_addc_co_u32_e32 v11, vcc, 0, v15, vcc
	v_mul_lo_u32 v7, v5, v7
	v_add_co_u32_e32 v7, vcc, v9, v7
	v_addc_co_u32_e32 v9, vcc, 0, v11, vcc
	v_add_co_u32_e32 v3, vcc, v3, v7
	v_addc_co_u32_e32 v5, vcc, v5, v9, vcc
	v_mul_lo_u32 v7, s0, v5
	v_mul_hi_u32 v9, s0, v3
	v_add_u32_e32 v7, v9, v7
	v_mul_lo_u32 v9, s1, v3
	v_add_u32_e32 v7, v7, v9
	v_mul_lo_u32 v11, s0, v3
	v_mul_hi_u32 v13, v5, v11
	v_mul_lo_u32 v15, v5, v11
	v_mul_lo_u32 v20, v3, v7
	v_mul_hi_u32 v11, v3, v11
	v_mul_hi_u32 v17, v3, v7
	v_add_co_u32_e32 v11, vcc, v11, v20
	v_addc_co_u32_e32 v17, vcc, 0, v17, vcc
	v_add_co_u32_e32 v11, vcc, v11, v15
	v_mul_hi_u32 v9, v5, v7
	v_addc_co_u32_e32 v11, vcc, v17, v13, vcc
	v_addc_co_u32_e32 v9, vcc, 0, v9, vcc
	v_mul_lo_u32 v7, v5, v7
	v_add_co_u32_e32 v7, vcc, v11, v7
	v_addc_co_u32_e32 v9, vcc, 0, v9, vcc
	v_add_co_u32_e32 v3, vcc, v3, v7
	v_addc_co_u32_e32 v5, vcc, v5, v9, vcc
	v_ashrrev_i32_e32 v7, 31, v19
	v_add_co_u32_e32 v9, vcc, v18, v7
	v_xor_b32_e32 v9, v9, v7
	v_addc_co_u32_e32 v11, vcc, v19, v7, vcc
	v_mad_u64_u32 v[20:21], s[0:1], v9, v5, 0
	v_mul_hi_u32 v13, v9, v3
	v_xor_b32_e32 v11, v11, v7
	v_add_co_u32_e32 v13, vcc, v13, v20
	v_addc_co_u32_e32 v15, vcc, 0, v21, vcc
	v_mad_u64_u32 v[24:25], s[0:1], v11, v3, 0
	v_add_co_u32_e32 v3, vcc, v13, v24
	v_mad_u64_u32 v[20:21], s[0:1], v11, v5, 0
	v_addc_co_u32_e32 v3, vcc, v15, v25, vcc
	v_addc_co_u32_e32 v5, vcc, 0, v21, vcc
	v_add_co_u32_e32 v3, vcc, v3, v20
	v_addc_co_u32_e32 v5, vcc, 0, v5, vcc
	v_mul_lo_u32 v13, s41, v3
	v_mul_lo_u32 v15, s40, v5
	v_mad_u64_u32 v[20:21], s[0:1], s40, v3, 0
	v_add3_u32 v13, v21, v15, v13
	v_sub_u32_e32 v15, v11, v13
	v_mov_b32_e32 v17, s41
	v_sub_co_u32_e32 v9, vcc, v9, v20
	v_subb_co_u32_e64 v15, s[0:1], v15, v17, vcc
	v_subrev_co_u32_e64 v17, s[0:1], s40, v9
	v_subbrev_co_u32_e64 v15, s[0:1], 0, v15, s[0:1]
	v_cmp_le_u32_e64 s[0:1], s41, v15
	v_cndmask_b32_e64 v19, 0, -1, s[0:1]
	v_cmp_le_u32_e64 s[0:1], s40, v17
	v_cndmask_b32_e64 v17, 0, -1, s[0:1]
	v_cmp_eq_u32_e64 s[0:1], s41, v15
	v_cndmask_b32_e64 v15, v19, v17, s[0:1]
	v_add_co_u32_e64 v17, s[0:1], 2, v3
	v_subb_co_u32_e32 v11, vcc, v11, v13, vcc
	v_addc_co_u32_e64 v19, s[0:1], 0, v5, s[0:1]
	v_cmp_le_u32_e32 vcc, s41, v11
	v_add_co_u32_e64 v20, s[0:1], 1, v3
	v_cndmask_b32_e64 v13, 0, -1, vcc
	v_cmp_le_u32_e32 vcc, s40, v9
	v_addc_co_u32_e64 v21, s[0:1], 0, v5, s[0:1]
	v_cndmask_b32_e64 v9, 0, -1, vcc
	v_cmp_eq_u32_e32 vcc, s41, v11
	v_cmp_ne_u32_e64 s[0:1], 0, v15
	v_cndmask_b32_e32 v9, v13, v9, vcc
	v_cmp_ne_u32_e32 vcc, 0, v9
	v_cndmask_b32_e64 v9, v20, v17, s[0:1]
	v_cndmask_b32_e64 v15, v21, v19, s[0:1]
	v_cndmask_b32_e32 v3, v3, v9, vcc
	v_xor_b32_e32 v9, s39, v7
	v_xor_b32_e32 v7, s38, v7
	v_cndmask_b32_e32 v5, v5, v15, vcc
	v_xor_b32_e32 v3, v3, v7
	v_xor_b32_e32 v5, v5, v9
	v_sub_co_u32_e32 v20, vcc, v3, v7
	v_subb_co_u32_e32 v21, vcc, v5, v9, vcc
.LBB41_32:                              ;   in Loop: Header=BB41_18 Depth=2
	s_andn2_saveexec_b64 s[0:1], s[36:37]
	s_cbranch_execz .LBB41_34
; %bb.33:                               ;   in Loop: Header=BB41_18 Depth=2
	v_cvt_f32_u32_e32 v3, s59
	s_sub_i32 s36, 0, s59
	v_mov_b32_e32 v21, v2
	v_rcp_iflag_f32_e32 v3, v3
	v_mul_f32_e32 v3, 0x4f7ffffe, v3
	v_cvt_u32_f32_e32 v3, v3
	v_mul_lo_u32 v5, s36, v3
	v_mul_hi_u32 v5, v3, v5
	v_add_u32_e32 v3, v3, v5
	v_mul_hi_u32 v3, v18, v3
	v_mul_lo_u32 v5, v3, s59
	v_sub_u32_e32 v5, v18, v5
	v_add_u32_e32 v7, 1, v3
	v_subrev_u32_e32 v9, s59, v5
	v_cmp_le_u32_e32 vcc, s59, v5
	v_cndmask_b32_e32 v5, v5, v9, vcc
	v_cndmask_b32_e32 v3, v3, v7, vcc
	v_add_u32_e32 v7, 1, v3
	v_cmp_le_u32_e32 vcc, s59, v5
	v_cndmask_b32_e32 v20, v3, v7, vcc
.LBB41_34:                              ;   in Loop: Header=BB41_18 Depth=2
	s_or_b64 exec, exec, s[0:1]
	s_add_u32 s0, s46, s2
	v_mul_lo_u32 v3, v14, s52
	v_mul_lo_u32 v7, v16, s53
	s_load_dword s2, s[34:35], 0x6c
	s_addc_u32 s1, s47, s3
	s_load_dword s0, s[0:1], 0x0
	v_sub_u32_e32 v3, v12, v3
	v_sub_u32_e32 v7, v14, v7
	v_mul_lo_u32 v5, s54, v3
	v_mul_lo_u32 v3, s55, v3
	;; [unrolled: 1-line block ×4, first 2 shown]
	v_add3_u32 v5, v5, v10, v9
	v_add3_u32 v3, v3, v6, v7
	v_mul_lo_u32 v6, v18, s56
	v_mul_lo_u32 v9, v20, s59
	v_sub_u32_e32 v6, v16, v6
	v_sub_u32_e32 v9, v18, v9
	v_mul_lo_u32 v7, s60, v6
	s_waitcnt lgkmcnt(0)
	v_mul_lo_u32 v10, s2, v9
	v_mul_lo_u32 v6, s61, v6
	v_add3_u32 v10, v7, v5, v10
	v_mul_lo_u32 v5, s0, v9
	s_add_i32 s20, s20, -4
	s_cmp_eq_u32 s20, -1
	v_add3_u32 v6, v6, v3, v5
	s_cbranch_scc1 .LBB41_41
; %bb.35:                               ;   in Loop: Header=BB41_18 Depth=2
	v_pk_mov_b32 v[12:13], v[20:21], v[20:21] op_sel:[0,1]
	s_branch .LBB41_18
.LBB41_36:                              ;   in Loop: Header=BB41_37 Depth=2
	s_or_b64 exec, exec, s[0:1]
	s_load_dword s34, s[34:35], 0x6c
	s_add_u32 s0, s46, s2
	s_addc_u32 s1, s47, s3
	s_load_dword s2, s[0:1], 0x0
	v_mul_lo_u32 v3, v12, s53
	v_sub_u32_e32 v3, v14, v3
	s_waitcnt lgkmcnt(0)
	v_mad_u64_u32 v[10:11], s[0:1], s34, v3, v[10:11]
	s_add_i32 s20, s20, -1
	s_xor_b32 s0, s51, s52
	s_add_i32 s52, s52, 1
	s_cmp_lg_u32 s0, 2
	v_mad_u64_u32 v[6:7], s[0:1], s2, v3, v[6:7]
	s_cbranch_scc0 .LBB41_17
.LBB41_37:                              ;   Parent Loop BB41_3 Depth=1
                                        ; =>  This Inner Loop Header: Depth=2
	s_lshl_b64 s[2:3], s[20:21], 2
	s_add_u32 s34, s33, s2
	s_addc_u32 s35, s42, s3
	s_load_dword s53, s[34:35], 0x8
	v_pk_mov_b32 v[14:15], v[12:13], v[12:13] op_sel:[0,1]
                                        ; implicit-def: $vgpr12_vgpr13
	s_waitcnt lgkmcnt(0)
	s_ashr_i32 s0, s53, 31
	v_or_b32_e32 v3, s0, v15
	v_cmp_ne_u64_e32 vcc, 0, v[2:3]
	s_and_saveexec_b64 s[36:37], vcc
	s_xor_b64 s[36:37], exec, s[36:37]
	s_cbranch_execz .LBB41_39
; %bb.38:                               ;   in Loop: Header=BB41_37 Depth=2
	s_add_u32 s40, s53, s0
	s_mov_b32 s38, s0
	s_mov_b32 s39, s0
	s_addc_u32 s41, s0, s0
	s_xor_b64 s[40:41], s[40:41], s[38:39]
	v_cvt_f32_u32_e32 v3, s40
	v_cvt_f32_u32_e32 v5, s41
	s_sub_u32 s0, 0, s40
	s_subb_u32 s1, 0, s41
	v_mac_f32_e32 v3, 0x4f800000, v5
	v_rcp_f32_e32 v3, v3
	v_mul_f32_e32 v3, 0x5f7ffffc, v3
	v_mul_f32_e32 v5, 0x2f800000, v3
	v_trunc_f32_e32 v5, v5
	v_mac_f32_e32 v3, 0xcf800000, v5
	v_cvt_u32_f32_e32 v5, v5
	v_cvt_u32_f32_e32 v3, v3
	v_mul_lo_u32 v7, s0, v5
	v_mul_hi_u32 v11, s0, v3
	v_mul_lo_u32 v9, s1, v3
	v_add_u32_e32 v7, v11, v7
	v_mul_lo_u32 v12, s0, v3
	v_add_u32_e32 v7, v7, v9
	v_mul_lo_u32 v11, v3, v7
	v_mul_hi_u32 v13, v3, v12
	v_mul_hi_u32 v9, v3, v7
	v_add_co_u32_e32 v11, vcc, v13, v11
	v_addc_co_u32_e32 v9, vcc, 0, v9, vcc
	v_mul_hi_u32 v16, v5, v12
	v_mul_lo_u32 v12, v5, v12
	v_add_co_u32_e32 v11, vcc, v11, v12
	v_mul_hi_u32 v13, v5, v7
	v_addc_co_u32_e32 v9, vcc, v9, v16, vcc
	v_addc_co_u32_e32 v11, vcc, 0, v13, vcc
	v_mul_lo_u32 v7, v5, v7
	v_add_co_u32_e32 v7, vcc, v9, v7
	v_addc_co_u32_e32 v9, vcc, 0, v11, vcc
	v_add_co_u32_e32 v3, vcc, v3, v7
	v_addc_co_u32_e32 v5, vcc, v5, v9, vcc
	v_mul_lo_u32 v7, s0, v5
	v_mul_hi_u32 v9, s0, v3
	v_add_u32_e32 v7, v9, v7
	v_mul_lo_u32 v9, s1, v3
	v_add_u32_e32 v7, v7, v9
	v_mul_lo_u32 v11, s0, v3
	v_mul_hi_u32 v12, v5, v11
	v_mul_lo_u32 v13, v5, v11
	v_mul_lo_u32 v17, v3, v7
	v_mul_hi_u32 v11, v3, v11
	v_mul_hi_u32 v16, v3, v7
	v_add_co_u32_e32 v11, vcc, v11, v17
	v_addc_co_u32_e32 v16, vcc, 0, v16, vcc
	v_add_co_u32_e32 v11, vcc, v11, v13
	v_mul_hi_u32 v9, v5, v7
	v_addc_co_u32_e32 v11, vcc, v16, v12, vcc
	v_addc_co_u32_e32 v9, vcc, 0, v9, vcc
	v_mul_lo_u32 v7, v5, v7
	v_add_co_u32_e32 v7, vcc, v11, v7
	v_addc_co_u32_e32 v9, vcc, 0, v9, vcc
	v_add_co_u32_e32 v3, vcc, v3, v7
	v_addc_co_u32_e32 v5, vcc, v5, v9, vcc
	v_ashrrev_i32_e32 v7, 31, v15
	v_add_co_u32_e32 v9, vcc, v14, v7
	v_xor_b32_e32 v9, v9, v7
	v_addc_co_u32_e32 v11, vcc, v15, v7, vcc
	v_mad_u64_u32 v[12:13], s[0:1], v9, v5, 0
	v_mul_hi_u32 v15, v9, v3
	v_xor_b32_e32 v11, v11, v7
	v_add_co_u32_e32 v15, vcc, v15, v12
	v_addc_co_u32_e32 v18, vcc, 0, v13, vcc
	v_mad_u64_u32 v[16:17], s[0:1], v11, v3, 0
	v_add_co_u32_e32 v3, vcc, v15, v16
	v_mad_u64_u32 v[12:13], s[0:1], v11, v5, 0
	v_addc_co_u32_e32 v3, vcc, v18, v17, vcc
	v_addc_co_u32_e32 v5, vcc, 0, v13, vcc
	v_add_co_u32_e32 v3, vcc, v3, v12
	v_addc_co_u32_e32 v5, vcc, 0, v5, vcc
	v_mul_lo_u32 v15, s41, v3
	v_mul_lo_u32 v16, s40, v5
	v_mad_u64_u32 v[12:13], s[0:1], s40, v3, 0
	v_add3_u32 v13, v13, v16, v15
	v_sub_u32_e32 v15, v11, v13
	v_mov_b32_e32 v16, s41
	v_sub_co_u32_e32 v9, vcc, v9, v12
	v_subb_co_u32_e64 v12, s[0:1], v15, v16, vcc
	v_subrev_co_u32_e64 v15, s[0:1], s40, v9
	v_subbrev_co_u32_e64 v12, s[0:1], 0, v12, s[0:1]
	v_cmp_le_u32_e64 s[0:1], s41, v12
	v_cndmask_b32_e64 v16, 0, -1, s[0:1]
	v_cmp_le_u32_e64 s[0:1], s40, v15
	v_cndmask_b32_e64 v15, 0, -1, s[0:1]
	v_cmp_eq_u32_e64 s[0:1], s41, v12
	v_cndmask_b32_e64 v12, v16, v15, s[0:1]
	v_add_co_u32_e64 v15, s[0:1], 2, v3
	v_subb_co_u32_e32 v11, vcc, v11, v13, vcc
	v_addc_co_u32_e64 v16, s[0:1], 0, v5, s[0:1]
	v_cmp_le_u32_e32 vcc, s41, v11
	v_add_co_u32_e64 v17, s[0:1], 1, v3
	v_cndmask_b32_e64 v13, 0, -1, vcc
	v_cmp_le_u32_e32 vcc, s40, v9
	v_addc_co_u32_e64 v18, s[0:1], 0, v5, s[0:1]
	v_cndmask_b32_e64 v9, 0, -1, vcc
	v_cmp_eq_u32_e32 vcc, s41, v11
	v_cmp_ne_u32_e64 s[0:1], 0, v12
	v_cndmask_b32_e32 v9, v13, v9, vcc
	v_cmp_ne_u32_e32 vcc, 0, v9
	v_cndmask_b32_e64 v9, v17, v15, s[0:1]
	v_cndmask_b32_e64 v12, v18, v16, s[0:1]
	v_cndmask_b32_e32 v3, v3, v9, vcc
	v_xor_b32_e32 v9, s39, v7
	v_xor_b32_e32 v7, s38, v7
	v_cndmask_b32_e32 v5, v5, v12, vcc
	v_xor_b32_e32 v3, v3, v7
	v_xor_b32_e32 v5, v5, v9
	v_sub_co_u32_e32 v12, vcc, v3, v7
	v_subb_co_u32_e32 v13, vcc, v5, v9, vcc
.LBB41_39:                              ;   in Loop: Header=BB41_37 Depth=2
	s_andn2_saveexec_b64 s[0:1], s[36:37]
	s_cbranch_execz .LBB41_36
; %bb.40:                               ;   in Loop: Header=BB41_37 Depth=2
	v_cvt_f32_u32_e32 v3, s53
	s_sub_i32 s36, 0, s53
	v_mov_b32_e32 v13, v2
	v_rcp_iflag_f32_e32 v3, v3
	v_mul_f32_e32 v3, 0x4f7ffffe, v3
	v_cvt_u32_f32_e32 v3, v3
	v_mul_lo_u32 v5, s36, v3
	v_mul_hi_u32 v5, v3, v5
	v_add_u32_e32 v3, v3, v5
	v_mul_hi_u32 v3, v14, v3
	v_mul_lo_u32 v5, v3, s53
	v_sub_u32_e32 v5, v14, v5
	v_add_u32_e32 v7, 1, v3
	v_subrev_u32_e32 v9, s53, v5
	v_cmp_le_u32_e32 vcc, s53, v5
	v_cndmask_b32_e32 v5, v5, v9, vcc
	v_cndmask_b32_e32 v3, v3, v7, vcc
	v_add_u32_e32 v7, 1, v3
	v_cmp_le_u32_e32 vcc, s53, v5
	v_cndmask_b32_e32 v12, v3, v7, vcc
	s_branch .LBB41_36
.LBB41_41:                              ;   in Loop: Header=BB41_3 Depth=1
	v_mov_b32_e32 v3, v4
	v_sub_u32_e32 v4, v4, v8
	v_ashrrev_i32_e32 v5, 31, v4
	v_cmp_ge_i64_e32 vcc, s[8:9], v[4:5]
                                        ; implicit-def: $vgpr14
                                        ; implicit-def: $vgpr12
                                        ; implicit-def: $vgpr11
                                        ; implicit-def: $vgpr9
	s_and_saveexec_b64 s[0:1], vcc
	s_xor_b64 s[0:1], exec, s[0:1]
	s_cbranch_execnz .LBB41_44
; %bb.42:                               ;   in Loop: Header=BB41_3 Depth=1
	s_andn2_saveexec_b64 s[0:1], s[0:1]
	s_cbranch_execnz .LBB41_53
.LBB41_43:                              ;   in Loop: Header=BB41_3 Depth=1
	s_or_b64 exec, exec, s[0:1]
	v_cmp_gt_i32_e32 vcc, s13, v3
	s_and_saveexec_b64 s[0:1], vcc
	s_cbranch_execz .LBB41_2
	s_branch .LBB41_54
.LBB41_44:                              ;   in Loop: Header=BB41_3 Depth=1
	v_cmp_gt_i32_e32 vcc, s13, v3
	v_mov_b32_e32 v13, 0
	v_mov_b32_e32 v11, 0
	;; [unrolled: 1-line block ×4, first 2 shown]
	s_and_saveexec_b64 s[2:3], vcc
	s_cbranch_execz .LBB41_52
; %bb.45:                               ;   in Loop: Header=BB41_3 Depth=1
	v_ashrrev_i32_e32 v11, 31, v10
	v_lshlrev_b64 v[4:5], 1, v[10:11]
	v_mov_b32_e32 v7, s7
	v_add_co_u32_e32 v4, vcc, s6, v4
	v_addc_co_u32_e32 v5, vcc, v7, v5, vcc
	global_load_ushort v7, v[4:5], off
	v_add_u32_e32 v9, 1, v3
	v_cmp_gt_i32_e32 vcc, s13, v9
	v_mov_b32_e32 v9, 0
	v_mov_b32_e32 v11, 0
	;; [unrolled: 1-line block ×3, first 2 shown]
	s_and_saveexec_b64 s[34:35], vcc
	s_xor_b64 s[34:35], exec, s[34:35]
	s_cbranch_execz .LBB41_51
; %bb.46:                               ;   in Loop: Header=BB41_3 Depth=1
	s_lshl_b64 s[36:37], s[26:27], 1
	v_mov_b32_e32 v9, s37
	v_add_co_u32_e32 v4, vcc, s36, v4
	v_addc_co_u32_e32 v5, vcc, v5, v9, vcc
	global_load_ushort v9, v[4:5], off
	v_add_u32_e32 v4, 2, v3
	v_cmp_gt_i32_e32 vcc, s13, v4
	v_mov_b32_e32 v11, 0
	v_mov_b32_e32 v13, 0
	s_and_saveexec_b64 s[36:37], vcc
	s_xor_b64 s[36:37], exec, s[36:37]
	s_cbranch_execz .LBB41_50
; %bb.47:                               ;   in Loop: Header=BB41_3 Depth=1
	s_add_i32 s20, s26, s26
	v_add_u32_e32 v4, s20, v10
	v_ashrrev_i32_e32 v5, 31, v4
	v_lshlrev_b64 v[10:11], 1, v[4:5]
	v_mov_b32_e32 v5, s7
	v_add_co_u32_e32 v10, vcc, s6, v10
	v_addc_co_u32_e32 v11, vcc, v5, v11, vcc
	global_load_ushort v11, v[10:11], off
	v_add_u32_e32 v5, 3, v3
	v_cmp_gt_i32_e32 vcc, s13, v5
	v_mov_b32_e32 v13, 0
	s_and_saveexec_b64 s[38:39], vcc
	s_xor_b64 s[38:39], exec, s[38:39]
	s_cbranch_execz .LBB41_49
; %bb.48:                               ;   in Loop: Header=BB41_3 Depth=1
	v_add_u32_e32 v4, s26, v4
	v_ashrrev_i32_e32 v5, 31, v4
	v_lshlrev_b64 v[4:5], 1, v[4:5]
	v_mov_b32_e32 v10, s7
	v_add_co_u32_e32 v4, vcc, s6, v4
	v_addc_co_u32_e32 v5, vcc, v10, v5, vcc
	global_load_ushort v13, v[4:5], off
.LBB41_49:                              ;   in Loop: Header=BB41_3 Depth=1
	s_or_b64 exec, exec, s[38:39]
.LBB41_50:                              ;   in Loop: Header=BB41_3 Depth=1
	s_or_b64 exec, exec, s[36:37]
.LBB41_51:                              ;   in Loop: Header=BB41_3 Depth=1
	s_or_b64 exec, exec, s[34:35]
.LBB41_52:                              ;   in Loop: Header=BB41_3 Depth=1
	s_or_b64 exec, exec, s[2:3]
	v_sub_u32_e32 v4, v3, v8
	v_ashrrev_i32_e32 v5, 31, v4
	v_add_u32_e32 v16, 1, v4
	v_cmp_ge_i64_e32 vcc, s[8:9], v[4:5]
	v_ashrrev_i32_e32 v17, 31, v16
	s_waitcnt vmcnt(0)
	v_cndmask_b32_e32 v14, 0, v7, vcc
	v_cmp_ge_i64_e32 vcc, s[8:9], v[16:17]
	v_add_u32_e32 v8, 2, v4
	v_cndmask_b32_e32 v12, 0, v9, vcc
	v_ashrrev_i32_e32 v9, 31, v8
	v_add_u32_e32 v4, 3, v4
	v_cmp_ge_i64_e32 vcc, s[8:9], v[8:9]
	v_ashrrev_i32_e32 v5, 31, v4
	v_cndmask_b32_e32 v11, 0, v11, vcc
	v_cmp_ge_i64_e32 vcc, s[8:9], v[4:5]
	v_cndmask_b32_e32 v9, 0, v13, vcc
	s_andn2_saveexec_b64 s[0:1], s[0:1]
	s_cbranch_execz .LBB41_43
.LBB41_53:                              ;   in Loop: Header=BB41_3 Depth=1
	v_mov_b32_e32 v9, 0
	v_mov_b32_e32 v11, 0
	;; [unrolled: 1-line block ×4, first 2 shown]
	s_or_b64 exec, exec, s[0:1]
	v_cmp_gt_i32_e32 vcc, s13, v3
	s_and_saveexec_b64 s[0:1], vcc
	s_cbranch_execz .LBB41_2
.LBB41_54:                              ;   in Loop: Header=BB41_3 Depth=1
	v_ashrrev_i32_e32 v7, 31, v6
	v_lshlrev_b64 v[4:5], 1, v[6:7]
	v_mov_b32_e32 v7, s5
	v_add_co_u32_e32 v4, vcc, s4, v4
	v_addc_co_u32_e32 v5, vcc, v7, v5, vcc
	v_add_u32_e32 v7, 1, v3
	v_cmp_gt_i32_e32 vcc, s13, v7
	global_store_short v[4:5], v14, off
	s_and_saveexec_b64 s[2:3], vcc
	s_xor_b64 s[2:3], exec, s[2:3]
	s_cbranch_execz .LBB41_2
; %bb.55:                               ;   in Loop: Header=BB41_3 Depth=1
	s_lshl_b64 s[2:3], s[28:29], 1
	v_mov_b32_e32 v7, s3
	v_add_co_u32_e32 v4, vcc, s2, v4
	v_addc_co_u32_e32 v5, vcc, v5, v7, vcc
	global_store_short v[4:5], v12, off
	v_add_u32_e32 v4, 2, v3
	v_cmp_gt_i32_e32 vcc, s13, v4
	s_and_saveexec_b64 s[2:3], vcc
	s_xor_b64 s[2:3], exec, s[2:3]
	s_cbranch_execz .LBB41_2
; %bb.56:                               ;   in Loop: Header=BB41_3 Depth=1
	s_add_i32 s2, s28, s28
	v_add_u32_e32 v4, s2, v6
	v_ashrrev_i32_e32 v5, 31, v4
	v_lshlrev_b64 v[6:7], 1, v[4:5]
	v_mov_b32_e32 v5, s5
	v_add_co_u32_e32 v6, vcc, s4, v6
	v_addc_co_u32_e32 v7, vcc, v5, v7, vcc
	v_add_u32_e32 v3, 3, v3
	v_cmp_gt_i32_e32 vcc, s13, v3
	global_store_short v[6:7], v11, off
	s_and_saveexec_b64 s[2:3], vcc
	s_xor_b64 s[2:3], exec, s[2:3]
	s_cbranch_execz .LBB41_2
; %bb.57:                               ;   in Loop: Header=BB41_3 Depth=1
	v_add_u32_e32 v4, s28, v4
	v_ashrrev_i32_e32 v5, 31, v4
	v_lshlrev_b64 v[4:5], 1, v[4:5]
	v_mov_b32_e32 v3, s5
	v_add_co_u32_e32 v4, vcc, s4, v4
	v_addc_co_u32_e32 v5, vcc, v3, v5, vcc
	global_store_short v[4:5], v9, off
	s_branch .LBB41_2
.LBB41_58:
	s_endpgm
	.section	.rodata,"a",@progbits
	.p2align	6, 0x0
	.amdhsa_kernel _ZN2at6native16triu_tril_kernelIN3c104HalfEiLb0ELi4ELb0EEEvNS_4cuda6detail10TensorInfoIT_T0_EENS6_IKS7_S8_EEllS8_
		.amdhsa_group_segment_fixed_size 0
		.amdhsa_private_segment_fixed_size 0
		.amdhsa_kernarg_size 712
		.amdhsa_user_sgpr_count 6
		.amdhsa_user_sgpr_private_segment_buffer 1
		.amdhsa_user_sgpr_dispatch_ptr 0
		.amdhsa_user_sgpr_queue_ptr 0
		.amdhsa_user_sgpr_kernarg_segment_ptr 1
		.amdhsa_user_sgpr_dispatch_id 0
		.amdhsa_user_sgpr_flat_scratch_init 0
		.amdhsa_user_sgpr_kernarg_preload_length 0
		.amdhsa_user_sgpr_kernarg_preload_offset 0
		.amdhsa_user_sgpr_private_segment_size 0
		.amdhsa_uses_dynamic_stack 0
		.amdhsa_system_sgpr_private_segment_wavefront_offset 0
		.amdhsa_system_sgpr_workgroup_id_x 1
		.amdhsa_system_sgpr_workgroup_id_y 0
		.amdhsa_system_sgpr_workgroup_id_z 0
		.amdhsa_system_sgpr_workgroup_info 0
		.amdhsa_system_vgpr_workitem_id 0
		.amdhsa_next_free_vgpr 26
		.amdhsa_next_free_sgpr 62
		.amdhsa_accum_offset 28
		.amdhsa_reserve_vcc 1
		.amdhsa_reserve_flat_scratch 0
		.amdhsa_float_round_mode_32 0
		.amdhsa_float_round_mode_16_64 0
		.amdhsa_float_denorm_mode_32 3
		.amdhsa_float_denorm_mode_16_64 3
		.amdhsa_dx10_clamp 1
		.amdhsa_ieee_mode 1
		.amdhsa_fp16_overflow 0
		.amdhsa_tg_split 0
		.amdhsa_exception_fp_ieee_invalid_op 0
		.amdhsa_exception_fp_denorm_src 0
		.amdhsa_exception_fp_ieee_div_zero 0
		.amdhsa_exception_fp_ieee_overflow 0
		.amdhsa_exception_fp_ieee_underflow 0
		.amdhsa_exception_fp_ieee_inexact 0
		.amdhsa_exception_int_div_zero 0
	.end_amdhsa_kernel
	.section	.text._ZN2at6native16triu_tril_kernelIN3c104HalfEiLb0ELi4ELb0EEEvNS_4cuda6detail10TensorInfoIT_T0_EENS6_IKS7_S8_EEllS8_,"axG",@progbits,_ZN2at6native16triu_tril_kernelIN3c104HalfEiLb0ELi4ELb0EEEvNS_4cuda6detail10TensorInfoIT_T0_EENS6_IKS7_S8_EEllS8_,comdat
.Lfunc_end41:
	.size	_ZN2at6native16triu_tril_kernelIN3c104HalfEiLb0ELi4ELb0EEEvNS_4cuda6detail10TensorInfoIT_T0_EENS6_IKS7_S8_EEllS8_, .Lfunc_end41-_ZN2at6native16triu_tril_kernelIN3c104HalfEiLb0ELi4ELb0EEEvNS_4cuda6detail10TensorInfoIT_T0_EENS6_IKS7_S8_EEllS8_
                                        ; -- End function
	.section	.AMDGPU.csdata,"",@progbits
; Kernel info:
; codeLenInByte = 7944
; NumSgprs: 66
; NumVgprs: 26
; NumAgprs: 0
; TotalNumVgprs: 26
; ScratchSize: 0
; MemoryBound: 0
; FloatMode: 240
; IeeeMode: 1
; LDSByteSize: 0 bytes/workgroup (compile time only)
; SGPRBlocks: 8
; VGPRBlocks: 3
; NumSGPRsForWavesPerEU: 66
; NumVGPRsForWavesPerEU: 26
; AccumOffset: 28
; Occupancy: 8
; WaveLimiterHint : 0
; COMPUTE_PGM_RSRC2:SCRATCH_EN: 0
; COMPUTE_PGM_RSRC2:USER_SGPR: 6
; COMPUTE_PGM_RSRC2:TRAP_HANDLER: 0
; COMPUTE_PGM_RSRC2:TGID_X_EN: 1
; COMPUTE_PGM_RSRC2:TGID_Y_EN: 0
; COMPUTE_PGM_RSRC2:TGID_Z_EN: 0
; COMPUTE_PGM_RSRC2:TIDIG_COMP_CNT: 0
; COMPUTE_PGM_RSRC3_GFX90A:ACCUM_OFFSET: 6
; COMPUTE_PGM_RSRC3_GFX90A:TG_SPLIT: 0
	.section	.text._ZN2at6native16triu_tril_kernelIN3c104HalfElLb0ELi4ELb1EEEvNS_4cuda6detail10TensorInfoIT_T0_EENS6_IKS7_S8_EEllS8_,"axG",@progbits,_ZN2at6native16triu_tril_kernelIN3c104HalfElLb0ELi4ELb1EEEvNS_4cuda6detail10TensorInfoIT_T0_EENS6_IKS7_S8_EEllS8_,comdat
	.protected	_ZN2at6native16triu_tril_kernelIN3c104HalfElLb0ELi4ELb1EEEvNS_4cuda6detail10TensorInfoIT_T0_EENS6_IKS7_S8_EEllS8_ ; -- Begin function _ZN2at6native16triu_tril_kernelIN3c104HalfElLb0ELi4ELb1EEEvNS_4cuda6detail10TensorInfoIT_T0_EENS6_IKS7_S8_EEllS8_
	.globl	_ZN2at6native16triu_tril_kernelIN3c104HalfElLb0ELi4ELb1EEEvNS_4cuda6detail10TensorInfoIT_T0_EENS6_IKS7_S8_EEllS8_
	.p2align	8
	.type	_ZN2at6native16triu_tril_kernelIN3c104HalfElLb0ELi4ELb1EEEvNS_4cuda6detail10TensorInfoIT_T0_EENS6_IKS7_S8_EEllS8_,@function
_ZN2at6native16triu_tril_kernelIN3c104HalfElLb0ELi4ELb1EEEvNS_4cuda6detail10TensorInfoIT_T0_EENS6_IKS7_S8_EEllS8_: ; @_ZN2at6native16triu_tril_kernelIN3c104HalfElLb0ELi4ELb1EEEvNS_4cuda6detail10TensorInfoIT_T0_EENS6_IKS7_S8_EEllS8_
; %bb.0:
	s_load_dword s2, s[4:5], 0x364
	s_load_dwordx4 s[8:11], s[4:5], 0x340
	s_add_u32 s0, s4, 0x358
	v_mov_b32_e32 v2, 0
	s_addc_u32 s1, s5, 0
	s_waitcnt lgkmcnt(0)
	s_and_b32 s12, s2, 0xffff
	v_mov_b32_e32 v1, v2
	v_mov_b32_e32 v3, s6
	v_mad_u64_u32 v[0:1], s[2:3], s12, v3, v[0:1]
	v_lshlrev_b64 v[0:1], 2, v[0:1]
	v_cmp_gt_i64_e32 vcc, s[10:11], v[0:1]
	s_and_saveexec_b64 s[2:3], vcc
	s_cbranch_execz .LBB42_29
; %bb.1:
	s_load_dword s13, s[0:1], 0x0
	s_load_dword s18, s[4:5], 0x338
	s_load_dwordx2 s[2:3], s[4:5], 0x350
	s_load_dwordx2 s[6:7], s[4:5], 0x0
	s_mov_b32 s48, 0
	s_waitcnt lgkmcnt(0)
	s_mul_i32 s20, s13, s12
	s_ashr_i32 s19, s18, 31
	s_add_u32 s24, s4, 0x1a8
	s_addc_u32 s25, s5, 0
	s_lshl_b64 s[0:1], s[18:19], 3
	s_add_u32 s16, s0, -16
	s_addc_u32 s17, s1, -1
	s_add_u32 s14, s24, s16
	s_addc_u32 s15, s25, s17
	v_cmp_gt_i64_e64 s[12:13], s[18:19], 2
	s_add_u32 s19, s0, -8
	s_addc_u32 s21, s1, -1
	s_add_u32 s26, s4, 0xd0
	s_addc_u32 s27, s5, 0
	s_add_u32 s4, s26, s19
	v_cvt_f32_u32_e32 v3, s2
	s_addc_u32 s5, s27, s21
	s_add_u32 s16, s26, s16
	s_addc_u32 s17, s27, s17
	s_add_i32 s0, s18, -3
	s_ashr_i32 s1, s0, 31
	v_rcp_iflag_f32_e32 v3, v3
	s_add_u32 s18, s24, s19
	s_addc_u32 s19, s25, s21
	s_lshl_b32 s33, s20, 2
	s_lshl_b64 s[22:23], s[0:1], 3
	s_add_u32 s20, s26, s22
	s_load_dwordx2 s[14:15], s[14:15], 0x0
	s_addc_u32 s21, s27, s23
	v_mul_f32_e32 v3, 0x4f7ffffe, v3
	s_add_u32 s22, s24, s22
	v_cvt_u32_f32_e32 v14, v3
	s_addc_u32 s23, s25, s23
	s_add_u32 s24, s0, 1
	s_addc_u32 s25, s1, 0
	s_mov_b64 s[26:27], 0
	s_branch .LBB42_3
.LBB42_2:                               ;   in Loop: Header=BB42_3 Depth=1
	s_or_b64 exec, exec, s[28:29]
	v_mov_b32_e32 v3, s48
	v_add_co_u32_e32 v0, vcc, s33, v0
	v_addc_co_u32_e32 v1, vcc, v1, v3, vcc
	v_cmp_le_i64_e32 vcc, s[10:11], v[0:1]
	s_or_b64 s[26:27], vcc, s[26:27]
	s_andn2_b64 exec, exec, s[26:27]
	s_cbranch_execz .LBB42_29
.LBB42_3:                               ; =>This Loop Header: Depth=1
                                        ;     Child Loop BB42_25 Depth 2
	v_or_b32_e32 v3, s3, v1
	v_cmp_ne_u64_e32 vcc, 0, v[2:3]
                                        ; implicit-def: $vgpr6_vgpr7
	s_and_saveexec_b64 s[0:1], vcc
	s_xor_b64 s[28:29], exec, s[0:1]
	s_cbranch_execz .LBB42_5
; %bb.4:                                ;   in Loop: Header=BB42_3 Depth=1
	s_ashr_i32 s30, s3, 31
	s_add_u32 s0, s2, s30
	s_mov_b32 s31, s30
	s_addc_u32 s1, s3, s30
	s_xor_b64 s[34:35], s[0:1], s[30:31]
	v_cvt_f32_u32_e32 v3, s34
	v_cvt_f32_u32_e32 v4, s35
	s_sub_u32 s0, 0, s34
	s_subb_u32 s1, 0, s35
	v_mac_f32_e32 v3, 0x4f800000, v4
	v_rcp_f32_e32 v3, v3
	v_mul_f32_e32 v3, 0x5f7ffffc, v3
	v_mul_f32_e32 v4, 0x2f800000, v3
	v_trunc_f32_e32 v4, v4
	v_mac_f32_e32 v3, 0xcf800000, v4
	v_cvt_u32_f32_e32 v4, v4
	v_cvt_u32_f32_e32 v3, v3
	v_mul_lo_u32 v5, s0, v4
	v_mul_hi_u32 v7, s0, v3
	v_mul_lo_u32 v6, s1, v3
	v_add_u32_e32 v5, v7, v5
	v_mul_lo_u32 v8, s0, v3
	v_add_u32_e32 v5, v5, v6
	v_mul_lo_u32 v7, v3, v5
	v_mul_hi_u32 v9, v3, v8
	v_mul_hi_u32 v6, v3, v5
	v_add_co_u32_e32 v7, vcc, v9, v7
	v_addc_co_u32_e32 v6, vcc, 0, v6, vcc
	v_mul_hi_u32 v10, v4, v8
	v_mul_lo_u32 v8, v4, v8
	v_add_co_u32_e32 v7, vcc, v7, v8
	v_mul_hi_u32 v9, v4, v5
	v_addc_co_u32_e32 v6, vcc, v6, v10, vcc
	v_addc_co_u32_e32 v7, vcc, 0, v9, vcc
	v_mul_lo_u32 v5, v4, v5
	v_add_co_u32_e32 v5, vcc, v6, v5
	v_addc_co_u32_e32 v6, vcc, 0, v7, vcc
	v_add_co_u32_e32 v3, vcc, v3, v5
	v_addc_co_u32_e32 v4, vcc, v4, v6, vcc
	v_mul_lo_u32 v5, s0, v4
	v_mul_hi_u32 v6, s0, v3
	v_add_u32_e32 v5, v6, v5
	v_mul_lo_u32 v6, s1, v3
	v_add_u32_e32 v5, v5, v6
	v_mul_lo_u32 v7, s0, v3
	v_mul_hi_u32 v8, v4, v7
	v_mul_lo_u32 v9, v4, v7
	v_mul_lo_u32 v11, v3, v5
	v_mul_hi_u32 v7, v3, v7
	v_mul_hi_u32 v10, v3, v5
	v_add_co_u32_e32 v7, vcc, v7, v11
	v_addc_co_u32_e32 v10, vcc, 0, v10, vcc
	v_add_co_u32_e32 v7, vcc, v7, v9
	v_mul_hi_u32 v6, v4, v5
	v_addc_co_u32_e32 v7, vcc, v10, v8, vcc
	v_addc_co_u32_e32 v6, vcc, 0, v6, vcc
	v_mul_lo_u32 v5, v4, v5
	v_add_co_u32_e32 v5, vcc, v7, v5
	v_addc_co_u32_e32 v6, vcc, 0, v6, vcc
	v_add_co_u32_e32 v3, vcc, v3, v5
	v_addc_co_u32_e32 v6, vcc, v4, v6, vcc
	v_ashrrev_i32_e32 v8, 31, v1
	v_add_co_u32_e32 v4, vcc, v0, v8
	v_addc_co_u32_e32 v5, vcc, v1, v8, vcc
	v_xor_b32_e32 v10, v4, v8
	v_xor_b32_e32 v9, v5, v8
	v_mad_u64_u32 v[4:5], s[0:1], v10, v6, 0
	v_mul_hi_u32 v7, v10, v3
	v_add_co_u32_e32 v11, vcc, v7, v4
	v_addc_co_u32_e32 v12, vcc, 0, v5, vcc
	v_mad_u64_u32 v[4:5], s[0:1], v9, v6, 0
	v_mad_u64_u32 v[6:7], s[0:1], v9, v3, 0
	v_add_co_u32_e32 v3, vcc, v11, v6
	v_addc_co_u32_e32 v3, vcc, v12, v7, vcc
	v_addc_co_u32_e32 v5, vcc, 0, v5, vcc
	v_add_co_u32_e32 v3, vcc, v3, v4
	v_addc_co_u32_e32 v6, vcc, 0, v5, vcc
	v_mul_lo_u32 v7, s35, v3
	v_mul_lo_u32 v11, s34, v6
	v_mad_u64_u32 v[4:5], s[0:1], s34, v3, 0
	v_add3_u32 v5, v5, v11, v7
	v_sub_u32_e32 v7, v9, v5
	v_mov_b32_e32 v11, s35
	v_sub_co_u32_e32 v4, vcc, v10, v4
	v_subb_co_u32_e64 v7, s[0:1], v7, v11, vcc
	v_subrev_co_u32_e64 v10, s[0:1], s34, v4
	v_subbrev_co_u32_e64 v7, s[0:1], 0, v7, s[0:1]
	v_cmp_le_u32_e64 s[0:1], s35, v7
	v_cndmask_b32_e64 v11, 0, -1, s[0:1]
	v_cmp_le_u32_e64 s[0:1], s34, v10
	v_cndmask_b32_e64 v10, 0, -1, s[0:1]
	v_cmp_eq_u32_e64 s[0:1], s35, v7
	v_cndmask_b32_e64 v7, v11, v10, s[0:1]
	v_add_co_u32_e64 v10, s[0:1], 2, v3
	v_subb_co_u32_e32 v5, vcc, v9, v5, vcc
	v_addc_co_u32_e64 v11, s[0:1], 0, v6, s[0:1]
	v_cmp_le_u32_e32 vcc, s35, v5
	v_add_co_u32_e64 v12, s[0:1], 1, v3
	v_cndmask_b32_e64 v9, 0, -1, vcc
	v_cmp_le_u32_e32 vcc, s34, v4
	v_addc_co_u32_e64 v13, s[0:1], 0, v6, s[0:1]
	v_cndmask_b32_e64 v4, 0, -1, vcc
	v_cmp_eq_u32_e32 vcc, s35, v5
	v_cmp_ne_u32_e64 s[0:1], 0, v7
	v_cndmask_b32_e32 v4, v9, v4, vcc
	v_cmp_ne_u32_e32 vcc, 0, v4
	v_cndmask_b32_e64 v5, v12, v10, s[0:1]
	v_cndmask_b32_e64 v7, v13, v11, s[0:1]
	v_cndmask_b32_e32 v3, v3, v5, vcc
	v_xor_b32_e32 v5, s30, v8
	v_cndmask_b32_e32 v4, v6, v7, vcc
	v_xor_b32_e32 v3, v3, v5
	v_xor_b32_e32 v4, v4, v5
	v_sub_co_u32_e32 v6, vcc, v3, v5
	v_subb_co_u32_e32 v7, vcc, v4, v5, vcc
.LBB42_5:                               ;   in Loop: Header=BB42_3 Depth=1
	s_andn2_saveexec_b64 s[0:1], s[28:29]
	s_cbranch_execz .LBB42_7
; %bb.6:                                ;   in Loop: Header=BB42_3 Depth=1
	s_sub_i32 s28, 0, s2
	v_mul_lo_u32 v3, s28, v14
	v_mul_hi_u32 v3, v14, v3
	v_add_u32_e32 v3, v14, v3
	v_mul_hi_u32 v3, v0, v3
	v_mul_lo_u32 v4, v3, s2
	v_sub_u32_e32 v4, v0, v4
	v_subrev_u32_e32 v5, s2, v4
	v_cmp_le_u32_e32 vcc, s2, v4
	v_cndmask_b32_e32 v4, v4, v5, vcc
	v_add_u32_e32 v5, 1, v3
	v_cndmask_b32_e32 v3, v3, v5, vcc
	v_add_u32_e32 v5, 1, v3
	v_cmp_le_u32_e32 vcc, s2, v4
	v_cndmask_b32_e32 v6, v3, v5, vcc
	v_mov_b32_e32 v7, v2
.LBB42_7:                               ;   in Loop: Header=BB42_3 Depth=1
	s_or_b64 exec, exec, s[0:1]
	s_waitcnt lgkmcnt(0)
	v_or_b32_e32 v3, s15, v7
	v_cmp_ne_u64_e32 vcc, 0, v[2:3]
                                        ; implicit-def: $vgpr8_vgpr9
	s_and_saveexec_b64 s[0:1], vcc
	s_xor_b64 s[28:29], exec, s[0:1]
	s_cbranch_execz .LBB42_9
; %bb.8:                                ;   in Loop: Header=BB42_3 Depth=1
	s_ashr_i32 s30, s15, 31
	s_add_u32 s0, s14, s30
	s_mov_b32 s31, s30
	s_addc_u32 s1, s15, s30
	s_xor_b64 s[34:35], s[0:1], s[30:31]
	v_cvt_f32_u32_e32 v3, s34
	v_cvt_f32_u32_e32 v4, s35
	s_sub_u32 s0, 0, s34
	s_subb_u32 s1, 0, s35
	v_mac_f32_e32 v3, 0x4f800000, v4
	v_rcp_f32_e32 v3, v3
	v_mul_f32_e32 v3, 0x5f7ffffc, v3
	v_mul_f32_e32 v4, 0x2f800000, v3
	v_trunc_f32_e32 v4, v4
	v_mac_f32_e32 v3, 0xcf800000, v4
	v_cvt_u32_f32_e32 v4, v4
	v_cvt_u32_f32_e32 v3, v3
	v_mul_lo_u32 v5, s0, v4
	v_mul_hi_u32 v9, s0, v3
	v_mul_lo_u32 v8, s1, v3
	v_add_u32_e32 v5, v9, v5
	v_mul_lo_u32 v10, s0, v3
	v_add_u32_e32 v5, v5, v8
	v_mul_lo_u32 v9, v3, v5
	v_mul_hi_u32 v11, v3, v10
	v_mul_hi_u32 v8, v3, v5
	v_add_co_u32_e32 v9, vcc, v11, v9
	v_addc_co_u32_e32 v8, vcc, 0, v8, vcc
	v_mul_hi_u32 v12, v4, v10
	v_mul_lo_u32 v10, v4, v10
	v_add_co_u32_e32 v9, vcc, v9, v10
	v_mul_hi_u32 v11, v4, v5
	v_addc_co_u32_e32 v8, vcc, v8, v12, vcc
	v_addc_co_u32_e32 v9, vcc, 0, v11, vcc
	v_mul_lo_u32 v5, v4, v5
	v_add_co_u32_e32 v5, vcc, v8, v5
	v_addc_co_u32_e32 v8, vcc, 0, v9, vcc
	v_add_co_u32_e32 v3, vcc, v3, v5
	v_addc_co_u32_e32 v4, vcc, v4, v8, vcc
	v_mul_lo_u32 v5, s0, v4
	v_mul_hi_u32 v8, s0, v3
	v_add_u32_e32 v5, v8, v5
	v_mul_lo_u32 v8, s1, v3
	v_add_u32_e32 v5, v5, v8
	v_mul_lo_u32 v9, s0, v3
	v_mul_hi_u32 v10, v4, v9
	v_mul_lo_u32 v11, v4, v9
	v_mul_lo_u32 v13, v3, v5
	v_mul_hi_u32 v9, v3, v9
	v_mul_hi_u32 v12, v3, v5
	v_add_co_u32_e32 v9, vcc, v9, v13
	v_addc_co_u32_e32 v12, vcc, 0, v12, vcc
	v_add_co_u32_e32 v9, vcc, v9, v11
	v_mul_hi_u32 v8, v4, v5
	v_addc_co_u32_e32 v9, vcc, v12, v10, vcc
	v_addc_co_u32_e32 v8, vcc, 0, v8, vcc
	v_mul_lo_u32 v5, v4, v5
	v_add_co_u32_e32 v5, vcc, v9, v5
	v_addc_co_u32_e32 v8, vcc, 0, v8, vcc
	v_add_co_u32_e32 v3, vcc, v3, v5
	v_addc_co_u32_e32 v8, vcc, v4, v8, vcc
	v_ashrrev_i32_e32 v10, 31, v7
	v_add_co_u32_e32 v4, vcc, v6, v10
	v_addc_co_u32_e32 v5, vcc, v7, v10, vcc
	v_xor_b32_e32 v12, v4, v10
	v_xor_b32_e32 v11, v5, v10
	v_mad_u64_u32 v[4:5], s[0:1], v12, v8, 0
	v_mul_hi_u32 v9, v12, v3
	v_add_co_u32_e32 v13, vcc, v9, v4
	v_addc_co_u32_e32 v15, vcc, 0, v5, vcc
	v_mad_u64_u32 v[4:5], s[0:1], v11, v8, 0
	v_mad_u64_u32 v[8:9], s[0:1], v11, v3, 0
	v_add_co_u32_e32 v3, vcc, v13, v8
	v_addc_co_u32_e32 v3, vcc, v15, v9, vcc
	v_addc_co_u32_e32 v5, vcc, 0, v5, vcc
	v_add_co_u32_e32 v3, vcc, v3, v4
	v_addc_co_u32_e32 v8, vcc, 0, v5, vcc
	v_mul_lo_u32 v9, s35, v3
	v_mul_lo_u32 v13, s34, v8
	v_mad_u64_u32 v[4:5], s[0:1], s34, v3, 0
	v_add3_u32 v5, v5, v13, v9
	v_sub_u32_e32 v9, v11, v5
	v_mov_b32_e32 v13, s35
	v_sub_co_u32_e32 v4, vcc, v12, v4
	v_subb_co_u32_e64 v9, s[0:1], v9, v13, vcc
	v_subrev_co_u32_e64 v12, s[0:1], s34, v4
	v_subbrev_co_u32_e64 v9, s[0:1], 0, v9, s[0:1]
	v_cmp_le_u32_e64 s[0:1], s35, v9
	v_cndmask_b32_e64 v13, 0, -1, s[0:1]
	v_cmp_le_u32_e64 s[0:1], s34, v12
	v_cndmask_b32_e64 v12, 0, -1, s[0:1]
	v_cmp_eq_u32_e64 s[0:1], s35, v9
	v_cndmask_b32_e64 v9, v13, v12, s[0:1]
	v_add_co_u32_e64 v12, s[0:1], 2, v3
	v_subb_co_u32_e32 v5, vcc, v11, v5, vcc
	v_addc_co_u32_e64 v13, s[0:1], 0, v8, s[0:1]
	v_cmp_le_u32_e32 vcc, s35, v5
	v_add_co_u32_e64 v15, s[0:1], 1, v3
	v_cndmask_b32_e64 v11, 0, -1, vcc
	v_cmp_le_u32_e32 vcc, s34, v4
	v_addc_co_u32_e64 v16, s[0:1], 0, v8, s[0:1]
	v_cndmask_b32_e64 v4, 0, -1, vcc
	v_cmp_eq_u32_e32 vcc, s35, v5
	v_cmp_ne_u32_e64 s[0:1], 0, v9
	v_cndmask_b32_e32 v4, v11, v4, vcc
	v_cmp_ne_u32_e32 vcc, 0, v4
	v_cndmask_b32_e64 v5, v15, v12, s[0:1]
	v_cndmask_b32_e64 v9, v16, v13, s[0:1]
	v_cndmask_b32_e32 v3, v3, v5, vcc
	v_xor_b32_e32 v5, s30, v10
	v_cndmask_b32_e32 v4, v8, v9, vcc
	v_xor_b32_e32 v3, v3, v5
	v_xor_b32_e32 v4, v4, v5
	v_sub_co_u32_e32 v8, vcc, v3, v5
	v_subb_co_u32_e32 v9, vcc, v4, v5, vcc
.LBB42_9:                               ;   in Loop: Header=BB42_3 Depth=1
	s_andn2_saveexec_b64 s[0:1], s[28:29]
	s_cbranch_execz .LBB42_11
; %bb.10:                               ;   in Loop: Header=BB42_3 Depth=1
	v_cvt_f32_u32_e32 v3, s14
	s_sub_i32 s28, 0, s14
	v_mov_b32_e32 v9, v2
	v_rcp_iflag_f32_e32 v3, v3
	v_mul_f32_e32 v3, 0x4f7ffffe, v3
	v_cvt_u32_f32_e32 v3, v3
	v_mul_lo_u32 v4, s28, v3
	v_mul_hi_u32 v4, v3, v4
	v_add_u32_e32 v3, v3, v4
	v_mul_hi_u32 v3, v6, v3
	v_mul_lo_u32 v4, v3, s14
	v_sub_u32_e32 v4, v6, v4
	v_add_u32_e32 v5, 1, v3
	v_subrev_u32_e32 v8, s14, v4
	v_cmp_le_u32_e32 vcc, s14, v4
	v_cndmask_b32_e32 v4, v4, v8, vcc
	v_cndmask_b32_e32 v3, v3, v5, vcc
	v_add_u32_e32 v5, 1, v3
	v_cmp_le_u32_e32 vcc, s14, v4
	v_cndmask_b32_e32 v8, v3, v5, vcc
.LBB42_11:                              ;   in Loop: Header=BB42_3 Depth=1
	s_or_b64 exec, exec, s[0:1]
	v_mul_lo_u32 v3, v7, s2
	v_mul_lo_u32 v10, v6, s3
	v_mad_u64_u32 v[4:5], s[0:1], v6, s2, 0
	v_add3_u32 v3, v5, v10, v3
	v_sub_co_u32_e32 v4, vcc, v0, v4
	v_subb_co_u32_e32 v5, vcc, v1, v3, vcc
	v_mul_lo_u32 v3, v9, s14
	v_mul_lo_u32 v12, v8, s15
	v_mad_u64_u32 v[10:11], s[0:1], v8, s14, 0
	v_add3_u32 v3, v11, v12, v3
	v_sub_co_u32_e32 v15, vcc, v6, v10
	v_subb_co_u32_e32 v16, vcc, v7, v3, vcc
	v_sub_co_u32_e32 v6, vcc, v4, v15
	v_subb_co_u32_e32 v7, vcc, v5, v16, vcc
	v_add_co_u32_e32 v10, vcc, 4, v6
	v_addc_co_u32_e32 v11, vcc, 0, v7, vcc
	v_cmp_lt_i64_e32 vcc, s[8:9], v[10:11]
	s_and_saveexec_b64 s[28:29], vcc
	s_cbranch_execz .LBB42_2
; %bb.12:                               ;   in Loop: Header=BB42_3 Depth=1
	s_load_dwordx2 s[30:31], s[4:5], 0x0
	s_load_dwordx2 s[0:1], s[16:17], 0x0
	s_and_b64 vcc, exec, s[12:13]
	s_mov_b64 s[36:37], s[22:23]
	s_mov_b64 s[38:39], s[20:21]
	s_waitcnt lgkmcnt(0)
	v_mul_lo_u32 v3, s31, v4
	v_mul_lo_u32 v12, s30, v5
	v_mad_u64_u32 v[10:11], s[34:35], s30, v4, 0
	v_add3_u32 v11, v11, v12, v3
	v_mad_u64_u32 v[10:11], s[34:35], s0, v15, v[10:11]
	v_mul_lo_u32 v3, s0, v16
	v_mul_lo_u32 v12, s1, v15
	v_add3_u32 v11, v12, v11, v3
	s_mov_b64 s[34:35], s[24:25]
	s_cbranch_vccnz .LBB42_25
.LBB42_13:                              ;   in Loop: Header=BB42_3 Depth=1
	s_load_dwordx2 s[0:1], s[18:19], 0x0
	s_waitcnt lgkmcnt(0)
	v_cmp_gt_i64_e32 vcc, s[0:1], v[4:5]
	s_and_b64 exec, exec, vcc
	s_cbranch_execz .LBB42_2
; %bb.14:                               ;   in Loop: Header=BB42_3 Depth=1
	v_lshlrev_b64 v[8:9], 1, v[10:11]
	v_mov_b32_e32 v3, s7
	v_add_co_u32_e32 v8, vcc, s6, v8
	v_addc_co_u32_e32 v9, vcc, v3, v9, vcc
	v_cmp_lt_i64_e32 vcc, s[8:9], v[6:7]
	s_and_saveexec_b64 s[34:35], vcc
	s_cbranch_execz .LBB42_16
; %bb.15:                               ;   in Loop: Header=BB42_3 Depth=1
	global_store_short v[8:9], v2, off
.LBB42_16:                              ;   in Loop: Header=BB42_3 Depth=1
	s_or_b64 exec, exec, s[34:35]
	v_add_co_u32_e32 v6, vcc, 1, v4
	v_addc_co_u32_e32 v7, vcc, 0, v5, vcc
	v_cmp_gt_i64_e32 vcc, s[0:1], v[6:7]
	s_and_b64 exec, exec, vcc
	s_cbranch_execz .LBB42_2
; %bb.17:                               ;   in Loop: Header=BB42_3 Depth=1
	v_sub_co_u32_e32 v6, vcc, v6, v15
	v_subb_co_u32_e32 v7, vcc, v7, v16, vcc
	v_cmp_lt_i64_e32 vcc, s[8:9], v[6:7]
	s_and_saveexec_b64 s[34:35], vcc
	s_cbranch_execz .LBB42_19
; %bb.18:                               ;   in Loop: Header=BB42_3 Depth=1
	s_lshl_b64 s[36:37], s[30:31], 1
	v_mov_b32_e32 v3, s37
	v_add_co_u32_e32 v6, vcc, s36, v8
	v_addc_co_u32_e32 v7, vcc, v9, v3, vcc
	global_store_short v[6:7], v2, off
.LBB42_19:                              ;   in Loop: Header=BB42_3 Depth=1
	s_or_b64 exec, exec, s[34:35]
	v_add_co_u32_e32 v6, vcc, 2, v4
	v_addc_co_u32_e32 v7, vcc, 0, v5, vcc
	v_cmp_gt_i64_e32 vcc, s[0:1], v[6:7]
	s_and_b64 exec, exec, vcc
	s_cbranch_execz .LBB42_2
; %bb.20:                               ;   in Loop: Header=BB42_3 Depth=1
	v_sub_co_u32_e32 v6, vcc, v6, v15
	v_subb_co_u32_e32 v7, vcc, v7, v16, vcc
	v_cmp_lt_i64_e32 vcc, s[8:9], v[6:7]
	s_and_saveexec_b64 s[34:35], vcc
	s_cbranch_execz .LBB42_22
; %bb.21:                               ;   in Loop: Header=BB42_3 Depth=1
	s_lshl_b64 s[36:37], s[30:31], 2
	v_mov_b32_e32 v3, s37
	v_add_co_u32_e32 v6, vcc, s36, v8
	v_addc_co_u32_e32 v7, vcc, v9, v3, vcc
	global_store_short v[6:7], v2, off
.LBB42_22:                              ;   in Loop: Header=BB42_3 Depth=1
	s_or_b64 exec, exec, s[34:35]
	v_add_co_u32_e32 v4, vcc, 3, v4
	v_addc_co_u32_e32 v5, vcc, 0, v5, vcc
	v_cmp_gt_i64_e32 vcc, s[0:1], v[4:5]
	v_sub_co_u32_e64 v4, s[0:1], v4, v15
	v_subb_co_u32_e64 v5, s[0:1], v5, v16, s[0:1]
	v_cmp_lt_i64_e64 s[0:1], s[8:9], v[4:5]
	s_and_b64 s[0:1], vcc, s[0:1]
	s_and_b64 exec, exec, s[0:1]
	s_cbranch_execz .LBB42_2
; %bb.23:                               ;   in Loop: Header=BB42_3 Depth=1
	v_mad_u64_u32 v[4:5], s[0:1], s30, 6, v[8:9]
	v_mov_b32_e32 v6, v5
	v_mad_u64_u32 v[6:7], s[0:1], s31, 6, v[6:7]
	v_mov_b32_e32 v5, v6
	global_store_short v[4:5], v2, off
	s_branch .LBB42_2
.LBB42_24:                              ;   in Loop: Header=BB42_25 Depth=2
	s_or_b64 exec, exec, s[0:1]
	v_mad_u64_u32 v[18:19], s[0:1], v12, s40, 0
	s_load_dwordx2 s[0:1], s[38:39], 0x0
	s_add_u32 s38, s38, -8
	s_addc_u32 s39, s39, -1
	v_mul_lo_u32 v3, v13, s40
	v_mul_lo_u32 v17, v12, s41
	s_add_u32 s36, s36, -8
	v_add3_u32 v3, v19, v17, v3
	v_sub_co_u32_e32 v8, vcc, v8, v18
	s_addc_u32 s37, s37, -1
	v_subb_co_u32_e32 v3, vcc, v9, v3, vcc
	s_add_u32 s34, s34, -1
	s_waitcnt lgkmcnt(0)
	v_mul_lo_u32 v3, s0, v3
	v_mul_lo_u32 v9, s1, v8
	v_mad_u64_u32 v[10:11], s[0:1], s0, v8, v[10:11]
	s_addc_u32 s35, s35, -1
	v_cmp_lt_i64_e64 s[0:1], s[34:35], 1
	v_add3_u32 v11, v9, v11, v3
	s_and_b64 vcc, exec, s[0:1]
	v_pk_mov_b32 v[8:9], v[12:13], v[12:13] op_sel:[0,1]
	s_cbranch_vccnz .LBB42_13
.LBB42_25:                              ;   Parent Loop BB42_3 Depth=1
                                        ; =>  This Inner Loop Header: Depth=2
	s_load_dwordx2 s[40:41], s[36:37], 0x0
                                        ; implicit-def: $vgpr12_vgpr13
	s_waitcnt lgkmcnt(0)
	v_or_b32_e32 v3, s41, v9
	v_cmp_ne_u64_e32 vcc, 0, v[2:3]
	s_and_saveexec_b64 s[0:1], vcc
	s_xor_b64 s[42:43], exec, s[0:1]
	s_cbranch_execz .LBB42_27
; %bb.26:                               ;   in Loop: Header=BB42_25 Depth=2
	s_ashr_i32 s44, s41, 31
	s_add_u32 s0, s40, s44
	s_mov_b32 s45, s44
	s_addc_u32 s1, s41, s44
	s_xor_b64 s[46:47], s[0:1], s[44:45]
	v_cvt_f32_u32_e32 v3, s46
	v_cvt_f32_u32_e32 v12, s47
	s_sub_u32 s0, 0, s46
	s_subb_u32 s1, 0, s47
	v_mac_f32_e32 v3, 0x4f800000, v12
	v_rcp_f32_e32 v3, v3
	v_mul_f32_e32 v3, 0x5f7ffffc, v3
	v_mul_f32_e32 v12, 0x2f800000, v3
	v_trunc_f32_e32 v12, v12
	v_mac_f32_e32 v3, 0xcf800000, v12
	v_cvt_u32_f32_e32 v12, v12
	v_cvt_u32_f32_e32 v3, v3
	v_mul_lo_u32 v13, s0, v12
	v_mul_hi_u32 v18, s0, v3
	v_mul_lo_u32 v17, s1, v3
	v_add_u32_e32 v13, v18, v13
	v_mul_lo_u32 v19, s0, v3
	v_add_u32_e32 v13, v13, v17
	v_mul_lo_u32 v18, v3, v13
	v_mul_hi_u32 v20, v3, v19
	v_mul_hi_u32 v17, v3, v13
	v_add_co_u32_e32 v18, vcc, v20, v18
	v_addc_co_u32_e32 v17, vcc, 0, v17, vcc
	v_mul_hi_u32 v21, v12, v19
	v_mul_lo_u32 v19, v12, v19
	v_add_co_u32_e32 v18, vcc, v18, v19
	v_mul_hi_u32 v20, v12, v13
	v_addc_co_u32_e32 v17, vcc, v17, v21, vcc
	v_addc_co_u32_e32 v18, vcc, 0, v20, vcc
	v_mul_lo_u32 v13, v12, v13
	v_add_co_u32_e32 v13, vcc, v17, v13
	v_addc_co_u32_e32 v17, vcc, 0, v18, vcc
	v_add_co_u32_e32 v3, vcc, v3, v13
	v_addc_co_u32_e32 v12, vcc, v12, v17, vcc
	v_mul_lo_u32 v13, s0, v12
	v_mul_hi_u32 v17, s0, v3
	v_add_u32_e32 v13, v17, v13
	v_mul_lo_u32 v17, s1, v3
	v_add_u32_e32 v13, v13, v17
	v_mul_lo_u32 v18, s0, v3
	v_mul_hi_u32 v19, v12, v18
	v_mul_lo_u32 v20, v12, v18
	v_mul_lo_u32 v22, v3, v13
	v_mul_hi_u32 v18, v3, v18
	v_mul_hi_u32 v21, v3, v13
	v_add_co_u32_e32 v18, vcc, v18, v22
	v_addc_co_u32_e32 v21, vcc, 0, v21, vcc
	v_add_co_u32_e32 v18, vcc, v18, v20
	v_mul_hi_u32 v17, v12, v13
	v_addc_co_u32_e32 v18, vcc, v21, v19, vcc
	v_addc_co_u32_e32 v17, vcc, 0, v17, vcc
	v_mul_lo_u32 v13, v12, v13
	v_add_co_u32_e32 v13, vcc, v18, v13
	v_addc_co_u32_e32 v17, vcc, 0, v17, vcc
	v_add_co_u32_e32 v3, vcc, v3, v13
	v_addc_co_u32_e32 v17, vcc, v12, v17, vcc
	v_ashrrev_i32_e32 v20, 31, v9
	v_add_co_u32_e32 v12, vcc, v8, v20
	v_addc_co_u32_e32 v13, vcc, v9, v20, vcc
	v_xor_b32_e32 v22, v12, v20
	v_xor_b32_e32 v21, v13, v20
	v_mad_u64_u32 v[12:13], s[0:1], v22, v17, 0
	v_mul_hi_u32 v18, v22, v3
	v_add_co_u32_e32 v23, vcc, v18, v12
	v_addc_co_u32_e32 v24, vcc, 0, v13, vcc
	v_mad_u64_u32 v[18:19], s[0:1], v21, v3, 0
	v_add_co_u32_e32 v3, vcc, v23, v18
	v_mad_u64_u32 v[12:13], s[0:1], v21, v17, 0
	v_addc_co_u32_e32 v3, vcc, v24, v19, vcc
	v_addc_co_u32_e32 v13, vcc, 0, v13, vcc
	v_add_co_u32_e32 v3, vcc, v3, v12
	v_addc_co_u32_e32 v17, vcc, 0, v13, vcc
	v_mul_lo_u32 v18, s47, v3
	v_mul_lo_u32 v19, s46, v17
	v_mad_u64_u32 v[12:13], s[0:1], s46, v3, 0
	v_add3_u32 v13, v13, v19, v18
	v_sub_u32_e32 v18, v21, v13
	v_mov_b32_e32 v19, s47
	v_sub_co_u32_e32 v12, vcc, v22, v12
	v_subb_co_u32_e64 v18, s[0:1], v18, v19, vcc
	v_subrev_co_u32_e64 v19, s[0:1], s46, v12
	v_subbrev_co_u32_e64 v18, s[0:1], 0, v18, s[0:1]
	v_cmp_le_u32_e64 s[0:1], s47, v18
	v_cndmask_b32_e64 v22, 0, -1, s[0:1]
	v_cmp_le_u32_e64 s[0:1], s46, v19
	v_cndmask_b32_e64 v19, 0, -1, s[0:1]
	v_cmp_eq_u32_e64 s[0:1], s47, v18
	v_cndmask_b32_e64 v18, v22, v19, s[0:1]
	v_add_co_u32_e64 v19, s[0:1], 2, v3
	v_subb_co_u32_e32 v13, vcc, v21, v13, vcc
	v_addc_co_u32_e64 v22, s[0:1], 0, v17, s[0:1]
	v_cmp_le_u32_e32 vcc, s47, v13
	v_add_co_u32_e64 v23, s[0:1], 1, v3
	v_cndmask_b32_e64 v21, 0, -1, vcc
	v_cmp_le_u32_e32 vcc, s46, v12
	v_addc_co_u32_e64 v24, s[0:1], 0, v17, s[0:1]
	v_cndmask_b32_e64 v12, 0, -1, vcc
	v_cmp_eq_u32_e32 vcc, s47, v13
	v_cmp_ne_u32_e64 s[0:1], 0, v18
	v_cndmask_b32_e32 v12, v21, v12, vcc
	v_cmp_ne_u32_e32 vcc, 0, v12
	v_cndmask_b32_e64 v13, v23, v19, s[0:1]
	v_cndmask_b32_e64 v18, v24, v22, s[0:1]
	v_cndmask_b32_e32 v3, v3, v13, vcc
	v_xor_b32_e32 v13, s44, v20
	v_cndmask_b32_e32 v12, v17, v18, vcc
	v_xor_b32_e32 v3, v3, v13
	v_xor_b32_e32 v17, v12, v13
	v_sub_co_u32_e32 v12, vcc, v3, v13
	v_subb_co_u32_e32 v13, vcc, v17, v13, vcc
.LBB42_27:                              ;   in Loop: Header=BB42_25 Depth=2
	s_andn2_saveexec_b64 s[0:1], s[42:43]
	s_cbranch_execz .LBB42_24
; %bb.28:                               ;   in Loop: Header=BB42_25 Depth=2
	v_cvt_f32_u32_e32 v3, s40
	s_sub_i32 s42, 0, s40
	v_rcp_iflag_f32_e32 v3, v3
	v_mul_f32_e32 v3, 0x4f7ffffe, v3
	v_cvt_u32_f32_e32 v3, v3
	v_mul_lo_u32 v12, s42, v3
	v_mul_hi_u32 v12, v3, v12
	v_add_u32_e32 v3, v3, v12
	v_mul_hi_u32 v3, v8, v3
	v_mul_lo_u32 v12, v3, s40
	v_sub_u32_e32 v12, v8, v12
	v_add_u32_e32 v13, 1, v3
	v_subrev_u32_e32 v17, s40, v12
	v_cmp_le_u32_e32 vcc, s40, v12
	v_cndmask_b32_e32 v12, v12, v17, vcc
	v_cndmask_b32_e32 v3, v3, v13, vcc
	v_add_u32_e32 v13, 1, v3
	v_cmp_le_u32_e32 vcc, s40, v12
	v_cndmask_b32_e32 v12, v3, v13, vcc
	v_mov_b32_e32 v13, v2
	s_branch .LBB42_24
.LBB42_29:
	s_endpgm
	.section	.rodata,"a",@progbits
	.p2align	6, 0x0
	.amdhsa_kernel _ZN2at6native16triu_tril_kernelIN3c104HalfElLb0ELi4ELb1EEEvNS_4cuda6detail10TensorInfoIT_T0_EENS6_IKS7_S8_EEllS8_
		.amdhsa_group_segment_fixed_size 0
		.amdhsa_private_segment_fixed_size 0
		.amdhsa_kernarg_size 1112
		.amdhsa_user_sgpr_count 6
		.amdhsa_user_sgpr_private_segment_buffer 1
		.amdhsa_user_sgpr_dispatch_ptr 0
		.amdhsa_user_sgpr_queue_ptr 0
		.amdhsa_user_sgpr_kernarg_segment_ptr 1
		.amdhsa_user_sgpr_dispatch_id 0
		.amdhsa_user_sgpr_flat_scratch_init 0
		.amdhsa_user_sgpr_kernarg_preload_length 0
		.amdhsa_user_sgpr_kernarg_preload_offset 0
		.amdhsa_user_sgpr_private_segment_size 0
		.amdhsa_uses_dynamic_stack 0
		.amdhsa_system_sgpr_private_segment_wavefront_offset 0
		.amdhsa_system_sgpr_workgroup_id_x 1
		.amdhsa_system_sgpr_workgroup_id_y 0
		.amdhsa_system_sgpr_workgroup_id_z 0
		.amdhsa_system_sgpr_workgroup_info 0
		.amdhsa_system_vgpr_workitem_id 0
		.amdhsa_next_free_vgpr 25
		.amdhsa_next_free_sgpr 49
		.amdhsa_accum_offset 28
		.amdhsa_reserve_vcc 1
		.amdhsa_reserve_flat_scratch 0
		.amdhsa_float_round_mode_32 0
		.amdhsa_float_round_mode_16_64 0
		.amdhsa_float_denorm_mode_32 3
		.amdhsa_float_denorm_mode_16_64 3
		.amdhsa_dx10_clamp 1
		.amdhsa_ieee_mode 1
		.amdhsa_fp16_overflow 0
		.amdhsa_tg_split 0
		.amdhsa_exception_fp_ieee_invalid_op 0
		.amdhsa_exception_fp_denorm_src 0
		.amdhsa_exception_fp_ieee_div_zero 0
		.amdhsa_exception_fp_ieee_overflow 0
		.amdhsa_exception_fp_ieee_underflow 0
		.amdhsa_exception_fp_ieee_inexact 0
		.amdhsa_exception_int_div_zero 0
	.end_amdhsa_kernel
	.section	.text._ZN2at6native16triu_tril_kernelIN3c104HalfElLb0ELi4ELb1EEEvNS_4cuda6detail10TensorInfoIT_T0_EENS6_IKS7_S8_EEllS8_,"axG",@progbits,_ZN2at6native16triu_tril_kernelIN3c104HalfElLb0ELi4ELb1EEEvNS_4cuda6detail10TensorInfoIT_T0_EENS6_IKS7_S8_EEllS8_,comdat
.Lfunc_end42:
	.size	_ZN2at6native16triu_tril_kernelIN3c104HalfElLb0ELi4ELb1EEEvNS_4cuda6detail10TensorInfoIT_T0_EENS6_IKS7_S8_EEllS8_, .Lfunc_end42-_ZN2at6native16triu_tril_kernelIN3c104HalfElLb0ELi4ELb1EEEvNS_4cuda6detail10TensorInfoIT_T0_EENS6_IKS7_S8_EEllS8_
                                        ; -- End function
	.section	.AMDGPU.csdata,"",@progbits
; Kernel info:
; codeLenInByte = 3356
; NumSgprs: 53
; NumVgprs: 25
; NumAgprs: 0
; TotalNumVgprs: 25
; ScratchSize: 0
; MemoryBound: 0
; FloatMode: 240
; IeeeMode: 1
; LDSByteSize: 0 bytes/workgroup (compile time only)
; SGPRBlocks: 6
; VGPRBlocks: 3
; NumSGPRsForWavesPerEU: 53
; NumVGPRsForWavesPerEU: 25
; AccumOffset: 28
; Occupancy: 8
; WaveLimiterHint : 0
; COMPUTE_PGM_RSRC2:SCRATCH_EN: 0
; COMPUTE_PGM_RSRC2:USER_SGPR: 6
; COMPUTE_PGM_RSRC2:TRAP_HANDLER: 0
; COMPUTE_PGM_RSRC2:TGID_X_EN: 1
; COMPUTE_PGM_RSRC2:TGID_Y_EN: 0
; COMPUTE_PGM_RSRC2:TGID_Z_EN: 0
; COMPUTE_PGM_RSRC2:TIDIG_COMP_CNT: 0
; COMPUTE_PGM_RSRC3_GFX90A:ACCUM_OFFSET: 6
; COMPUTE_PGM_RSRC3_GFX90A:TG_SPLIT: 0
	.section	.text._ZN2at6native16triu_tril_kernelIN3c104HalfElLb0ELi4ELb0EEEvNS_4cuda6detail10TensorInfoIT_T0_EENS6_IKS7_S8_EEllS8_,"axG",@progbits,_ZN2at6native16triu_tril_kernelIN3c104HalfElLb0ELi4ELb0EEEvNS_4cuda6detail10TensorInfoIT_T0_EENS6_IKS7_S8_EEllS8_,comdat
	.protected	_ZN2at6native16triu_tril_kernelIN3c104HalfElLb0ELi4ELb0EEEvNS_4cuda6detail10TensorInfoIT_T0_EENS6_IKS7_S8_EEllS8_ ; -- Begin function _ZN2at6native16triu_tril_kernelIN3c104HalfElLb0ELi4ELb0EEEvNS_4cuda6detail10TensorInfoIT_T0_EENS6_IKS7_S8_EEllS8_
	.globl	_ZN2at6native16triu_tril_kernelIN3c104HalfElLb0ELi4ELb0EEEvNS_4cuda6detail10TensorInfoIT_T0_EENS6_IKS7_S8_EEllS8_
	.p2align	8
	.type	_ZN2at6native16triu_tril_kernelIN3c104HalfElLb0ELi4ELb0EEEvNS_4cuda6detail10TensorInfoIT_T0_EENS6_IKS7_S8_EEllS8_,@function
_ZN2at6native16triu_tril_kernelIN3c104HalfElLb0ELi4ELb0EEEvNS_4cuda6detail10TensorInfoIT_T0_EENS6_IKS7_S8_EEllS8_: ; @_ZN2at6native16triu_tril_kernelIN3c104HalfElLb0ELi4ELb0EEEvNS_4cuda6detail10TensorInfoIT_T0_EENS6_IKS7_S8_EEllS8_
; %bb.0:
	s_load_dword s2, s[4:5], 0x364
	s_load_dwordx4 s[8:11], s[4:5], 0x340
	s_add_u32 s0, s4, 0x358
	v_mov_b32_e32 v2, 0
	s_addc_u32 s1, s5, 0
	s_waitcnt lgkmcnt(0)
	s_and_b32 s7, s2, 0xffff
	v_mov_b32_e32 v1, v2
	v_mov_b32_e32 v3, s6
	v_mad_u64_u32 v[0:1], s[2:3], s7, v3, v[0:1]
	v_lshlrev_b64 v[0:1], 2, v[0:1]
	v_cmp_gt_i64_e32 vcc, s[10:11], v[0:1]
	s_and_saveexec_b64 s[2:3], vcc
	s_cbranch_execz .LBB43_32
; %bb.1:
	s_load_dword s6, s[0:1], 0x0
	s_load_dwordx2 s[2:3], s[4:5], 0x350
	s_load_dword s26, s[4:5], 0x338
	s_add_u32 s12, s4, 0x1a0
	s_addc_u32 s13, s5, 0
	s_waitcnt lgkmcnt(0)
	s_mul_i32 s28, s6, s7
	v_cvt_f32_u32_e32 v3, s2
	s_ashr_i32 s27, s26, 31
	s_add_u32 s36, s4, 0x1a8
	s_addc_u32 s37, s5, 0
	s_lshl_b64 s[0:1], s[26:27], 3
	s_add_u32 s22, s0, -16
	s_addc_u32 s23, s1, -1
	s_add_u32 s0, s36, s22
	s_addc_u32 s1, s37, s23
	s_add_u32 s20, s12, s22
	s_addc_u32 s21, s13, s23
	;; [unrolled: 2-line block ×3, first 2 shown]
	s_load_dwordx4 s[12:15], s[0:1], 0x0
	s_load_dwordx4 s[16:19], s[20:21], 0xd0
	s_add_u32 s0, s30, s22
	s_addc_u32 s1, s31, s23
	s_load_dwordx4 s[20:23], s[0:1], 0x0
	s_load_dwordx2 s[6:7], s[4:5], 0x1a0
	v_rcp_iflag_f32_e32 v3, v3
	s_load_dwordx2 s[4:5], s[4:5], 0x0
	s_add_i32 s0, s26, -3
	s_ashr_i32 s1, s0, 31
	s_lshl_b32 s33, s28, 2
	s_waitcnt lgkmcnt(0)
	s_mul_i32 s28, s19, 6
	s_mul_hi_u32 s29, s18, 6
	s_mul_i32 s34, s23, 6
	s_mul_hi_u32 s35, s22, 6
	v_cmp_gt_i64_e64 s[24:25], s[26:27], 2
	s_lshl_b64 s[26:27], s[18:19], 2
	s_add_i32 s55, s29, s28
	s_lshl_b64 s[28:29], s[22:23], 2
	s_add_i32 s57, s35, s34
	s_lshl_b64 s[34:35], s[0:1], 3
	s_add_u32 s30, s30, s34
	s_addc_u32 s31, s31, s35
	v_mul_f32_e32 v3, 0x4f7ffffe, v3
	s_add_u32 s34, s36, s34
	v_cvt_u32_f32_e32 v14, v3
	s_addc_u32 s35, s37, s35
	s_add_u32 s36, s0, 1
	s_mov_b32 s54, 0
	s_mul_i32 s56, s18, 6
	s_mul_i32 s58, s22, 6
	s_addc_u32 s37, s1, 0
	s_mov_b64 s[38:39], 0
	s_branch .LBB43_3
.LBB43_2:                               ;   in Loop: Header=BB43_3 Depth=1
	s_or_b64 exec, exec, s[0:1]
	v_mov_b32_e32 v3, s54
	v_add_co_u32_e32 v0, vcc, s33, v0
	v_addc_co_u32_e32 v1, vcc, v1, v3, vcc
	v_cmp_le_i64_e32 vcc, s[10:11], v[0:1]
	s_or_b64 s[38:39], vcc, s[38:39]
	s_andn2_b64 exec, exec, s[38:39]
	s_cbranch_execz .LBB43_32
.LBB43_3:                               ; =>This Loop Header: Depth=1
                                        ;     Child Loop BB43_28 Depth 2
	v_or_b32_e32 v3, s3, v1
	v_cmp_ne_u64_e32 vcc, 0, v[2:3]
                                        ; implicit-def: $vgpr6_vgpr7
	s_and_saveexec_b64 s[0:1], vcc
	s_xor_b64 s[40:41], exec, s[0:1]
	s_cbranch_execz .LBB43_5
; %bb.4:                                ;   in Loop: Header=BB43_3 Depth=1
	s_ashr_i32 s42, s3, 31
	s_add_u32 s0, s2, s42
	s_mov_b32 s43, s42
	s_addc_u32 s1, s3, s42
	s_xor_b64 s[44:45], s[0:1], s[42:43]
	v_cvt_f32_u32_e32 v3, s44
	v_cvt_f32_u32_e32 v4, s45
	s_sub_u32 s0, 0, s44
	s_subb_u32 s1, 0, s45
	v_mac_f32_e32 v3, 0x4f800000, v4
	v_rcp_f32_e32 v3, v3
	v_mul_f32_e32 v3, 0x5f7ffffc, v3
	v_mul_f32_e32 v4, 0x2f800000, v3
	v_trunc_f32_e32 v4, v4
	v_mac_f32_e32 v3, 0xcf800000, v4
	v_cvt_u32_f32_e32 v4, v4
	v_cvt_u32_f32_e32 v3, v3
	v_mul_lo_u32 v5, s0, v4
	v_mul_hi_u32 v7, s0, v3
	v_mul_lo_u32 v6, s1, v3
	v_add_u32_e32 v5, v7, v5
	v_mul_lo_u32 v8, s0, v3
	v_add_u32_e32 v5, v5, v6
	v_mul_lo_u32 v7, v3, v5
	v_mul_hi_u32 v9, v3, v8
	v_mul_hi_u32 v6, v3, v5
	v_add_co_u32_e32 v7, vcc, v9, v7
	v_addc_co_u32_e32 v6, vcc, 0, v6, vcc
	v_mul_hi_u32 v10, v4, v8
	v_mul_lo_u32 v8, v4, v8
	v_add_co_u32_e32 v7, vcc, v7, v8
	v_mul_hi_u32 v9, v4, v5
	v_addc_co_u32_e32 v6, vcc, v6, v10, vcc
	v_addc_co_u32_e32 v7, vcc, 0, v9, vcc
	v_mul_lo_u32 v5, v4, v5
	v_add_co_u32_e32 v5, vcc, v6, v5
	v_addc_co_u32_e32 v6, vcc, 0, v7, vcc
	v_add_co_u32_e32 v3, vcc, v3, v5
	v_addc_co_u32_e32 v4, vcc, v4, v6, vcc
	v_mul_lo_u32 v5, s0, v4
	v_mul_hi_u32 v6, s0, v3
	v_add_u32_e32 v5, v6, v5
	v_mul_lo_u32 v6, s1, v3
	v_add_u32_e32 v5, v5, v6
	v_mul_lo_u32 v7, s0, v3
	v_mul_hi_u32 v8, v4, v7
	v_mul_lo_u32 v9, v4, v7
	v_mul_lo_u32 v11, v3, v5
	v_mul_hi_u32 v7, v3, v7
	v_mul_hi_u32 v10, v3, v5
	v_add_co_u32_e32 v7, vcc, v7, v11
	v_addc_co_u32_e32 v10, vcc, 0, v10, vcc
	v_add_co_u32_e32 v7, vcc, v7, v9
	v_mul_hi_u32 v6, v4, v5
	v_addc_co_u32_e32 v7, vcc, v10, v8, vcc
	v_addc_co_u32_e32 v6, vcc, 0, v6, vcc
	v_mul_lo_u32 v5, v4, v5
	v_add_co_u32_e32 v5, vcc, v7, v5
	v_addc_co_u32_e32 v6, vcc, 0, v6, vcc
	v_add_co_u32_e32 v3, vcc, v3, v5
	v_addc_co_u32_e32 v6, vcc, v4, v6, vcc
	v_ashrrev_i32_e32 v8, 31, v1
	v_add_co_u32_e32 v4, vcc, v0, v8
	v_addc_co_u32_e32 v5, vcc, v1, v8, vcc
	v_xor_b32_e32 v10, v4, v8
	v_xor_b32_e32 v9, v5, v8
	v_mad_u64_u32 v[4:5], s[0:1], v10, v6, 0
	v_mul_hi_u32 v7, v10, v3
	v_add_co_u32_e32 v11, vcc, v7, v4
	v_addc_co_u32_e32 v12, vcc, 0, v5, vcc
	v_mad_u64_u32 v[4:5], s[0:1], v9, v6, 0
	v_mad_u64_u32 v[6:7], s[0:1], v9, v3, 0
	v_add_co_u32_e32 v3, vcc, v11, v6
	v_addc_co_u32_e32 v3, vcc, v12, v7, vcc
	v_addc_co_u32_e32 v5, vcc, 0, v5, vcc
	v_add_co_u32_e32 v3, vcc, v3, v4
	v_addc_co_u32_e32 v6, vcc, 0, v5, vcc
	v_mul_lo_u32 v7, s45, v3
	v_mul_lo_u32 v11, s44, v6
	v_mad_u64_u32 v[4:5], s[0:1], s44, v3, 0
	v_add3_u32 v5, v5, v11, v7
	v_sub_u32_e32 v7, v9, v5
	v_mov_b32_e32 v11, s45
	v_sub_co_u32_e32 v4, vcc, v10, v4
	v_subb_co_u32_e64 v7, s[0:1], v7, v11, vcc
	v_subrev_co_u32_e64 v10, s[0:1], s44, v4
	v_subbrev_co_u32_e64 v7, s[0:1], 0, v7, s[0:1]
	v_cmp_le_u32_e64 s[0:1], s45, v7
	v_cndmask_b32_e64 v11, 0, -1, s[0:1]
	v_cmp_le_u32_e64 s[0:1], s44, v10
	v_cndmask_b32_e64 v10, 0, -1, s[0:1]
	v_cmp_eq_u32_e64 s[0:1], s45, v7
	v_cndmask_b32_e64 v7, v11, v10, s[0:1]
	v_add_co_u32_e64 v10, s[0:1], 2, v3
	v_subb_co_u32_e32 v5, vcc, v9, v5, vcc
	v_addc_co_u32_e64 v11, s[0:1], 0, v6, s[0:1]
	v_cmp_le_u32_e32 vcc, s45, v5
	v_add_co_u32_e64 v12, s[0:1], 1, v3
	v_cndmask_b32_e64 v9, 0, -1, vcc
	v_cmp_le_u32_e32 vcc, s44, v4
	v_addc_co_u32_e64 v13, s[0:1], 0, v6, s[0:1]
	v_cndmask_b32_e64 v4, 0, -1, vcc
	v_cmp_eq_u32_e32 vcc, s45, v5
	v_cmp_ne_u32_e64 s[0:1], 0, v7
	v_cndmask_b32_e32 v4, v9, v4, vcc
	v_cmp_ne_u32_e32 vcc, 0, v4
	v_cndmask_b32_e64 v5, v12, v10, s[0:1]
	v_cndmask_b32_e64 v7, v13, v11, s[0:1]
	v_cndmask_b32_e32 v3, v3, v5, vcc
	v_xor_b32_e32 v5, s42, v8
	v_cndmask_b32_e32 v4, v6, v7, vcc
	v_xor_b32_e32 v3, v3, v5
	v_xor_b32_e32 v4, v4, v5
	v_sub_co_u32_e32 v6, vcc, v3, v5
	v_subb_co_u32_e32 v7, vcc, v4, v5, vcc
.LBB43_5:                               ;   in Loop: Header=BB43_3 Depth=1
	s_andn2_saveexec_b64 s[0:1], s[40:41]
	s_cbranch_execz .LBB43_7
; %bb.6:                                ;   in Loop: Header=BB43_3 Depth=1
	s_sub_i32 s40, 0, s2
	v_mul_lo_u32 v3, s40, v14
	v_mul_hi_u32 v3, v14, v3
	v_add_u32_e32 v3, v14, v3
	v_mul_hi_u32 v3, v0, v3
	v_mul_lo_u32 v4, v3, s2
	v_sub_u32_e32 v4, v0, v4
	v_subrev_u32_e32 v5, s2, v4
	v_cmp_le_u32_e32 vcc, s2, v4
	v_cndmask_b32_e32 v4, v4, v5, vcc
	v_add_u32_e32 v5, 1, v3
	v_cndmask_b32_e32 v3, v3, v5, vcc
	v_add_u32_e32 v5, 1, v3
	v_cmp_le_u32_e32 vcc, s2, v4
	v_cndmask_b32_e32 v6, v3, v5, vcc
	v_mov_b32_e32 v7, v2
.LBB43_7:                               ;   in Loop: Header=BB43_3 Depth=1
	s_or_b64 exec, exec, s[0:1]
	v_or_b32_e32 v3, s13, v7
	v_cmp_ne_u64_e32 vcc, 0, v[2:3]
                                        ; implicit-def: $vgpr10_vgpr11
	s_and_saveexec_b64 s[0:1], vcc
	s_xor_b64 s[40:41], exec, s[0:1]
	s_cbranch_execz .LBB43_9
; %bb.8:                                ;   in Loop: Header=BB43_3 Depth=1
	s_ashr_i32 s42, s13, 31
	s_add_u32 s0, s12, s42
	s_mov_b32 s43, s42
	s_addc_u32 s1, s13, s42
	s_xor_b64 s[44:45], s[0:1], s[42:43]
	v_cvt_f32_u32_e32 v3, s44
	v_cvt_f32_u32_e32 v4, s45
	s_sub_u32 s0, 0, s44
	s_subb_u32 s1, 0, s45
	v_mac_f32_e32 v3, 0x4f800000, v4
	v_rcp_f32_e32 v3, v3
	v_mul_f32_e32 v3, 0x5f7ffffc, v3
	v_mul_f32_e32 v4, 0x2f800000, v3
	v_trunc_f32_e32 v4, v4
	v_mac_f32_e32 v3, 0xcf800000, v4
	v_cvt_u32_f32_e32 v4, v4
	v_cvt_u32_f32_e32 v3, v3
	v_mul_lo_u32 v5, s0, v4
	v_mul_hi_u32 v9, s0, v3
	v_mul_lo_u32 v8, s1, v3
	v_add_u32_e32 v5, v9, v5
	v_mul_lo_u32 v10, s0, v3
	v_add_u32_e32 v5, v5, v8
	v_mul_lo_u32 v9, v3, v5
	v_mul_hi_u32 v11, v3, v10
	v_mul_hi_u32 v8, v3, v5
	v_add_co_u32_e32 v9, vcc, v11, v9
	v_addc_co_u32_e32 v8, vcc, 0, v8, vcc
	v_mul_hi_u32 v12, v4, v10
	v_mul_lo_u32 v10, v4, v10
	v_add_co_u32_e32 v9, vcc, v9, v10
	v_mul_hi_u32 v11, v4, v5
	v_addc_co_u32_e32 v8, vcc, v8, v12, vcc
	v_addc_co_u32_e32 v9, vcc, 0, v11, vcc
	v_mul_lo_u32 v5, v4, v5
	v_add_co_u32_e32 v5, vcc, v8, v5
	v_addc_co_u32_e32 v8, vcc, 0, v9, vcc
	v_add_co_u32_e32 v3, vcc, v3, v5
	v_addc_co_u32_e32 v4, vcc, v4, v8, vcc
	v_mul_lo_u32 v5, s0, v4
	v_mul_hi_u32 v8, s0, v3
	v_add_u32_e32 v5, v8, v5
	v_mul_lo_u32 v8, s1, v3
	v_add_u32_e32 v5, v5, v8
	v_mul_lo_u32 v9, s0, v3
	v_mul_hi_u32 v10, v4, v9
	v_mul_lo_u32 v11, v4, v9
	v_mul_lo_u32 v13, v3, v5
	v_mul_hi_u32 v9, v3, v9
	v_mul_hi_u32 v12, v3, v5
	v_add_co_u32_e32 v9, vcc, v9, v13
	v_addc_co_u32_e32 v12, vcc, 0, v12, vcc
	v_add_co_u32_e32 v9, vcc, v9, v11
	v_mul_hi_u32 v8, v4, v5
	v_addc_co_u32_e32 v9, vcc, v12, v10, vcc
	v_addc_co_u32_e32 v8, vcc, 0, v8, vcc
	v_mul_lo_u32 v5, v4, v5
	v_add_co_u32_e32 v5, vcc, v9, v5
	v_addc_co_u32_e32 v8, vcc, 0, v8, vcc
	v_add_co_u32_e32 v3, vcc, v3, v5
	v_addc_co_u32_e32 v8, vcc, v4, v8, vcc
	v_ashrrev_i32_e32 v10, 31, v7
	v_add_co_u32_e32 v4, vcc, v6, v10
	v_addc_co_u32_e32 v5, vcc, v7, v10, vcc
	v_xor_b32_e32 v12, v4, v10
	v_xor_b32_e32 v11, v5, v10
	v_mad_u64_u32 v[4:5], s[0:1], v12, v8, 0
	v_mul_hi_u32 v9, v12, v3
	v_add_co_u32_e32 v13, vcc, v9, v4
	v_addc_co_u32_e32 v15, vcc, 0, v5, vcc
	v_mad_u64_u32 v[4:5], s[0:1], v11, v8, 0
	v_mad_u64_u32 v[8:9], s[0:1], v11, v3, 0
	v_add_co_u32_e32 v3, vcc, v13, v8
	v_addc_co_u32_e32 v3, vcc, v15, v9, vcc
	v_addc_co_u32_e32 v5, vcc, 0, v5, vcc
	v_add_co_u32_e32 v3, vcc, v3, v4
	v_addc_co_u32_e32 v8, vcc, 0, v5, vcc
	v_mul_lo_u32 v9, s45, v3
	v_mul_lo_u32 v13, s44, v8
	v_mad_u64_u32 v[4:5], s[0:1], s44, v3, 0
	v_add3_u32 v5, v5, v13, v9
	v_sub_u32_e32 v9, v11, v5
	v_mov_b32_e32 v13, s45
	v_sub_co_u32_e32 v4, vcc, v12, v4
	v_subb_co_u32_e64 v9, s[0:1], v9, v13, vcc
	v_subrev_co_u32_e64 v12, s[0:1], s44, v4
	v_subbrev_co_u32_e64 v9, s[0:1], 0, v9, s[0:1]
	v_cmp_le_u32_e64 s[0:1], s45, v9
	v_cndmask_b32_e64 v13, 0, -1, s[0:1]
	v_cmp_le_u32_e64 s[0:1], s44, v12
	v_cndmask_b32_e64 v12, 0, -1, s[0:1]
	v_cmp_eq_u32_e64 s[0:1], s45, v9
	v_cndmask_b32_e64 v9, v13, v12, s[0:1]
	v_add_co_u32_e64 v12, s[0:1], 2, v3
	v_subb_co_u32_e32 v5, vcc, v11, v5, vcc
	v_addc_co_u32_e64 v13, s[0:1], 0, v8, s[0:1]
	v_cmp_le_u32_e32 vcc, s45, v5
	v_add_co_u32_e64 v15, s[0:1], 1, v3
	v_cndmask_b32_e64 v11, 0, -1, vcc
	v_cmp_le_u32_e32 vcc, s44, v4
	v_addc_co_u32_e64 v16, s[0:1], 0, v8, s[0:1]
	v_cndmask_b32_e64 v4, 0, -1, vcc
	v_cmp_eq_u32_e32 vcc, s45, v5
	v_cmp_ne_u32_e64 s[0:1], 0, v9
	v_cndmask_b32_e32 v4, v11, v4, vcc
	v_cmp_ne_u32_e32 vcc, 0, v4
	v_cndmask_b32_e64 v5, v15, v12, s[0:1]
	v_cndmask_b32_e64 v9, v16, v13, s[0:1]
	v_cndmask_b32_e32 v3, v3, v5, vcc
	v_xor_b32_e32 v5, s42, v10
	v_cndmask_b32_e32 v4, v8, v9, vcc
	v_xor_b32_e32 v3, v3, v5
	v_xor_b32_e32 v4, v4, v5
	v_sub_co_u32_e32 v10, vcc, v3, v5
	v_subb_co_u32_e32 v11, vcc, v4, v5, vcc
.LBB43_9:                               ;   in Loop: Header=BB43_3 Depth=1
	s_andn2_saveexec_b64 s[0:1], s[40:41]
	s_cbranch_execz .LBB43_11
; %bb.10:                               ;   in Loop: Header=BB43_3 Depth=1
	v_cvt_f32_u32_e32 v3, s12
	s_sub_i32 s40, 0, s12
	v_mov_b32_e32 v11, v2
	v_rcp_iflag_f32_e32 v3, v3
	v_mul_f32_e32 v3, 0x4f7ffffe, v3
	v_cvt_u32_f32_e32 v3, v3
	v_mul_lo_u32 v4, s40, v3
	v_mul_hi_u32 v4, v3, v4
	v_add_u32_e32 v3, v3, v4
	v_mul_hi_u32 v3, v6, v3
	v_mul_lo_u32 v4, v3, s12
	v_sub_u32_e32 v4, v6, v4
	v_add_u32_e32 v5, 1, v3
	v_subrev_u32_e32 v8, s12, v4
	v_cmp_le_u32_e32 vcc, s12, v4
	v_cndmask_b32_e32 v4, v4, v8, vcc
	v_cndmask_b32_e32 v3, v3, v5, vcc
	v_add_u32_e32 v5, 1, v3
	v_cmp_le_u32_e32 vcc, s12, v4
	v_cndmask_b32_e32 v10, v3, v5, vcc
.LBB43_11:                              ;   in Loop: Header=BB43_3 Depth=1
	s_or_b64 exec, exec, s[0:1]
	v_mul_lo_u32 v3, v7, s2
	v_mul_lo_u32 v8, v6, s3
	v_mad_u64_u32 v[4:5], s[0:1], v6, s2, 0
	v_add3_u32 v3, v5, v8, v3
	v_sub_co_u32_e32 v4, vcc, v0, v4
	v_subb_co_u32_e32 v5, vcc, v1, v3, vcc
	v_mul_lo_u32 v3, v11, s12
	v_mul_lo_u32 v12, v10, s13
	v_mad_u64_u32 v[8:9], s[0:1], v10, s12, 0
	v_add3_u32 v3, v9, v12, v3
	v_sub_co_u32_e32 v15, vcc, v6, v8
	v_subb_co_u32_e32 v16, vcc, v7, v3, vcc
	v_mul_lo_u32 v3, s19, v4
	v_mul_lo_u32 v8, s18, v5
	v_mad_u64_u32 v[6:7], s[0:1], s18, v4, 0
	v_add3_u32 v7, v7, v8, v3
	v_mul_lo_u32 v3, s23, v4
	v_mul_lo_u32 v8, s22, v5
	v_mad_u64_u32 v[12:13], s[0:1], s22, v4, 0
	v_add3_u32 v13, v13, v8, v3
	v_mad_u64_u32 v[8:9], s[0:1], s16, v15, v[6:7]
	v_mul_lo_u32 v3, s16, v16
	v_mul_lo_u32 v6, s17, v15
	v_add3_u32 v9, v6, v9, v3
	v_mad_u64_u32 v[6:7], s[0:1], s20, v15, v[12:13]
	v_mul_lo_u32 v3, s20, v16
	v_mul_lo_u32 v12, s21, v15
	v_add3_u32 v7, v12, v7, v3
	s_and_b64 vcc, exec, s[24:25]
	s_mov_b64 s[40:41], s[36:37]
	s_mov_b64 s[42:43], s[34:35]
	;; [unrolled: 1-line block ×3, first 2 shown]
	s_cbranch_vccnz .LBB43_28
.LBB43_12:                              ;   in Loop: Header=BB43_3 Depth=1
	v_sub_co_u32_e32 v10, vcc, v4, v15
	v_subb_co_u32_e32 v11, vcc, v5, v16, vcc
	v_cmp_ge_i64_e32 vcc, s[8:9], v[10:11]
	v_mov_b32_e32 v3, 0
	v_mov_b32_e32 v16, 0
	;; [unrolled: 1-line block ×4, first 2 shown]
	s_and_saveexec_b64 s[0:1], vcc
	s_cbranch_execz .LBB43_22
; %bb.13:                               ;   in Loop: Header=BB43_3 Depth=1
	v_cmp_gt_i64_e32 vcc, s[14:15], v[4:5]
	v_mov_b32_e32 v15, 0
	v_mov_b32_e32 v13, 0
	;; [unrolled: 1-line block ×4, first 2 shown]
	s_and_saveexec_b64 s[40:41], vcc
	s_cbranch_execz .LBB43_21
; %bb.14:                               ;   in Loop: Header=BB43_3 Depth=1
	v_lshlrev_b64 v[8:9], 1, v[8:9]
	v_mov_b32_e32 v3, s7
	v_add_co_u32_e32 v8, vcc, s6, v8
	v_addc_co_u32_e32 v9, vcc, v3, v9, vcc
	global_load_ushort v3, v[8:9], off
	v_add_co_u32_e32 v12, vcc, 1, v4
	v_addc_co_u32_e32 v13, vcc, 0, v5, vcc
	v_cmp_gt_i64_e32 vcc, s[14:15], v[12:13]
	v_mov_b32_e32 v12, 0
	v_mov_b32_e32 v13, 0
	;; [unrolled: 1-line block ×3, first 2 shown]
	s_and_saveexec_b64 s[42:43], vcc
	s_cbranch_execz .LBB43_20
; %bb.15:                               ;   in Loop: Header=BB43_3 Depth=1
	s_lshl_b64 s[44:45], s[18:19], 1
	v_mov_b32_e32 v13, s45
	v_add_co_u32_e32 v12, vcc, s44, v8
	v_addc_co_u32_e32 v13, vcc, v9, v13, vcc
	global_load_ushort v12, v[12:13], off
	v_add_co_u32_e32 v16, vcc, 2, v4
	v_addc_co_u32_e32 v17, vcc, 0, v5, vcc
	v_cmp_gt_i64_e32 vcc, s[14:15], v[16:17]
	v_mov_b32_e32 v13, 0
	v_mov_b32_e32 v15, 0
	s_and_saveexec_b64 s[44:45], vcc
	s_cbranch_execz .LBB43_19
; %bb.16:                               ;   in Loop: Header=BB43_3 Depth=1
	v_mov_b32_e32 v13, s27
	v_add_co_u32_e32 v16, vcc, s26, v8
	v_addc_co_u32_e32 v17, vcc, v9, v13, vcc
	global_load_ushort v13, v[16:17], off
	v_add_co_u32_e32 v16, vcc, 3, v4
	v_addc_co_u32_e32 v17, vcc, 0, v5, vcc
	v_cmp_gt_i64_e32 vcc, s[14:15], v[16:17]
	v_mov_b32_e32 v15, 0
	s_and_saveexec_b64 s[46:47], vcc
	s_cbranch_execz .LBB43_18
; %bb.17:                               ;   in Loop: Header=BB43_3 Depth=1
	v_mov_b32_e32 v15, s55
	v_add_co_u32_e32 v8, vcc, s56, v8
	v_addc_co_u32_e32 v9, vcc, v9, v15, vcc
	global_load_ushort v15, v[8:9], off
.LBB43_18:                              ;   in Loop: Header=BB43_3 Depth=1
	s_or_b64 exec, exec, s[46:47]
.LBB43_19:                              ;   in Loop: Header=BB43_3 Depth=1
	s_or_b64 exec, exec, s[44:45]
.LBB43_20:                              ;   in Loop: Header=BB43_3 Depth=1
	s_or_b64 exec, exec, s[42:43]
.LBB43_21:                              ;   in Loop: Header=BB43_3 Depth=1
	s_or_b64 exec, exec, s[40:41]
	v_add_co_u32_e32 v8, vcc, 1, v10
	v_addc_co_u32_e32 v9, vcc, 0, v11, vcc
	v_cmp_ge_i64_e32 vcc, s[8:9], v[8:9]
	s_waitcnt vmcnt(0)
	v_cndmask_b32_e32 v16, 0, v12, vcc
	v_add_co_u32_e32 v8, vcc, 2, v10
	v_addc_co_u32_e32 v9, vcc, 0, v11, vcc
	v_cmp_ge_i64_e32 vcc, s[8:9], v[8:9]
	v_cndmask_b32_e32 v13, 0, v13, vcc
	v_add_co_u32_e32 v8, vcc, 3, v10
	v_addc_co_u32_e32 v9, vcc, 0, v11, vcc
	v_cmp_ge_i64_e32 vcc, s[8:9], v[8:9]
	v_cndmask_b32_e32 v12, 0, v15, vcc
.LBB43_22:                              ;   in Loop: Header=BB43_3 Depth=1
	s_or_b64 exec, exec, s[0:1]
	v_cmp_gt_i64_e32 vcc, s[14:15], v[4:5]
	s_and_saveexec_b64 s[0:1], vcc
	s_cbranch_execz .LBB43_2
; %bb.23:                               ;   in Loop: Header=BB43_3 Depth=1
	v_lshlrev_b64 v[6:7], 1, v[6:7]
	v_mov_b32_e32 v8, s5
	v_add_co_u32_e32 v6, vcc, s4, v6
	v_addc_co_u32_e32 v7, vcc, v8, v7, vcc
	v_add_co_u32_e32 v8, vcc, 1, v4
	v_addc_co_u32_e32 v9, vcc, 0, v5, vcc
	v_cmp_gt_i64_e32 vcc, s[14:15], v[8:9]
	global_store_short v[6:7], v3, off
	s_and_saveexec_b64 s[40:41], vcc
	s_xor_b64 s[40:41], exec, s[40:41]
	s_cbranch_execz .LBB43_2
; %bb.24:                               ;   in Loop: Header=BB43_3 Depth=1
	s_lshl_b64 s[40:41], s[22:23], 1
	v_mov_b32_e32 v3, s41
	v_add_co_u32_e32 v8, vcc, s40, v6
	v_addc_co_u32_e32 v9, vcc, v7, v3, vcc
	global_store_short v[8:9], v16, off
	v_add_co_u32_e32 v8, vcc, 2, v4
	v_addc_co_u32_e32 v9, vcc, 0, v5, vcc
	v_cmp_gt_i64_e32 vcc, s[14:15], v[8:9]
	s_and_saveexec_b64 s[40:41], vcc
	s_xor_b64 s[40:41], exec, s[40:41]
	s_cbranch_execz .LBB43_2
; %bb.25:                               ;   in Loop: Header=BB43_3 Depth=1
	v_mov_b32_e32 v3, s29
	v_add_co_u32_e32 v8, vcc, s28, v6
	v_addc_co_u32_e32 v9, vcc, v7, v3, vcc
	v_add_co_u32_e32 v4, vcc, 3, v4
	v_addc_co_u32_e32 v5, vcc, 0, v5, vcc
	v_cmp_gt_i64_e32 vcc, s[14:15], v[4:5]
	global_store_short v[8:9], v13, off
	s_and_saveexec_b64 s[40:41], vcc
	s_xor_b64 s[40:41], exec, s[40:41]
	s_cbranch_execz .LBB43_2
; %bb.26:                               ;   in Loop: Header=BB43_3 Depth=1
	v_mov_b32_e32 v3, s57
	v_add_co_u32_e32 v4, vcc, s58, v6
	v_addc_co_u32_e32 v5, vcc, v7, v3, vcc
	global_store_short v[4:5], v12, off
	s_branch .LBB43_2
.LBB43_27:                              ;   in Loop: Header=BB43_28 Depth=2
	s_or_b64 exec, exec, s[0:1]
	v_mad_u64_u32 v[18:19], s[0:1], v12, s46, 0
	v_mul_lo_u32 v3, v13, s46
	v_mul_lo_u32 v17, v12, s47
	s_load_dwordx2 s[0:1], s[42:43], 0xc8
	s_load_dwordx2 s[46:47], s[44:45], 0x0
	s_add_u32 s44, s44, -8
	s_addc_u32 s45, s45, -1
	s_add_u32 s42, s42, -8
	v_add3_u32 v3, v19, v17, v3
	v_sub_co_u32_e32 v10, vcc, v10, v18
	s_addc_u32 s43, s43, -1
	v_subb_co_u32_e32 v3, vcc, v11, v3, vcc
	s_add_u32 s40, s40, -1
	s_waitcnt lgkmcnt(0)
	v_mul_lo_u32 v11, s0, v3
	v_mul_lo_u32 v17, s1, v10
	v_mad_u64_u32 v[8:9], s[0:1], s0, v10, v[8:9]
	v_mad_u64_u32 v[6:7], s[0:1], s46, v10, v[6:7]
	s_addc_u32 s41, s41, -1
	v_add3_u32 v9, v17, v9, v11
	v_mul_lo_u32 v3, s46, v3
	v_mul_lo_u32 v11, s47, v10
	v_cmp_lt_i64_e64 s[0:1], s[40:41], 1
	v_add3_u32 v7, v11, v7, v3
	s_and_b64 vcc, exec, s[0:1]
	v_pk_mov_b32 v[10:11], v[12:13], v[12:13] op_sel:[0,1]
	s_cbranch_vccnz .LBB43_12
.LBB43_28:                              ;   Parent Loop BB43_3 Depth=1
                                        ; =>  This Inner Loop Header: Depth=2
	s_load_dwordx2 s[46:47], s[42:43], 0x0
                                        ; implicit-def: $vgpr12_vgpr13
	s_waitcnt lgkmcnt(0)
	v_or_b32_e32 v3, s47, v11
	v_cmp_ne_u64_e32 vcc, 0, v[2:3]
	s_and_saveexec_b64 s[0:1], vcc
	s_xor_b64 s[48:49], exec, s[0:1]
	s_cbranch_execz .LBB43_30
; %bb.29:                               ;   in Loop: Header=BB43_28 Depth=2
	s_ashr_i32 s50, s47, 31
	s_add_u32 s0, s46, s50
	s_mov_b32 s51, s50
	s_addc_u32 s1, s47, s50
	s_xor_b64 s[52:53], s[0:1], s[50:51]
	v_cvt_f32_u32_e32 v3, s52
	v_cvt_f32_u32_e32 v12, s53
	s_sub_u32 s0, 0, s52
	s_subb_u32 s1, 0, s53
	v_mac_f32_e32 v3, 0x4f800000, v12
	v_rcp_f32_e32 v3, v3
	v_mul_f32_e32 v3, 0x5f7ffffc, v3
	v_mul_f32_e32 v12, 0x2f800000, v3
	v_trunc_f32_e32 v12, v12
	v_mac_f32_e32 v3, 0xcf800000, v12
	v_cvt_u32_f32_e32 v12, v12
	v_cvt_u32_f32_e32 v3, v3
	v_mul_lo_u32 v13, s0, v12
	v_mul_hi_u32 v18, s0, v3
	v_mul_lo_u32 v17, s1, v3
	v_add_u32_e32 v13, v18, v13
	v_mul_lo_u32 v19, s0, v3
	v_add_u32_e32 v13, v13, v17
	v_mul_lo_u32 v18, v3, v13
	v_mul_hi_u32 v20, v3, v19
	v_mul_hi_u32 v17, v3, v13
	v_add_co_u32_e32 v18, vcc, v20, v18
	v_addc_co_u32_e32 v17, vcc, 0, v17, vcc
	v_mul_hi_u32 v21, v12, v19
	v_mul_lo_u32 v19, v12, v19
	v_add_co_u32_e32 v18, vcc, v18, v19
	v_mul_hi_u32 v20, v12, v13
	v_addc_co_u32_e32 v17, vcc, v17, v21, vcc
	v_addc_co_u32_e32 v18, vcc, 0, v20, vcc
	v_mul_lo_u32 v13, v12, v13
	v_add_co_u32_e32 v13, vcc, v17, v13
	v_addc_co_u32_e32 v17, vcc, 0, v18, vcc
	v_add_co_u32_e32 v3, vcc, v3, v13
	v_addc_co_u32_e32 v12, vcc, v12, v17, vcc
	v_mul_lo_u32 v13, s0, v12
	v_mul_hi_u32 v17, s0, v3
	v_add_u32_e32 v13, v17, v13
	v_mul_lo_u32 v17, s1, v3
	v_add_u32_e32 v13, v13, v17
	v_mul_lo_u32 v18, s0, v3
	v_mul_hi_u32 v19, v12, v18
	v_mul_lo_u32 v20, v12, v18
	v_mul_lo_u32 v22, v3, v13
	v_mul_hi_u32 v18, v3, v18
	v_mul_hi_u32 v21, v3, v13
	v_add_co_u32_e32 v18, vcc, v18, v22
	v_addc_co_u32_e32 v21, vcc, 0, v21, vcc
	v_add_co_u32_e32 v18, vcc, v18, v20
	v_mul_hi_u32 v17, v12, v13
	v_addc_co_u32_e32 v18, vcc, v21, v19, vcc
	v_addc_co_u32_e32 v17, vcc, 0, v17, vcc
	v_mul_lo_u32 v13, v12, v13
	v_add_co_u32_e32 v13, vcc, v18, v13
	v_addc_co_u32_e32 v17, vcc, 0, v17, vcc
	v_add_co_u32_e32 v3, vcc, v3, v13
	v_addc_co_u32_e32 v17, vcc, v12, v17, vcc
	v_ashrrev_i32_e32 v20, 31, v11
	v_add_co_u32_e32 v12, vcc, v10, v20
	v_addc_co_u32_e32 v13, vcc, v11, v20, vcc
	v_xor_b32_e32 v22, v12, v20
	v_xor_b32_e32 v21, v13, v20
	v_mad_u64_u32 v[12:13], s[0:1], v22, v17, 0
	v_mul_hi_u32 v18, v22, v3
	v_add_co_u32_e32 v23, vcc, v18, v12
	v_addc_co_u32_e32 v24, vcc, 0, v13, vcc
	v_mad_u64_u32 v[18:19], s[0:1], v21, v3, 0
	v_add_co_u32_e32 v3, vcc, v23, v18
	v_mad_u64_u32 v[12:13], s[0:1], v21, v17, 0
	v_addc_co_u32_e32 v3, vcc, v24, v19, vcc
	v_addc_co_u32_e32 v13, vcc, 0, v13, vcc
	v_add_co_u32_e32 v3, vcc, v3, v12
	v_addc_co_u32_e32 v17, vcc, 0, v13, vcc
	v_mul_lo_u32 v18, s53, v3
	v_mul_lo_u32 v19, s52, v17
	v_mad_u64_u32 v[12:13], s[0:1], s52, v3, 0
	v_add3_u32 v13, v13, v19, v18
	v_sub_u32_e32 v18, v21, v13
	v_mov_b32_e32 v19, s53
	v_sub_co_u32_e32 v12, vcc, v22, v12
	v_subb_co_u32_e64 v18, s[0:1], v18, v19, vcc
	v_subrev_co_u32_e64 v19, s[0:1], s52, v12
	v_subbrev_co_u32_e64 v18, s[0:1], 0, v18, s[0:1]
	v_cmp_le_u32_e64 s[0:1], s53, v18
	v_cndmask_b32_e64 v22, 0, -1, s[0:1]
	v_cmp_le_u32_e64 s[0:1], s52, v19
	v_cndmask_b32_e64 v19, 0, -1, s[0:1]
	v_cmp_eq_u32_e64 s[0:1], s53, v18
	v_cndmask_b32_e64 v18, v22, v19, s[0:1]
	v_add_co_u32_e64 v19, s[0:1], 2, v3
	v_subb_co_u32_e32 v13, vcc, v21, v13, vcc
	v_addc_co_u32_e64 v22, s[0:1], 0, v17, s[0:1]
	v_cmp_le_u32_e32 vcc, s53, v13
	v_add_co_u32_e64 v23, s[0:1], 1, v3
	v_cndmask_b32_e64 v21, 0, -1, vcc
	v_cmp_le_u32_e32 vcc, s52, v12
	v_addc_co_u32_e64 v24, s[0:1], 0, v17, s[0:1]
	v_cndmask_b32_e64 v12, 0, -1, vcc
	v_cmp_eq_u32_e32 vcc, s53, v13
	v_cmp_ne_u32_e64 s[0:1], 0, v18
	v_cndmask_b32_e32 v12, v21, v12, vcc
	v_cmp_ne_u32_e32 vcc, 0, v12
	v_cndmask_b32_e64 v13, v23, v19, s[0:1]
	v_cndmask_b32_e64 v18, v24, v22, s[0:1]
	v_cndmask_b32_e32 v3, v3, v13, vcc
	v_xor_b32_e32 v13, s50, v20
	v_cndmask_b32_e32 v12, v17, v18, vcc
	v_xor_b32_e32 v3, v3, v13
	v_xor_b32_e32 v17, v12, v13
	v_sub_co_u32_e32 v12, vcc, v3, v13
	v_subb_co_u32_e32 v13, vcc, v17, v13, vcc
.LBB43_30:                              ;   in Loop: Header=BB43_28 Depth=2
	s_andn2_saveexec_b64 s[0:1], s[48:49]
	s_cbranch_execz .LBB43_27
; %bb.31:                               ;   in Loop: Header=BB43_28 Depth=2
	v_cvt_f32_u32_e32 v3, s46
	s_sub_i32 s48, 0, s46
	v_rcp_iflag_f32_e32 v3, v3
	v_mul_f32_e32 v3, 0x4f7ffffe, v3
	v_cvt_u32_f32_e32 v3, v3
	v_mul_lo_u32 v12, s48, v3
	v_mul_hi_u32 v12, v3, v12
	v_add_u32_e32 v3, v3, v12
	v_mul_hi_u32 v3, v10, v3
	v_mul_lo_u32 v12, v3, s46
	v_sub_u32_e32 v12, v10, v12
	v_add_u32_e32 v13, 1, v3
	v_subrev_u32_e32 v17, s46, v12
	v_cmp_le_u32_e32 vcc, s46, v12
	v_cndmask_b32_e32 v12, v12, v17, vcc
	v_cndmask_b32_e32 v3, v3, v13, vcc
	v_add_u32_e32 v13, 1, v3
	v_cmp_le_u32_e32 vcc, s46, v12
	v_cndmask_b32_e32 v12, v3, v13, vcc
	v_mov_b32_e32 v13, v2
	s_branch .LBB43_27
.LBB43_32:
	s_endpgm
	.section	.rodata,"a",@progbits
	.p2align	6, 0x0
	.amdhsa_kernel _ZN2at6native16triu_tril_kernelIN3c104HalfElLb0ELi4ELb0EEEvNS_4cuda6detail10TensorInfoIT_T0_EENS6_IKS7_S8_EEllS8_
		.amdhsa_group_segment_fixed_size 0
		.amdhsa_private_segment_fixed_size 0
		.amdhsa_kernarg_size 1112
		.amdhsa_user_sgpr_count 6
		.amdhsa_user_sgpr_private_segment_buffer 1
		.amdhsa_user_sgpr_dispatch_ptr 0
		.amdhsa_user_sgpr_queue_ptr 0
		.amdhsa_user_sgpr_kernarg_segment_ptr 1
		.amdhsa_user_sgpr_dispatch_id 0
		.amdhsa_user_sgpr_flat_scratch_init 0
		.amdhsa_user_sgpr_kernarg_preload_length 0
		.amdhsa_user_sgpr_kernarg_preload_offset 0
		.amdhsa_user_sgpr_private_segment_size 0
		.amdhsa_uses_dynamic_stack 0
		.amdhsa_system_sgpr_private_segment_wavefront_offset 0
		.amdhsa_system_sgpr_workgroup_id_x 1
		.amdhsa_system_sgpr_workgroup_id_y 0
		.amdhsa_system_sgpr_workgroup_id_z 0
		.amdhsa_system_sgpr_workgroup_info 0
		.amdhsa_system_vgpr_workitem_id 0
		.amdhsa_next_free_vgpr 25
		.amdhsa_next_free_sgpr 59
		.amdhsa_accum_offset 28
		.amdhsa_reserve_vcc 1
		.amdhsa_reserve_flat_scratch 0
		.amdhsa_float_round_mode_32 0
		.amdhsa_float_round_mode_16_64 0
		.amdhsa_float_denorm_mode_32 3
		.amdhsa_float_denorm_mode_16_64 3
		.amdhsa_dx10_clamp 1
		.amdhsa_ieee_mode 1
		.amdhsa_fp16_overflow 0
		.amdhsa_tg_split 0
		.amdhsa_exception_fp_ieee_invalid_op 0
		.amdhsa_exception_fp_denorm_src 0
		.amdhsa_exception_fp_ieee_div_zero 0
		.amdhsa_exception_fp_ieee_overflow 0
		.amdhsa_exception_fp_ieee_underflow 0
		.amdhsa_exception_fp_ieee_inexact 0
		.amdhsa_exception_int_div_zero 0
	.end_amdhsa_kernel
	.section	.text._ZN2at6native16triu_tril_kernelIN3c104HalfElLb0ELi4ELb0EEEvNS_4cuda6detail10TensorInfoIT_T0_EENS6_IKS7_S8_EEllS8_,"axG",@progbits,_ZN2at6native16triu_tril_kernelIN3c104HalfElLb0ELi4ELb0EEEvNS_4cuda6detail10TensorInfoIT_T0_EENS6_IKS7_S8_EEllS8_,comdat
.Lfunc_end43:
	.size	_ZN2at6native16triu_tril_kernelIN3c104HalfElLb0ELi4ELb0EEEvNS_4cuda6detail10TensorInfoIT_T0_EENS6_IKS7_S8_EEllS8_, .Lfunc_end43-_ZN2at6native16triu_tril_kernelIN3c104HalfElLb0ELi4ELb0EEEvNS_4cuda6detail10TensorInfoIT_T0_EENS6_IKS7_S8_EEllS8_
                                        ; -- End function
	.section	.AMDGPU.csdata,"",@progbits
; Kernel info:
; codeLenInByte = 3676
; NumSgprs: 63
; NumVgprs: 25
; NumAgprs: 0
; TotalNumVgprs: 25
; ScratchSize: 0
; MemoryBound: 0
; FloatMode: 240
; IeeeMode: 1
; LDSByteSize: 0 bytes/workgroup (compile time only)
; SGPRBlocks: 7
; VGPRBlocks: 3
; NumSGPRsForWavesPerEU: 63
; NumVGPRsForWavesPerEU: 25
; AccumOffset: 28
; Occupancy: 8
; WaveLimiterHint : 0
; COMPUTE_PGM_RSRC2:SCRATCH_EN: 0
; COMPUTE_PGM_RSRC2:USER_SGPR: 6
; COMPUTE_PGM_RSRC2:TRAP_HANDLER: 0
; COMPUTE_PGM_RSRC2:TGID_X_EN: 1
; COMPUTE_PGM_RSRC2:TGID_Y_EN: 0
; COMPUTE_PGM_RSRC2:TGID_Z_EN: 0
; COMPUTE_PGM_RSRC2:TIDIG_COMP_CNT: 0
; COMPUTE_PGM_RSRC3_GFX90A:ACCUM_OFFSET: 6
; COMPUTE_PGM_RSRC3_GFX90A:TG_SPLIT: 0
	.section	.text._ZN2at6native16triu_tril_kernelIN3c108BFloat16EiLb0ELi4ELb1EEEvNS_4cuda6detail10TensorInfoIT_T0_EENS6_IKS7_S8_EEllS8_,"axG",@progbits,_ZN2at6native16triu_tril_kernelIN3c108BFloat16EiLb0ELi4ELb1EEEvNS_4cuda6detail10TensorInfoIT_T0_EENS6_IKS7_S8_EEllS8_,comdat
	.protected	_ZN2at6native16triu_tril_kernelIN3c108BFloat16EiLb0ELi4ELb1EEEvNS_4cuda6detail10TensorInfoIT_T0_EENS6_IKS7_S8_EEllS8_ ; -- Begin function _ZN2at6native16triu_tril_kernelIN3c108BFloat16EiLb0ELi4ELb1EEEvNS_4cuda6detail10TensorInfoIT_T0_EENS6_IKS7_S8_EEllS8_
	.globl	_ZN2at6native16triu_tril_kernelIN3c108BFloat16EiLb0ELi4ELb1EEEvNS_4cuda6detail10TensorInfoIT_T0_EENS6_IKS7_S8_EEllS8_
	.p2align	8
	.type	_ZN2at6native16triu_tril_kernelIN3c108BFloat16EiLb0ELi4ELb1EEEvNS_4cuda6detail10TensorInfoIT_T0_EENS6_IKS7_S8_EEllS8_,@function
_ZN2at6native16triu_tril_kernelIN3c108BFloat16EiLb0ELi4ELb1EEEvNS_4cuda6detail10TensorInfoIT_T0_EENS6_IKS7_S8_EEllS8_: ; @_ZN2at6native16triu_tril_kernelIN3c108BFloat16EiLb0ELi4ELb1EEEvNS_4cuda6detail10TensorInfoIT_T0_EENS6_IKS7_S8_EEllS8_
; %bb.0:
	s_load_dword s2, s[4:5], 0x1d4
	s_load_dwordx4 s[8:11], s[4:5], 0x1b0
	s_add_u32 s0, s4, 0x1c8
	v_mov_b32_e32 v2, 0
	s_addc_u32 s1, s5, 0
	s_waitcnt lgkmcnt(0)
	s_and_b32 s7, s2, 0xffff
	v_mov_b32_e32 v1, v2
	v_mov_b32_e32 v3, s6
	v_mad_u64_u32 v[0:1], s[2:3], s7, v3, v[0:1]
	v_lshlrev_b64 v[0:1], 2, v[0:1]
	v_cmp_gt_i64_e32 vcc, s[10:11], v[0:1]
	s_and_saveexec_b64 s[2:3], vcc
	s_cbranch_execz .LBB44_69
; %bb.1:
	s_load_dword s33, s[4:5], 0x1c0
	s_load_dword s14, s[4:5], 0x1a8
	;; [unrolled: 1-line block ×3, first 2 shown]
	s_load_dwordx2 s[2:3], s[4:5], 0x0
	s_mov_b64 s[22:23], 0
	s_waitcnt lgkmcnt(0)
	s_ashr_i32 s38, s33, 31
	s_ashr_i32 s15, s14, 31
	s_add_u32 s39, s4, 0xe0
	s_addc_u32 s40, s5, 0
	s_add_i32 s0, s14, -2
	s_ashr_i32 s1, s0, 31
	s_lshl_b64 s[12:13], s[0:1], 2
	s_add_u32 s16, s39, s12
	s_addc_u32 s17, s40, s13
	s_load_dword s41, s[16:17], 0x0
	s_lshl_b64 s[16:17], s[14:15], 2
	s_mul_i32 s1, s6, s7
	v_cmp_gt_i64_e64 s[6:7], s[14:15], 2
	v_cvt_f32_u32_e32 v3, s33
	s_waitcnt lgkmcnt(0)
	s_ashr_i32 s42, s41, 31
	s_add_u32 s15, s16, -4
	s_addc_u32 s16, s17, -1
	s_add_u32 s43, s4, 0x6c
	s_addc_u32 s44, s5, 0
	s_add_u32 s4, s43, s15
	v_rcp_iflag_f32_e32 v3, v3
	s_addc_u32 s5, s44, s16
	s_add_u32 s12, s43, s12
	s_addc_u32 s13, s44, s13
	s_add_i32 s45, s14, -3
	s_add_u32 s14, s39, s15
	v_mul_f32_e32 v3, 0x4f7ffffe, v3
	s_addc_u32 s15, s40, s16
	s_lshl_b32 s46, s1, 2
	s_and_b32 s48, s0, 7
	v_cvt_u32_f32_e32 v26, v3
	s_cmp_lg_u32 s48, 0
	s_mov_b32 s17, 0
	s_cselect_b64 s[18:19], -1, 0
	s_cmp_gt_u32 s45, 6
	s_mov_b32 s47, s17
	s_cselect_b64 s[20:21], -1, 0
	s_branch .LBB44_3
.LBB44_2:                               ;   in Loop: Header=BB44_3 Depth=1
	s_or_b64 exec, exec, s[24:25]
	v_mov_b32_e32 v3, s47
	v_add_co_u32_e32 v0, vcc, s46, v0
	v_addc_co_u32_e32 v1, vcc, v1, v3, vcc
	v_cmp_le_i64_e32 vcc, s[10:11], v[0:1]
	s_or_b64 s[22:23], vcc, s[22:23]
	s_andn2_b64 exec, exec, s[22:23]
	s_cbranch_execz .LBB44_69
.LBB44_3:                               ; =>This Loop Header: Depth=1
                                        ;     Child Loop BB44_16 Depth 2
                                        ;     Child Loop BB44_23 Depth 2
	v_or_b32_e32 v3, s38, v1
	v_cmp_ne_u64_e32 vcc, 0, v[2:3]
                                        ; implicit-def: $vgpr4_vgpr5
	s_and_saveexec_b64 s[0:1], vcc
	s_xor_b64 s[24:25], exec, s[0:1]
	s_cbranch_execz .LBB44_5
; %bb.4:                                ;   in Loop: Header=BB44_3 Depth=1
	s_add_u32 s0, s33, s38
	s_mov_b32 s26, s38
	s_mov_b32 s27, s38
	s_addc_u32 s1, s38, s38
	s_xor_b64 s[28:29], s[0:1], s[26:27]
	v_cvt_f32_u32_e32 v3, s28
	v_cvt_f32_u32_e32 v4, s29
	s_sub_u32 s0, 0, s28
	s_subb_u32 s1, 0, s29
	v_mac_f32_e32 v3, 0x4f800000, v4
	v_rcp_f32_e32 v3, v3
	v_mul_f32_e32 v3, 0x5f7ffffc, v3
	v_mul_f32_e32 v4, 0x2f800000, v3
	v_trunc_f32_e32 v4, v4
	v_mac_f32_e32 v3, 0xcf800000, v4
	v_cvt_u32_f32_e32 v4, v4
	v_cvt_u32_f32_e32 v3, v3
	v_mul_lo_u32 v5, s0, v4
	v_mul_hi_u32 v7, s0, v3
	v_mul_lo_u32 v6, s1, v3
	v_add_u32_e32 v5, v7, v5
	v_mul_lo_u32 v8, s0, v3
	v_add_u32_e32 v5, v5, v6
	v_mul_lo_u32 v7, v3, v5
	v_mul_hi_u32 v9, v3, v8
	v_mul_hi_u32 v6, v3, v5
	v_add_co_u32_e32 v7, vcc, v9, v7
	v_addc_co_u32_e32 v6, vcc, 0, v6, vcc
	v_mul_hi_u32 v10, v4, v8
	v_mul_lo_u32 v8, v4, v8
	v_add_co_u32_e32 v7, vcc, v7, v8
	v_mul_hi_u32 v9, v4, v5
	v_addc_co_u32_e32 v6, vcc, v6, v10, vcc
	v_addc_co_u32_e32 v7, vcc, 0, v9, vcc
	v_mul_lo_u32 v5, v4, v5
	v_add_co_u32_e32 v5, vcc, v6, v5
	v_addc_co_u32_e32 v6, vcc, 0, v7, vcc
	v_add_co_u32_e32 v3, vcc, v3, v5
	v_addc_co_u32_e32 v4, vcc, v4, v6, vcc
	v_mul_lo_u32 v5, s0, v4
	v_mul_hi_u32 v6, s0, v3
	v_add_u32_e32 v5, v6, v5
	v_mul_lo_u32 v6, s1, v3
	v_add_u32_e32 v5, v5, v6
	v_mul_lo_u32 v7, s0, v3
	v_mul_hi_u32 v8, v4, v7
	v_mul_lo_u32 v9, v4, v7
	v_mul_lo_u32 v11, v3, v5
	v_mul_hi_u32 v7, v3, v7
	v_mul_hi_u32 v10, v3, v5
	v_add_co_u32_e32 v7, vcc, v7, v11
	v_addc_co_u32_e32 v10, vcc, 0, v10, vcc
	v_add_co_u32_e32 v7, vcc, v7, v9
	v_mul_hi_u32 v6, v4, v5
	v_addc_co_u32_e32 v7, vcc, v10, v8, vcc
	v_addc_co_u32_e32 v6, vcc, 0, v6, vcc
	v_mul_lo_u32 v5, v4, v5
	v_add_co_u32_e32 v5, vcc, v7, v5
	v_addc_co_u32_e32 v6, vcc, 0, v6, vcc
	v_add_co_u32_e32 v3, vcc, v3, v5
	v_addc_co_u32_e32 v6, vcc, v4, v6, vcc
	v_ashrrev_i32_e32 v8, 31, v1
	v_add_co_u32_e32 v4, vcc, v0, v8
	v_addc_co_u32_e32 v5, vcc, v1, v8, vcc
	v_xor_b32_e32 v10, v4, v8
	v_xor_b32_e32 v9, v5, v8
	v_mad_u64_u32 v[4:5], s[0:1], v10, v6, 0
	v_mul_hi_u32 v7, v10, v3
	v_add_co_u32_e32 v11, vcc, v7, v4
	v_addc_co_u32_e32 v12, vcc, 0, v5, vcc
	v_mad_u64_u32 v[4:5], s[0:1], v9, v6, 0
	v_mad_u64_u32 v[6:7], s[0:1], v9, v3, 0
	v_add_co_u32_e32 v3, vcc, v11, v6
	v_addc_co_u32_e32 v3, vcc, v12, v7, vcc
	v_addc_co_u32_e32 v5, vcc, 0, v5, vcc
	v_add_co_u32_e32 v3, vcc, v3, v4
	v_addc_co_u32_e32 v6, vcc, 0, v5, vcc
	v_mul_lo_u32 v7, s29, v3
	v_mul_lo_u32 v11, s28, v6
	v_mad_u64_u32 v[4:5], s[0:1], s28, v3, 0
	v_add3_u32 v5, v5, v11, v7
	v_sub_u32_e32 v7, v9, v5
	v_mov_b32_e32 v11, s29
	v_sub_co_u32_e32 v4, vcc, v10, v4
	v_subb_co_u32_e64 v7, s[0:1], v7, v11, vcc
	v_subrev_co_u32_e64 v10, s[0:1], s28, v4
	v_subbrev_co_u32_e64 v7, s[0:1], 0, v7, s[0:1]
	v_cmp_le_u32_e64 s[0:1], s29, v7
	v_cndmask_b32_e64 v11, 0, -1, s[0:1]
	v_cmp_le_u32_e64 s[0:1], s28, v10
	v_cndmask_b32_e64 v10, 0, -1, s[0:1]
	v_cmp_eq_u32_e64 s[0:1], s29, v7
	v_cndmask_b32_e64 v7, v11, v10, s[0:1]
	v_add_co_u32_e64 v10, s[0:1], 2, v3
	v_subb_co_u32_e32 v5, vcc, v9, v5, vcc
	v_addc_co_u32_e64 v11, s[0:1], 0, v6, s[0:1]
	v_cmp_le_u32_e32 vcc, s29, v5
	v_add_co_u32_e64 v12, s[0:1], 1, v3
	v_cndmask_b32_e64 v9, 0, -1, vcc
	v_cmp_le_u32_e32 vcc, s28, v4
	v_addc_co_u32_e64 v13, s[0:1], 0, v6, s[0:1]
	v_cndmask_b32_e64 v4, 0, -1, vcc
	v_cmp_eq_u32_e32 vcc, s29, v5
	v_cmp_ne_u32_e64 s[0:1], 0, v7
	v_cndmask_b32_e32 v4, v9, v4, vcc
	v_cndmask_b32_e64 v7, v13, v11, s[0:1]
	v_cmp_ne_u32_e32 vcc, 0, v4
	v_cndmask_b32_e64 v5, v12, v10, s[0:1]
	v_cndmask_b32_e32 v4, v6, v7, vcc
	v_cndmask_b32_e32 v3, v3, v5, vcc
	v_xor_b32_e32 v6, s26, v8
	v_xor_b32_e32 v5, s27, v8
	;; [unrolled: 1-line block ×4, first 2 shown]
	v_sub_co_u32_e32 v4, vcc, v3, v6
	v_subb_co_u32_e32 v5, vcc, v7, v5, vcc
.LBB44_5:                               ;   in Loop: Header=BB44_3 Depth=1
	s_andn2_saveexec_b64 s[0:1], s[24:25]
	s_cbranch_execz .LBB44_7
; %bb.6:                                ;   in Loop: Header=BB44_3 Depth=1
	s_sub_i32 s16, 0, s33
	v_mul_lo_u32 v3, s16, v26
	v_mul_hi_u32 v3, v26, v3
	v_add_u32_e32 v3, v26, v3
	v_mul_hi_u32 v3, v0, v3
	v_mul_lo_u32 v4, v3, s33
	v_sub_u32_e32 v4, v0, v4
	v_subrev_u32_e32 v5, s33, v4
	v_cmp_le_u32_e32 vcc, s33, v4
	v_cndmask_b32_e32 v4, v4, v5, vcc
	v_add_u32_e32 v5, 1, v3
	v_cndmask_b32_e32 v3, v3, v5, vcc
	v_add_u32_e32 v5, 1, v3
	v_cmp_le_u32_e32 vcc, s33, v4
	v_cndmask_b32_e32 v4, v3, v5, vcc
	v_mov_b32_e32 v5, v2
.LBB44_7:                               ;   in Loop: Header=BB44_3 Depth=1
	s_or_b64 exec, exec, s[0:1]
	v_or_b32_e32 v3, s42, v5
	v_cmp_ne_u64_e32 vcc, 0, v[2:3]
                                        ; implicit-def: $vgpr8_vgpr9
	s_and_saveexec_b64 s[0:1], vcc
	s_xor_b64 s[24:25], exec, s[0:1]
	s_cbranch_execz .LBB44_9
; %bb.8:                                ;   in Loop: Header=BB44_3 Depth=1
	s_add_u32 s0, s41, s42
	s_mov_b32 s26, s42
	s_mov_b32 s27, s42
	s_addc_u32 s1, s42, s42
	s_xor_b64 s[28:29], s[0:1], s[26:27]
	v_cvt_f32_u32_e32 v3, s28
	v_cvt_f32_u32_e32 v6, s29
	s_sub_u32 s0, 0, s28
	s_subb_u32 s1, 0, s29
	v_mac_f32_e32 v3, 0x4f800000, v6
	v_rcp_f32_e32 v3, v3
	v_mul_f32_e32 v3, 0x5f7ffffc, v3
	v_mul_f32_e32 v6, 0x2f800000, v3
	v_trunc_f32_e32 v6, v6
	v_mac_f32_e32 v3, 0xcf800000, v6
	v_cvt_u32_f32_e32 v6, v6
	v_cvt_u32_f32_e32 v3, v3
	v_mul_lo_u32 v7, s0, v6
	v_mul_hi_u32 v9, s0, v3
	v_mul_lo_u32 v8, s1, v3
	v_add_u32_e32 v7, v9, v7
	v_mul_lo_u32 v10, s0, v3
	v_add_u32_e32 v7, v7, v8
	v_mul_lo_u32 v9, v3, v7
	v_mul_hi_u32 v11, v3, v10
	v_mul_hi_u32 v8, v3, v7
	v_add_co_u32_e32 v9, vcc, v11, v9
	v_addc_co_u32_e32 v8, vcc, 0, v8, vcc
	v_mul_hi_u32 v12, v6, v10
	v_mul_lo_u32 v10, v6, v10
	v_add_co_u32_e32 v9, vcc, v9, v10
	v_mul_hi_u32 v11, v6, v7
	v_addc_co_u32_e32 v8, vcc, v8, v12, vcc
	v_addc_co_u32_e32 v9, vcc, 0, v11, vcc
	v_mul_lo_u32 v7, v6, v7
	v_add_co_u32_e32 v7, vcc, v8, v7
	v_addc_co_u32_e32 v8, vcc, 0, v9, vcc
	v_add_co_u32_e32 v3, vcc, v3, v7
	v_addc_co_u32_e32 v6, vcc, v6, v8, vcc
	v_mul_lo_u32 v7, s0, v6
	v_mul_hi_u32 v8, s0, v3
	v_add_u32_e32 v7, v8, v7
	v_mul_lo_u32 v8, s1, v3
	v_add_u32_e32 v7, v7, v8
	v_mul_lo_u32 v9, s0, v3
	v_mul_hi_u32 v10, v6, v9
	v_mul_lo_u32 v11, v6, v9
	v_mul_lo_u32 v13, v3, v7
	v_mul_hi_u32 v9, v3, v9
	v_mul_hi_u32 v12, v3, v7
	v_add_co_u32_e32 v9, vcc, v9, v13
	v_addc_co_u32_e32 v12, vcc, 0, v12, vcc
	v_add_co_u32_e32 v9, vcc, v9, v11
	v_mul_hi_u32 v8, v6, v7
	v_addc_co_u32_e32 v9, vcc, v12, v10, vcc
	v_addc_co_u32_e32 v8, vcc, 0, v8, vcc
	v_mul_lo_u32 v7, v6, v7
	v_add_co_u32_e32 v7, vcc, v9, v7
	v_addc_co_u32_e32 v8, vcc, 0, v8, vcc
	v_add_co_u32_e32 v3, vcc, v3, v7
	v_addc_co_u32_e32 v8, vcc, v6, v8, vcc
	v_ashrrev_i32_e32 v10, 31, v5
	v_add_co_u32_e32 v6, vcc, v4, v10
	v_xor_b32_e32 v11, v6, v10
	v_addc_co_u32_e32 v5, vcc, v5, v10, vcc
	v_mad_u64_u32 v[6:7], s[0:1], v11, v8, 0
	v_mul_hi_u32 v9, v11, v3
	v_xor_b32_e32 v5, v5, v10
	v_add_co_u32_e32 v12, vcc, v9, v6
	v_addc_co_u32_e32 v13, vcc, 0, v7, vcc
	v_mad_u64_u32 v[6:7], s[0:1], v5, v8, 0
	v_mad_u64_u32 v[8:9], s[0:1], v5, v3, 0
	v_add_co_u32_e32 v3, vcc, v12, v8
	v_addc_co_u32_e32 v3, vcc, v13, v9, vcc
	v_addc_co_u32_e32 v7, vcc, 0, v7, vcc
	v_add_co_u32_e32 v3, vcc, v3, v6
	v_addc_co_u32_e32 v8, vcc, 0, v7, vcc
	v_mul_lo_u32 v9, s29, v3
	v_mul_lo_u32 v12, s28, v8
	v_mad_u64_u32 v[6:7], s[0:1], s28, v3, 0
	v_add3_u32 v7, v7, v12, v9
	v_sub_u32_e32 v9, v5, v7
	v_mov_b32_e32 v12, s29
	v_sub_co_u32_e32 v6, vcc, v11, v6
	v_subb_co_u32_e64 v9, s[0:1], v9, v12, vcc
	v_subrev_co_u32_e64 v11, s[0:1], s28, v6
	v_subbrev_co_u32_e64 v9, s[0:1], 0, v9, s[0:1]
	v_cmp_le_u32_e64 s[0:1], s29, v9
	v_cndmask_b32_e64 v12, 0, -1, s[0:1]
	v_cmp_le_u32_e64 s[0:1], s28, v11
	v_cndmask_b32_e64 v11, 0, -1, s[0:1]
	v_cmp_eq_u32_e64 s[0:1], s29, v9
	v_cndmask_b32_e64 v9, v12, v11, s[0:1]
	v_add_co_u32_e64 v11, s[0:1], 2, v3
	v_subb_co_u32_e32 v5, vcc, v5, v7, vcc
	v_addc_co_u32_e64 v12, s[0:1], 0, v8, s[0:1]
	v_cmp_le_u32_e32 vcc, s29, v5
	v_add_co_u32_e64 v13, s[0:1], 1, v3
	v_cndmask_b32_e64 v7, 0, -1, vcc
	v_cmp_le_u32_e32 vcc, s28, v6
	v_addc_co_u32_e64 v14, s[0:1], 0, v8, s[0:1]
	v_cndmask_b32_e64 v6, 0, -1, vcc
	v_cmp_eq_u32_e32 vcc, s29, v5
	v_cmp_ne_u32_e64 s[0:1], 0, v9
	v_cndmask_b32_e32 v5, v7, v6, vcc
	v_cmp_ne_u32_e32 vcc, 0, v5
	v_cndmask_b32_e64 v6, v13, v11, s[0:1]
	v_cndmask_b32_e64 v9, v14, v12, s[0:1]
	v_cndmask_b32_e32 v3, v3, v6, vcc
	v_xor_b32_e32 v7, s26, v10
	v_cndmask_b32_e32 v5, v8, v9, vcc
	v_xor_b32_e32 v6, s27, v10
	v_xor_b32_e32 v3, v3, v7
	;; [unrolled: 1-line block ×3, first 2 shown]
	v_sub_co_u32_e32 v8, vcc, v3, v7
	v_subb_co_u32_e32 v9, vcc, v5, v6, vcc
.LBB44_9:                               ;   in Loop: Header=BB44_3 Depth=1
	s_andn2_saveexec_b64 s[0:1], s[24:25]
	s_cbranch_execz .LBB44_11
; %bb.10:                               ;   in Loop: Header=BB44_3 Depth=1
	v_cvt_f32_u32_e32 v3, s41
	s_sub_i32 s16, 0, s41
	v_mov_b32_e32 v9, v2
	v_rcp_iflag_f32_e32 v3, v3
	v_mul_f32_e32 v3, 0x4f7ffffe, v3
	v_cvt_u32_f32_e32 v3, v3
	v_mul_lo_u32 v5, s16, v3
	v_mul_hi_u32 v5, v3, v5
	v_add_u32_e32 v3, v3, v5
	v_mul_hi_u32 v3, v4, v3
	v_mul_lo_u32 v5, v3, s41
	v_sub_u32_e32 v5, v4, v5
	v_add_u32_e32 v6, 1, v3
	v_subrev_u32_e32 v7, s41, v5
	v_cmp_le_u32_e32 vcc, s41, v5
	v_cndmask_b32_e32 v5, v5, v7, vcc
	v_cndmask_b32_e32 v3, v3, v6, vcc
	v_add_u32_e32 v6, 1, v3
	v_cmp_le_u32_e32 vcc, s41, v5
	v_cndmask_b32_e32 v8, v3, v6, vcc
.LBB44_11:                              ;   in Loop: Header=BB44_3 Depth=1
	s_or_b64 exec, exec, s[0:1]
	v_mad_u64_u32 v[6:7], s[0:1], v4, s33, 0
	v_sub_co_u32_e32 v28, vcc, v0, v6
	v_mad_u64_u32 v[6:7], s[0:1], v8, s41, 0
	v_sub_co_u32_e32 v27, vcc, v4, v6
	v_sub_u32_e32 v6, v28, v27
	v_add_u32_e32 v4, 4, v6
	v_ashrrev_i32_e32 v5, 31, v4
	v_cmp_lt_i64_e32 vcc, s[8:9], v[4:5]
	s_and_saveexec_b64 s[24:25], vcc
	s_cbranch_execz .LBB44_2
; %bb.12:                               ;   in Loop: Header=BB44_3 Depth=1
	s_load_dword s49, s[4:5], 0x0
	s_load_dword s0, s[12:13], 0x0
	s_andn2_b64 vcc, exec, s[6:7]
	s_waitcnt lgkmcnt(0)
	v_mul_lo_u32 v4, s49, v28
	v_mad_u64_u32 v[4:5], s[0:1], s0, v27, v[4:5]
	s_cbranch_vccnz .LBB44_57
; %bb.13:                               ;   in Loop: Header=BB44_3 Depth=1
	s_andn2_b64 vcc, exec, s[18:19]
	s_cbranch_vccnz .LBB44_20
; %bb.14:                               ;   in Loop: Header=BB44_3 Depth=1
	s_mov_b32 s36, s48
	s_mov_b32 s16, s45
	s_branch .LBB44_16
.LBB44_15:                              ;   in Loop: Header=BB44_16 Depth=2
	s_or_b64 exec, exec, s[0:1]
	s_add_u32 s0, s43, s26
	s_addc_u32 s1, s44, s27
	s_load_dword s0, s[0:1], 0x0
	v_mul_lo_u32 v3, v8, s37
	v_sub_u32_e32 v3, v10, v3
	s_add_i32 s16, s16, -1
	s_add_i32 s36, s36, -1
	s_cmp_lg_u32 s36, 0
	s_waitcnt lgkmcnt(0)
	v_mad_u64_u32 v[4:5], s[0:1], s0, v3, v[4:5]
	s_cbranch_scc0 .LBB44_21
.LBB44_16:                              ;   Parent Loop BB44_3 Depth=1
                                        ; =>  This Inner Loop Header: Depth=2
	s_lshl_b64 s[26:27], s[16:17], 2
	s_add_u32 s0, s39, s26
	s_addc_u32 s1, s40, s27
	s_load_dword s37, s[0:1], 0x0
	v_pk_mov_b32 v[10:11], v[8:9], v[8:9] op_sel:[0,1]
                                        ; implicit-def: $vgpr8_vgpr9
	s_waitcnt lgkmcnt(0)
	s_ashr_i32 s0, s37, 31
	v_or_b32_e32 v3, s0, v11
	v_cmp_ne_u64_e32 vcc, 0, v[2:3]
	s_and_saveexec_b64 s[28:29], vcc
	s_xor_b64 s[28:29], exec, s[28:29]
	s_cbranch_execz .LBB44_18
; %bb.17:                               ;   in Loop: Header=BB44_16 Depth=2
	s_add_u32 s34, s37, s0
	s_mov_b32 s30, s0
	s_mov_b32 s31, s0
	s_addc_u32 s35, s0, s0
	s_xor_b64 s[34:35], s[34:35], s[30:31]
	v_cvt_f32_u32_e32 v3, s34
	v_cvt_f32_u32_e32 v5, s35
	s_sub_u32 s0, 0, s34
	s_subb_u32 s1, 0, s35
	v_mac_f32_e32 v3, 0x4f800000, v5
	v_rcp_f32_e32 v3, v3
	v_mul_f32_e32 v3, 0x5f7ffffc, v3
	v_mul_f32_e32 v5, 0x2f800000, v3
	v_trunc_f32_e32 v5, v5
	v_mac_f32_e32 v3, 0xcf800000, v5
	v_cvt_u32_f32_e32 v5, v5
	v_cvt_u32_f32_e32 v3, v3
	v_mul_lo_u32 v7, s0, v5
	v_mul_hi_u32 v9, s0, v3
	v_mul_lo_u32 v8, s1, v3
	v_add_u32_e32 v7, v9, v7
	v_mul_lo_u32 v12, s0, v3
	v_add_u32_e32 v7, v7, v8
	v_mul_lo_u32 v9, v3, v7
	v_mul_hi_u32 v13, v3, v12
	v_mul_hi_u32 v8, v3, v7
	v_add_co_u32_e32 v9, vcc, v13, v9
	v_addc_co_u32_e32 v8, vcc, 0, v8, vcc
	v_mul_hi_u32 v14, v5, v12
	v_mul_lo_u32 v12, v5, v12
	v_add_co_u32_e32 v9, vcc, v9, v12
	v_mul_hi_u32 v13, v5, v7
	v_addc_co_u32_e32 v8, vcc, v8, v14, vcc
	v_addc_co_u32_e32 v9, vcc, 0, v13, vcc
	v_mul_lo_u32 v7, v5, v7
	v_add_co_u32_e32 v7, vcc, v8, v7
	v_addc_co_u32_e32 v8, vcc, 0, v9, vcc
	v_add_co_u32_e32 v3, vcc, v3, v7
	v_addc_co_u32_e32 v5, vcc, v5, v8, vcc
	v_mul_lo_u32 v7, s0, v5
	v_mul_hi_u32 v8, s0, v3
	v_add_u32_e32 v7, v8, v7
	v_mul_lo_u32 v8, s1, v3
	v_add_u32_e32 v7, v7, v8
	v_mul_lo_u32 v9, s0, v3
	v_mul_hi_u32 v12, v5, v9
	v_mul_lo_u32 v13, v5, v9
	v_mul_lo_u32 v15, v3, v7
	v_mul_hi_u32 v9, v3, v9
	v_mul_hi_u32 v14, v3, v7
	v_add_co_u32_e32 v9, vcc, v9, v15
	v_addc_co_u32_e32 v14, vcc, 0, v14, vcc
	v_add_co_u32_e32 v9, vcc, v9, v13
	v_mul_hi_u32 v8, v5, v7
	v_addc_co_u32_e32 v9, vcc, v14, v12, vcc
	v_addc_co_u32_e32 v8, vcc, 0, v8, vcc
	v_mul_lo_u32 v7, v5, v7
	v_add_co_u32_e32 v7, vcc, v9, v7
	v_addc_co_u32_e32 v8, vcc, 0, v8, vcc
	v_add_co_u32_e32 v3, vcc, v3, v7
	v_addc_co_u32_e32 v5, vcc, v5, v8, vcc
	v_ashrrev_i32_e32 v7, 31, v11
	v_add_co_u32_e32 v8, vcc, v10, v7
	v_addc_co_u32_e32 v9, vcc, v11, v7, vcc
	v_xor_b32_e32 v14, v8, v7
	v_xor_b32_e32 v11, v9, v7
	v_mad_u64_u32 v[8:9], s[0:1], v14, v5, 0
	v_mul_hi_u32 v12, v14, v3
	v_add_co_u32_e32 v15, vcc, v12, v8
	v_addc_co_u32_e32 v16, vcc, 0, v9, vcc
	v_mad_u64_u32 v[12:13], s[0:1], v11, v3, 0
	v_add_co_u32_e32 v3, vcc, v15, v12
	v_mad_u64_u32 v[8:9], s[0:1], v11, v5, 0
	v_addc_co_u32_e32 v3, vcc, v16, v13, vcc
	v_addc_co_u32_e32 v5, vcc, 0, v9, vcc
	v_add_co_u32_e32 v3, vcc, v3, v8
	v_addc_co_u32_e32 v5, vcc, 0, v5, vcc
	v_mul_lo_u32 v12, s35, v3
	v_mul_lo_u32 v13, s34, v5
	v_mad_u64_u32 v[8:9], s[0:1], s34, v3, 0
	v_add3_u32 v9, v9, v13, v12
	v_sub_u32_e32 v12, v11, v9
	v_mov_b32_e32 v13, s35
	v_sub_co_u32_e32 v8, vcc, v14, v8
	v_subb_co_u32_e64 v12, s[0:1], v12, v13, vcc
	v_subrev_co_u32_e64 v13, s[0:1], s34, v8
	v_subbrev_co_u32_e64 v12, s[0:1], 0, v12, s[0:1]
	v_cmp_le_u32_e64 s[0:1], s35, v12
	v_cndmask_b32_e64 v14, 0, -1, s[0:1]
	v_cmp_le_u32_e64 s[0:1], s34, v13
	v_cndmask_b32_e64 v13, 0, -1, s[0:1]
	v_cmp_eq_u32_e64 s[0:1], s35, v12
	v_cndmask_b32_e64 v12, v14, v13, s[0:1]
	v_add_co_u32_e64 v13, s[0:1], 2, v3
	v_subb_co_u32_e32 v9, vcc, v11, v9, vcc
	v_addc_co_u32_e64 v14, s[0:1], 0, v5, s[0:1]
	v_cmp_le_u32_e32 vcc, s35, v9
	v_add_co_u32_e64 v15, s[0:1], 1, v3
	v_cndmask_b32_e64 v11, 0, -1, vcc
	v_cmp_le_u32_e32 vcc, s34, v8
	v_addc_co_u32_e64 v16, s[0:1], 0, v5, s[0:1]
	v_cndmask_b32_e64 v8, 0, -1, vcc
	v_cmp_eq_u32_e32 vcc, s35, v9
	v_cmp_ne_u32_e64 s[0:1], 0, v12
	v_cndmask_b32_e32 v8, v11, v8, vcc
	v_cmp_ne_u32_e32 vcc, 0, v8
	v_cndmask_b32_e64 v8, v15, v13, s[0:1]
	v_cndmask_b32_e64 v12, v16, v14, s[0:1]
	v_cndmask_b32_e32 v3, v3, v8, vcc
	v_xor_b32_e32 v9, s31, v7
	v_xor_b32_e32 v7, s30, v7
	v_cndmask_b32_e32 v5, v5, v12, vcc
	v_xor_b32_e32 v3, v3, v7
	v_xor_b32_e32 v5, v5, v9
	v_sub_co_u32_e32 v8, vcc, v3, v7
	v_subb_co_u32_e32 v9, vcc, v5, v9, vcc
.LBB44_18:                              ;   in Loop: Header=BB44_16 Depth=2
	s_andn2_saveexec_b64 s[0:1], s[28:29]
	s_cbranch_execz .LBB44_15
; %bb.19:                               ;   in Loop: Header=BB44_16 Depth=2
	v_cvt_f32_u32_e32 v3, s37
	s_sub_i32 s28, 0, s37
	v_mov_b32_e32 v9, v2
	v_rcp_iflag_f32_e32 v3, v3
	v_mul_f32_e32 v3, 0x4f7ffffe, v3
	v_cvt_u32_f32_e32 v3, v3
	v_mul_lo_u32 v5, s28, v3
	v_mul_hi_u32 v5, v3, v5
	v_add_u32_e32 v3, v3, v5
	v_mul_hi_u32 v3, v10, v3
	v_mul_lo_u32 v5, v3, s37
	v_sub_u32_e32 v5, v10, v5
	v_add_u32_e32 v7, 1, v3
	v_subrev_u32_e32 v8, s37, v5
	v_cmp_le_u32_e32 vcc, s37, v5
	v_cndmask_b32_e32 v5, v5, v8, vcc
	v_cndmask_b32_e32 v3, v3, v7, vcc
	v_add_u32_e32 v7, 1, v3
	v_cmp_le_u32_e32 vcc, s37, v5
	v_cndmask_b32_e32 v8, v3, v7, vcc
	s_branch .LBB44_15
.LBB44_20:                              ;   in Loop: Header=BB44_3 Depth=1
	s_mov_b32 s16, s45
.LBB44_21:                              ;   in Loop: Header=BB44_3 Depth=1
	s_andn2_b64 vcc, exec, s[20:21]
	s_cbranch_vccnz .LBB44_57
; %bb.22:                               ;   in Loop: Header=BB44_3 Depth=1
	s_add_i32 s26, s16, -7
.LBB44_23:                              ;   Parent Loop BB44_3 Depth=1
                                        ; =>  This Inner Loop Header: Depth=2
	s_add_i32 s16, s26, 7
	s_lshl_b64 s[28:29], s[16:17], 2
	s_add_u32 s0, s39, s28
	s_addc_u32 s1, s40, s29
	s_load_dword s50, s[0:1], 0x0
                                        ; implicit-def: $vgpr10_vgpr11
	s_waitcnt lgkmcnt(0)
	s_ashr_i32 s0, s50, 31
	v_or_b32_e32 v3, s0, v9
	v_cmp_ne_u64_e32 vcc, 0, v[2:3]
	s_and_saveexec_b64 s[30:31], vcc
	s_xor_b64 s[30:31], exec, s[30:31]
	s_cbranch_execz .LBB44_25
; %bb.24:                               ;   in Loop: Header=BB44_23 Depth=2
	s_add_u32 s36, s50, s0
	s_mov_b32 s34, s0
	s_mov_b32 s35, s0
	s_addc_u32 s37, s0, s0
	s_xor_b64 s[36:37], s[36:37], s[34:35]
	v_cvt_f32_u32_e32 v3, s36
	v_cvt_f32_u32_e32 v5, s37
	s_sub_u32 s0, 0, s36
	s_subb_u32 s1, 0, s37
	v_mac_f32_e32 v3, 0x4f800000, v5
	v_rcp_f32_e32 v3, v3
	v_mul_f32_e32 v3, 0x5f7ffffc, v3
	v_mul_f32_e32 v5, 0x2f800000, v3
	v_trunc_f32_e32 v5, v5
	v_mac_f32_e32 v3, 0xcf800000, v5
	v_cvt_u32_f32_e32 v5, v5
	v_cvt_u32_f32_e32 v3, v3
	v_mul_lo_u32 v7, s0, v5
	v_mul_hi_u32 v11, s0, v3
	v_mul_lo_u32 v10, s1, v3
	v_add_u32_e32 v7, v11, v7
	v_mul_lo_u32 v12, s0, v3
	v_add_u32_e32 v7, v7, v10
	v_mul_lo_u32 v11, v3, v7
	v_mul_hi_u32 v13, v3, v12
	v_mul_hi_u32 v10, v3, v7
	v_add_co_u32_e32 v11, vcc, v13, v11
	v_addc_co_u32_e32 v10, vcc, 0, v10, vcc
	v_mul_hi_u32 v14, v5, v12
	v_mul_lo_u32 v12, v5, v12
	v_add_co_u32_e32 v11, vcc, v11, v12
	v_mul_hi_u32 v13, v5, v7
	v_addc_co_u32_e32 v10, vcc, v10, v14, vcc
	v_addc_co_u32_e32 v11, vcc, 0, v13, vcc
	v_mul_lo_u32 v7, v5, v7
	v_add_co_u32_e32 v7, vcc, v10, v7
	v_addc_co_u32_e32 v10, vcc, 0, v11, vcc
	v_add_co_u32_e32 v3, vcc, v3, v7
	v_addc_co_u32_e32 v5, vcc, v5, v10, vcc
	v_mul_lo_u32 v7, s0, v5
	v_mul_hi_u32 v10, s0, v3
	v_add_u32_e32 v7, v10, v7
	v_mul_lo_u32 v10, s1, v3
	v_add_u32_e32 v7, v7, v10
	v_mul_lo_u32 v11, s0, v3
	v_mul_hi_u32 v12, v5, v11
	v_mul_lo_u32 v13, v5, v11
	v_mul_lo_u32 v15, v3, v7
	v_mul_hi_u32 v11, v3, v11
	v_mul_hi_u32 v14, v3, v7
	v_add_co_u32_e32 v11, vcc, v11, v15
	v_addc_co_u32_e32 v14, vcc, 0, v14, vcc
	v_add_co_u32_e32 v11, vcc, v11, v13
	v_mul_hi_u32 v10, v5, v7
	v_addc_co_u32_e32 v11, vcc, v14, v12, vcc
	v_addc_co_u32_e32 v10, vcc, 0, v10, vcc
	v_mul_lo_u32 v7, v5, v7
	v_add_co_u32_e32 v7, vcc, v11, v7
	v_addc_co_u32_e32 v10, vcc, 0, v10, vcc
	v_add_co_u32_e32 v3, vcc, v3, v7
	v_addc_co_u32_e32 v5, vcc, v5, v10, vcc
	v_ashrrev_i32_e32 v7, 31, v9
	v_add_co_u32_e32 v10, vcc, v8, v7
	v_xor_b32_e32 v14, v10, v7
	v_addc_co_u32_e32 v9, vcc, v9, v7, vcc
	v_mad_u64_u32 v[10:11], s[0:1], v14, v5, 0
	v_mul_hi_u32 v12, v14, v3
	v_xor_b32_e32 v9, v9, v7
	v_add_co_u32_e32 v15, vcc, v12, v10
	v_addc_co_u32_e32 v16, vcc, 0, v11, vcc
	v_mad_u64_u32 v[12:13], s[0:1], v9, v3, 0
	v_add_co_u32_e32 v3, vcc, v15, v12
	v_mad_u64_u32 v[10:11], s[0:1], v9, v5, 0
	v_addc_co_u32_e32 v3, vcc, v16, v13, vcc
	v_addc_co_u32_e32 v5, vcc, 0, v11, vcc
	v_add_co_u32_e32 v3, vcc, v3, v10
	v_addc_co_u32_e32 v5, vcc, 0, v5, vcc
	v_mul_lo_u32 v12, s37, v3
	v_mul_lo_u32 v13, s36, v5
	v_mad_u64_u32 v[10:11], s[0:1], s36, v3, 0
	v_add3_u32 v11, v11, v13, v12
	v_sub_u32_e32 v12, v9, v11
	v_mov_b32_e32 v13, s37
	v_sub_co_u32_e32 v10, vcc, v14, v10
	v_subb_co_u32_e64 v12, s[0:1], v12, v13, vcc
	v_subrev_co_u32_e64 v13, s[0:1], s36, v10
	v_subbrev_co_u32_e64 v12, s[0:1], 0, v12, s[0:1]
	v_cmp_le_u32_e64 s[0:1], s37, v12
	v_cndmask_b32_e64 v14, 0, -1, s[0:1]
	v_cmp_le_u32_e64 s[0:1], s36, v13
	v_cndmask_b32_e64 v13, 0, -1, s[0:1]
	v_cmp_eq_u32_e64 s[0:1], s37, v12
	v_cndmask_b32_e64 v12, v14, v13, s[0:1]
	v_add_co_u32_e64 v13, s[0:1], 2, v3
	v_subb_co_u32_e32 v9, vcc, v9, v11, vcc
	v_addc_co_u32_e64 v14, s[0:1], 0, v5, s[0:1]
	v_cmp_le_u32_e32 vcc, s37, v9
	v_add_co_u32_e64 v15, s[0:1], 1, v3
	v_cndmask_b32_e64 v11, 0, -1, vcc
	v_cmp_le_u32_e32 vcc, s36, v10
	v_addc_co_u32_e64 v16, s[0:1], 0, v5, s[0:1]
	v_cndmask_b32_e64 v10, 0, -1, vcc
	v_cmp_eq_u32_e32 vcc, s37, v9
	v_cmp_ne_u32_e64 s[0:1], 0, v12
	v_cndmask_b32_e32 v9, v11, v10, vcc
	v_cmp_ne_u32_e32 vcc, 0, v9
	v_cndmask_b32_e64 v9, v15, v13, s[0:1]
	v_cndmask_b32_e64 v12, v16, v14, s[0:1]
	v_cndmask_b32_e32 v3, v3, v9, vcc
	v_xor_b32_e32 v9, s35, v7
	v_xor_b32_e32 v7, s34, v7
	v_cndmask_b32_e32 v5, v5, v12, vcc
	v_xor_b32_e32 v3, v3, v7
	v_xor_b32_e32 v5, v5, v9
	v_sub_co_u32_e32 v10, vcc, v3, v7
	v_subb_co_u32_e32 v11, vcc, v5, v9, vcc
.LBB44_25:                              ;   in Loop: Header=BB44_23 Depth=2
	s_andn2_saveexec_b64 s[0:1], s[30:31]
	s_cbranch_execz .LBB44_27
; %bb.26:                               ;   in Loop: Header=BB44_23 Depth=2
	v_cvt_f32_u32_e32 v3, s50
	s_sub_i32 s16, 0, s50
	v_mov_b32_e32 v11, v2
	v_rcp_iflag_f32_e32 v3, v3
	v_mul_f32_e32 v3, 0x4f7ffffe, v3
	v_cvt_u32_f32_e32 v3, v3
	v_mul_lo_u32 v5, s16, v3
	v_mul_hi_u32 v5, v3, v5
	v_add_u32_e32 v3, v3, v5
	v_mul_hi_u32 v3, v8, v3
	v_mul_lo_u32 v5, v3, s50
	v_sub_u32_e32 v5, v8, v5
	v_add_u32_e32 v7, 1, v3
	v_subrev_u32_e32 v9, s50, v5
	v_cmp_le_u32_e32 vcc, s50, v5
	v_cndmask_b32_e32 v5, v5, v9, vcc
	v_cndmask_b32_e32 v3, v3, v7, vcc
	v_add_u32_e32 v7, 1, v3
	v_cmp_le_u32_e32 vcc, s50, v5
	v_cndmask_b32_e32 v10, v3, v7, vcc
.LBB44_27:                              ;   in Loop: Header=BB44_23 Depth=2
	s_or_b64 exec, exec, s[0:1]
	s_add_u32 s0, s43, s28
	s_addc_u32 s1, s44, s29
	s_add_i32 s16, s26, 6
	s_lshl_b64 s[28:29], s[16:17], 2
	s_add_u32 s30, s39, s28
	s_addc_u32 s31, s40, s29
	s_load_dword s51, s[30:31], 0x0
	s_load_dword s52, s[0:1], 0x0
                                        ; implicit-def: $vgpr12_vgpr13
	s_waitcnt lgkmcnt(0)
	s_ashr_i32 s0, s51, 31
	v_or_b32_e32 v3, s0, v11
	v_cmp_ne_u64_e32 vcc, 0, v[2:3]
	s_and_saveexec_b64 s[30:31], vcc
	s_xor_b64 s[30:31], exec, s[30:31]
	s_cbranch_execz .LBB44_29
; %bb.28:                               ;   in Loop: Header=BB44_23 Depth=2
	s_add_u32 s36, s51, s0
	s_mov_b32 s34, s0
	s_mov_b32 s35, s0
	s_addc_u32 s37, s0, s0
	s_xor_b64 s[36:37], s[36:37], s[34:35]
	v_cvt_f32_u32_e32 v3, s36
	v_cvt_f32_u32_e32 v5, s37
	s_sub_u32 s0, 0, s36
	s_subb_u32 s1, 0, s37
	v_mac_f32_e32 v3, 0x4f800000, v5
	v_rcp_f32_e32 v3, v3
	v_mul_f32_e32 v3, 0x5f7ffffc, v3
	v_mul_f32_e32 v5, 0x2f800000, v3
	v_trunc_f32_e32 v5, v5
	v_mac_f32_e32 v3, 0xcf800000, v5
	v_cvt_u32_f32_e32 v5, v5
	v_cvt_u32_f32_e32 v3, v3
	v_mul_lo_u32 v7, s0, v5
	v_mul_hi_u32 v12, s0, v3
	v_mul_lo_u32 v9, s1, v3
	v_add_u32_e32 v7, v12, v7
	v_mul_lo_u32 v13, s0, v3
	v_add_u32_e32 v7, v7, v9
	v_mul_lo_u32 v12, v3, v7
	v_mul_hi_u32 v14, v3, v13
	v_mul_hi_u32 v9, v3, v7
	v_add_co_u32_e32 v12, vcc, v14, v12
	v_addc_co_u32_e32 v9, vcc, 0, v9, vcc
	v_mul_hi_u32 v15, v5, v13
	v_mul_lo_u32 v13, v5, v13
	v_add_co_u32_e32 v12, vcc, v12, v13
	v_mul_hi_u32 v14, v5, v7
	v_addc_co_u32_e32 v9, vcc, v9, v15, vcc
	v_addc_co_u32_e32 v12, vcc, 0, v14, vcc
	v_mul_lo_u32 v7, v5, v7
	v_add_co_u32_e32 v7, vcc, v9, v7
	v_addc_co_u32_e32 v9, vcc, 0, v12, vcc
	v_add_co_u32_e32 v3, vcc, v3, v7
	v_addc_co_u32_e32 v5, vcc, v5, v9, vcc
	v_mul_lo_u32 v7, s0, v5
	v_mul_hi_u32 v9, s0, v3
	v_add_u32_e32 v7, v9, v7
	v_mul_lo_u32 v9, s1, v3
	v_add_u32_e32 v7, v7, v9
	v_mul_lo_u32 v12, s0, v3
	v_mul_hi_u32 v13, v5, v12
	v_mul_lo_u32 v14, v5, v12
	v_mul_lo_u32 v16, v3, v7
	v_mul_hi_u32 v12, v3, v12
	v_mul_hi_u32 v15, v3, v7
	v_add_co_u32_e32 v12, vcc, v12, v16
	v_addc_co_u32_e32 v15, vcc, 0, v15, vcc
	v_add_co_u32_e32 v12, vcc, v12, v14
	v_mul_hi_u32 v9, v5, v7
	v_addc_co_u32_e32 v12, vcc, v15, v13, vcc
	v_addc_co_u32_e32 v9, vcc, 0, v9, vcc
	v_mul_lo_u32 v7, v5, v7
	v_add_co_u32_e32 v7, vcc, v12, v7
	v_addc_co_u32_e32 v9, vcc, 0, v9, vcc
	v_add_co_u32_e32 v3, vcc, v3, v7
	v_addc_co_u32_e32 v5, vcc, v5, v9, vcc
	v_ashrrev_i32_e32 v7, 31, v11
	v_add_co_u32_e32 v9, vcc, v10, v7
	v_xor_b32_e32 v9, v9, v7
	v_addc_co_u32_e32 v11, vcc, v11, v7, vcc
	v_mad_u64_u32 v[12:13], s[0:1], v9, v5, 0
	v_mul_hi_u32 v14, v9, v3
	v_xor_b32_e32 v11, v11, v7
	v_add_co_u32_e32 v16, vcc, v14, v12
	v_addc_co_u32_e32 v17, vcc, 0, v13, vcc
	v_mad_u64_u32 v[14:15], s[0:1], v11, v3, 0
	v_add_co_u32_e32 v3, vcc, v16, v14
	v_mad_u64_u32 v[12:13], s[0:1], v11, v5, 0
	v_addc_co_u32_e32 v3, vcc, v17, v15, vcc
	v_addc_co_u32_e32 v5, vcc, 0, v13, vcc
	v_add_co_u32_e32 v3, vcc, v3, v12
	v_addc_co_u32_e32 v5, vcc, 0, v5, vcc
	v_mul_lo_u32 v14, s37, v3
	v_mul_lo_u32 v15, s36, v5
	v_mad_u64_u32 v[12:13], s[0:1], s36, v3, 0
	v_add3_u32 v13, v13, v15, v14
	v_sub_u32_e32 v14, v11, v13
	v_mov_b32_e32 v15, s37
	v_sub_co_u32_e32 v9, vcc, v9, v12
	v_subb_co_u32_e64 v12, s[0:1], v14, v15, vcc
	v_subrev_co_u32_e64 v14, s[0:1], s36, v9
	v_subbrev_co_u32_e64 v12, s[0:1], 0, v12, s[0:1]
	v_cmp_le_u32_e64 s[0:1], s37, v12
	v_cndmask_b32_e64 v15, 0, -1, s[0:1]
	v_cmp_le_u32_e64 s[0:1], s36, v14
	v_cndmask_b32_e64 v14, 0, -1, s[0:1]
	v_cmp_eq_u32_e64 s[0:1], s37, v12
	v_cndmask_b32_e64 v12, v15, v14, s[0:1]
	v_add_co_u32_e64 v14, s[0:1], 2, v3
	v_subb_co_u32_e32 v11, vcc, v11, v13, vcc
	v_addc_co_u32_e64 v15, s[0:1], 0, v5, s[0:1]
	v_cmp_le_u32_e32 vcc, s37, v11
	v_add_co_u32_e64 v16, s[0:1], 1, v3
	v_cndmask_b32_e64 v13, 0, -1, vcc
	v_cmp_le_u32_e32 vcc, s36, v9
	v_addc_co_u32_e64 v17, s[0:1], 0, v5, s[0:1]
	v_cndmask_b32_e64 v9, 0, -1, vcc
	v_cmp_eq_u32_e32 vcc, s37, v11
	v_cmp_ne_u32_e64 s[0:1], 0, v12
	v_cndmask_b32_e32 v9, v13, v9, vcc
	v_cmp_ne_u32_e32 vcc, 0, v9
	v_cndmask_b32_e64 v9, v16, v14, s[0:1]
	v_cndmask_b32_e64 v12, v17, v15, s[0:1]
	v_cndmask_b32_e32 v3, v3, v9, vcc
	v_xor_b32_e32 v9, s35, v7
	v_xor_b32_e32 v7, s34, v7
	v_cndmask_b32_e32 v5, v5, v12, vcc
	v_xor_b32_e32 v3, v3, v7
	v_xor_b32_e32 v5, v5, v9
	v_sub_co_u32_e32 v12, vcc, v3, v7
	v_subb_co_u32_e32 v13, vcc, v5, v9, vcc
.LBB44_29:                              ;   in Loop: Header=BB44_23 Depth=2
	s_andn2_saveexec_b64 s[0:1], s[30:31]
	s_cbranch_execz .LBB44_31
; %bb.30:                               ;   in Loop: Header=BB44_23 Depth=2
	v_cvt_f32_u32_e32 v3, s51
	s_sub_i32 s16, 0, s51
	v_mov_b32_e32 v13, v2
	v_rcp_iflag_f32_e32 v3, v3
	v_mul_f32_e32 v3, 0x4f7ffffe, v3
	v_cvt_u32_f32_e32 v3, v3
	v_mul_lo_u32 v5, s16, v3
	v_mul_hi_u32 v5, v3, v5
	v_add_u32_e32 v3, v3, v5
	v_mul_hi_u32 v3, v10, v3
	v_mul_lo_u32 v5, v3, s51
	v_sub_u32_e32 v5, v10, v5
	v_add_u32_e32 v7, 1, v3
	v_subrev_u32_e32 v9, s51, v5
	v_cmp_le_u32_e32 vcc, s51, v5
	v_cndmask_b32_e32 v5, v5, v9, vcc
	v_cndmask_b32_e32 v3, v3, v7, vcc
	v_add_u32_e32 v7, 1, v3
	v_cmp_le_u32_e32 vcc, s51, v5
	v_cndmask_b32_e32 v12, v3, v7, vcc
.LBB44_31:                              ;   in Loop: Header=BB44_23 Depth=2
	s_or_b64 exec, exec, s[0:1]
	s_add_u32 s0, s43, s28
	s_addc_u32 s1, s44, s29
	s_add_i32 s16, s26, 5
	s_lshl_b64 s[28:29], s[16:17], 2
	s_add_u32 s30, s39, s28
	s_addc_u32 s31, s40, s29
	s_load_dword s53, s[30:31], 0x0
	s_load_dword s54, s[0:1], 0x0
                                        ; implicit-def: $vgpr14_vgpr15
	s_waitcnt lgkmcnt(0)
	s_ashr_i32 s0, s53, 31
	v_or_b32_e32 v3, s0, v13
	v_cmp_ne_u64_e32 vcc, 0, v[2:3]
	s_and_saveexec_b64 s[30:31], vcc
	s_xor_b64 s[30:31], exec, s[30:31]
	s_cbranch_execz .LBB44_33
; %bb.32:                               ;   in Loop: Header=BB44_23 Depth=2
	s_add_u32 s36, s53, s0
	s_mov_b32 s34, s0
	s_mov_b32 s35, s0
	s_addc_u32 s37, s0, s0
	s_xor_b64 s[36:37], s[36:37], s[34:35]
	v_cvt_f32_u32_e32 v3, s36
	v_cvt_f32_u32_e32 v5, s37
	s_sub_u32 s0, 0, s36
	s_subb_u32 s1, 0, s37
	v_mac_f32_e32 v3, 0x4f800000, v5
	v_rcp_f32_e32 v3, v3
	v_mul_f32_e32 v3, 0x5f7ffffc, v3
	v_mul_f32_e32 v5, 0x2f800000, v3
	v_trunc_f32_e32 v5, v5
	v_mac_f32_e32 v3, 0xcf800000, v5
	v_cvt_u32_f32_e32 v5, v5
	v_cvt_u32_f32_e32 v3, v3
	v_mul_lo_u32 v7, s0, v5
	v_mul_hi_u32 v11, s0, v3
	v_mul_lo_u32 v9, s1, v3
	v_add_u32_e32 v7, v11, v7
	v_mul_lo_u32 v14, s0, v3
	v_add_u32_e32 v7, v7, v9
	v_mul_lo_u32 v11, v3, v7
	v_mul_hi_u32 v15, v3, v14
	v_mul_hi_u32 v9, v3, v7
	v_add_co_u32_e32 v11, vcc, v15, v11
	v_addc_co_u32_e32 v9, vcc, 0, v9, vcc
	v_mul_hi_u32 v16, v5, v14
	v_mul_lo_u32 v14, v5, v14
	v_add_co_u32_e32 v11, vcc, v11, v14
	v_mul_hi_u32 v15, v5, v7
	v_addc_co_u32_e32 v9, vcc, v9, v16, vcc
	v_addc_co_u32_e32 v11, vcc, 0, v15, vcc
	v_mul_lo_u32 v7, v5, v7
	v_add_co_u32_e32 v7, vcc, v9, v7
	v_addc_co_u32_e32 v9, vcc, 0, v11, vcc
	v_add_co_u32_e32 v3, vcc, v3, v7
	v_addc_co_u32_e32 v5, vcc, v5, v9, vcc
	v_mul_lo_u32 v7, s0, v5
	v_mul_hi_u32 v9, s0, v3
	v_add_u32_e32 v7, v9, v7
	v_mul_lo_u32 v9, s1, v3
	v_add_u32_e32 v7, v7, v9
	v_mul_lo_u32 v11, s0, v3
	v_mul_hi_u32 v14, v5, v11
	v_mul_lo_u32 v15, v5, v11
	v_mul_lo_u32 v17, v3, v7
	v_mul_hi_u32 v11, v3, v11
	v_mul_hi_u32 v16, v3, v7
	v_add_co_u32_e32 v11, vcc, v11, v17
	v_addc_co_u32_e32 v16, vcc, 0, v16, vcc
	v_add_co_u32_e32 v11, vcc, v11, v15
	v_mul_hi_u32 v9, v5, v7
	v_addc_co_u32_e32 v11, vcc, v16, v14, vcc
	v_addc_co_u32_e32 v9, vcc, 0, v9, vcc
	v_mul_lo_u32 v7, v5, v7
	v_add_co_u32_e32 v7, vcc, v11, v7
	v_addc_co_u32_e32 v9, vcc, 0, v9, vcc
	v_add_co_u32_e32 v3, vcc, v3, v7
	v_addc_co_u32_e32 v5, vcc, v5, v9, vcc
	v_ashrrev_i32_e32 v7, 31, v13
	v_add_co_u32_e32 v9, vcc, v12, v7
	v_xor_b32_e32 v9, v9, v7
	v_addc_co_u32_e32 v11, vcc, v13, v7, vcc
	v_mad_u64_u32 v[14:15], s[0:1], v9, v5, 0
	v_mul_hi_u32 v13, v9, v3
	v_xor_b32_e32 v11, v11, v7
	v_add_co_u32_e32 v13, vcc, v13, v14
	v_addc_co_u32_e32 v18, vcc, 0, v15, vcc
	v_mad_u64_u32 v[16:17], s[0:1], v11, v3, 0
	v_add_co_u32_e32 v3, vcc, v13, v16
	v_mad_u64_u32 v[14:15], s[0:1], v11, v5, 0
	v_addc_co_u32_e32 v3, vcc, v18, v17, vcc
	v_addc_co_u32_e32 v5, vcc, 0, v15, vcc
	v_add_co_u32_e32 v3, vcc, v3, v14
	v_addc_co_u32_e32 v5, vcc, 0, v5, vcc
	v_mul_lo_u32 v13, s37, v3
	v_mul_lo_u32 v16, s36, v5
	v_mad_u64_u32 v[14:15], s[0:1], s36, v3, 0
	v_add3_u32 v13, v15, v16, v13
	v_sub_u32_e32 v15, v11, v13
	v_mov_b32_e32 v16, s37
	v_sub_co_u32_e32 v9, vcc, v9, v14
	v_subb_co_u32_e64 v14, s[0:1], v15, v16, vcc
	v_subrev_co_u32_e64 v15, s[0:1], s36, v9
	v_subbrev_co_u32_e64 v14, s[0:1], 0, v14, s[0:1]
	v_cmp_le_u32_e64 s[0:1], s37, v14
	v_cndmask_b32_e64 v16, 0, -1, s[0:1]
	v_cmp_le_u32_e64 s[0:1], s36, v15
	v_cndmask_b32_e64 v15, 0, -1, s[0:1]
	v_cmp_eq_u32_e64 s[0:1], s37, v14
	v_cndmask_b32_e64 v14, v16, v15, s[0:1]
	v_add_co_u32_e64 v15, s[0:1], 2, v3
	v_subb_co_u32_e32 v11, vcc, v11, v13, vcc
	v_addc_co_u32_e64 v16, s[0:1], 0, v5, s[0:1]
	v_cmp_le_u32_e32 vcc, s37, v11
	v_add_co_u32_e64 v17, s[0:1], 1, v3
	v_cndmask_b32_e64 v13, 0, -1, vcc
	v_cmp_le_u32_e32 vcc, s36, v9
	v_addc_co_u32_e64 v18, s[0:1], 0, v5, s[0:1]
	v_cndmask_b32_e64 v9, 0, -1, vcc
	v_cmp_eq_u32_e32 vcc, s37, v11
	v_cmp_ne_u32_e64 s[0:1], 0, v14
	v_cndmask_b32_e32 v9, v13, v9, vcc
	v_cmp_ne_u32_e32 vcc, 0, v9
	v_cndmask_b32_e64 v9, v17, v15, s[0:1]
	v_cndmask_b32_e64 v14, v18, v16, s[0:1]
	v_cndmask_b32_e32 v3, v3, v9, vcc
	v_xor_b32_e32 v9, s35, v7
	v_xor_b32_e32 v7, s34, v7
	v_cndmask_b32_e32 v5, v5, v14, vcc
	v_xor_b32_e32 v3, v3, v7
	v_xor_b32_e32 v5, v5, v9
	v_sub_co_u32_e32 v14, vcc, v3, v7
	v_subb_co_u32_e32 v15, vcc, v5, v9, vcc
.LBB44_33:                              ;   in Loop: Header=BB44_23 Depth=2
	s_andn2_saveexec_b64 s[0:1], s[30:31]
	s_cbranch_execz .LBB44_35
; %bb.34:                               ;   in Loop: Header=BB44_23 Depth=2
	v_cvt_f32_u32_e32 v3, s53
	s_sub_i32 s16, 0, s53
	v_mov_b32_e32 v15, v2
	v_rcp_iflag_f32_e32 v3, v3
	v_mul_f32_e32 v3, 0x4f7ffffe, v3
	v_cvt_u32_f32_e32 v3, v3
	v_mul_lo_u32 v5, s16, v3
	v_mul_hi_u32 v5, v3, v5
	v_add_u32_e32 v3, v3, v5
	v_mul_hi_u32 v3, v12, v3
	v_mul_lo_u32 v5, v3, s53
	v_sub_u32_e32 v5, v12, v5
	v_add_u32_e32 v7, 1, v3
	v_subrev_u32_e32 v9, s53, v5
	v_cmp_le_u32_e32 vcc, s53, v5
	v_cndmask_b32_e32 v5, v5, v9, vcc
	v_cndmask_b32_e32 v3, v3, v7, vcc
	v_add_u32_e32 v7, 1, v3
	v_cmp_le_u32_e32 vcc, s53, v5
	v_cndmask_b32_e32 v14, v3, v7, vcc
.LBB44_35:                              ;   in Loop: Header=BB44_23 Depth=2
	s_or_b64 exec, exec, s[0:1]
	s_add_u32 s0, s43, s28
	s_addc_u32 s1, s44, s29
	s_add_i32 s16, s26, 4
	s_lshl_b64 s[28:29], s[16:17], 2
	s_add_u32 s30, s39, s28
	s_addc_u32 s31, s40, s29
	s_load_dword s55, s[30:31], 0x0
	s_load_dword s56, s[0:1], 0x0
                                        ; implicit-def: $vgpr16_vgpr17
	s_waitcnt lgkmcnt(0)
	s_ashr_i32 s0, s55, 31
	v_or_b32_e32 v3, s0, v15
	v_cmp_ne_u64_e32 vcc, 0, v[2:3]
	s_and_saveexec_b64 s[30:31], vcc
	s_xor_b64 s[30:31], exec, s[30:31]
	s_cbranch_execz .LBB44_37
; %bb.36:                               ;   in Loop: Header=BB44_23 Depth=2
	s_add_u32 s36, s55, s0
	s_mov_b32 s34, s0
	s_mov_b32 s35, s0
	s_addc_u32 s37, s0, s0
	s_xor_b64 s[36:37], s[36:37], s[34:35]
	v_cvt_f32_u32_e32 v3, s36
	v_cvt_f32_u32_e32 v5, s37
	s_sub_u32 s0, 0, s36
	s_subb_u32 s1, 0, s37
	v_mac_f32_e32 v3, 0x4f800000, v5
	v_rcp_f32_e32 v3, v3
	v_mul_f32_e32 v3, 0x5f7ffffc, v3
	v_mul_f32_e32 v5, 0x2f800000, v3
	v_trunc_f32_e32 v5, v5
	v_mac_f32_e32 v3, 0xcf800000, v5
	v_cvt_u32_f32_e32 v5, v5
	v_cvt_u32_f32_e32 v3, v3
	v_mul_lo_u32 v7, s0, v5
	v_mul_hi_u32 v11, s0, v3
	v_mul_lo_u32 v9, s1, v3
	v_add_u32_e32 v7, v11, v7
	v_mul_lo_u32 v13, s0, v3
	v_add_u32_e32 v7, v7, v9
	v_mul_lo_u32 v11, v3, v7
	v_mul_hi_u32 v16, v3, v13
	v_mul_hi_u32 v9, v3, v7
	v_add_co_u32_e32 v11, vcc, v16, v11
	v_addc_co_u32_e32 v9, vcc, 0, v9, vcc
	v_mul_hi_u32 v17, v5, v13
	v_mul_lo_u32 v13, v5, v13
	v_add_co_u32_e32 v11, vcc, v11, v13
	v_mul_hi_u32 v16, v5, v7
	v_addc_co_u32_e32 v9, vcc, v9, v17, vcc
	v_addc_co_u32_e32 v11, vcc, 0, v16, vcc
	v_mul_lo_u32 v7, v5, v7
	v_add_co_u32_e32 v7, vcc, v9, v7
	v_addc_co_u32_e32 v9, vcc, 0, v11, vcc
	v_add_co_u32_e32 v3, vcc, v3, v7
	v_addc_co_u32_e32 v5, vcc, v5, v9, vcc
	v_mul_lo_u32 v7, s0, v5
	v_mul_hi_u32 v9, s0, v3
	v_add_u32_e32 v7, v9, v7
	v_mul_lo_u32 v9, s1, v3
	v_add_u32_e32 v7, v7, v9
	v_mul_lo_u32 v11, s0, v3
	v_mul_hi_u32 v13, v5, v11
	v_mul_lo_u32 v16, v5, v11
	v_mul_lo_u32 v18, v3, v7
	v_mul_hi_u32 v11, v3, v11
	v_mul_hi_u32 v17, v3, v7
	v_add_co_u32_e32 v11, vcc, v11, v18
	v_addc_co_u32_e32 v17, vcc, 0, v17, vcc
	v_add_co_u32_e32 v11, vcc, v11, v16
	v_mul_hi_u32 v9, v5, v7
	v_addc_co_u32_e32 v11, vcc, v17, v13, vcc
	v_addc_co_u32_e32 v9, vcc, 0, v9, vcc
	v_mul_lo_u32 v7, v5, v7
	v_add_co_u32_e32 v7, vcc, v11, v7
	v_addc_co_u32_e32 v9, vcc, 0, v9, vcc
	v_add_co_u32_e32 v3, vcc, v3, v7
	v_addc_co_u32_e32 v5, vcc, v5, v9, vcc
	v_ashrrev_i32_e32 v7, 31, v15
	v_add_co_u32_e32 v9, vcc, v14, v7
	v_xor_b32_e32 v9, v9, v7
	v_addc_co_u32_e32 v11, vcc, v15, v7, vcc
	v_mad_u64_u32 v[16:17], s[0:1], v9, v5, 0
	v_mul_hi_u32 v13, v9, v3
	v_xor_b32_e32 v11, v11, v7
	v_add_co_u32_e32 v13, vcc, v13, v16
	v_addc_co_u32_e32 v15, vcc, 0, v17, vcc
	v_mad_u64_u32 v[18:19], s[0:1], v11, v3, 0
	v_add_co_u32_e32 v3, vcc, v13, v18
	v_mad_u64_u32 v[16:17], s[0:1], v11, v5, 0
	v_addc_co_u32_e32 v3, vcc, v15, v19, vcc
	v_addc_co_u32_e32 v5, vcc, 0, v17, vcc
	v_add_co_u32_e32 v3, vcc, v3, v16
	v_addc_co_u32_e32 v5, vcc, 0, v5, vcc
	v_mul_lo_u32 v13, s37, v3
	v_mul_lo_u32 v15, s36, v5
	v_mad_u64_u32 v[16:17], s[0:1], s36, v3, 0
	v_add3_u32 v13, v17, v15, v13
	v_sub_u32_e32 v15, v11, v13
	v_mov_b32_e32 v17, s37
	v_sub_co_u32_e32 v9, vcc, v9, v16
	v_subb_co_u32_e64 v15, s[0:1], v15, v17, vcc
	v_subrev_co_u32_e64 v16, s[0:1], s36, v9
	v_subbrev_co_u32_e64 v15, s[0:1], 0, v15, s[0:1]
	v_cmp_le_u32_e64 s[0:1], s37, v15
	v_cndmask_b32_e64 v17, 0, -1, s[0:1]
	v_cmp_le_u32_e64 s[0:1], s36, v16
	v_cndmask_b32_e64 v16, 0, -1, s[0:1]
	v_cmp_eq_u32_e64 s[0:1], s37, v15
	v_cndmask_b32_e64 v15, v17, v16, s[0:1]
	v_add_co_u32_e64 v16, s[0:1], 2, v3
	v_subb_co_u32_e32 v11, vcc, v11, v13, vcc
	v_addc_co_u32_e64 v17, s[0:1], 0, v5, s[0:1]
	v_cmp_le_u32_e32 vcc, s37, v11
	v_add_co_u32_e64 v18, s[0:1], 1, v3
	v_cndmask_b32_e64 v13, 0, -1, vcc
	v_cmp_le_u32_e32 vcc, s36, v9
	v_addc_co_u32_e64 v19, s[0:1], 0, v5, s[0:1]
	v_cndmask_b32_e64 v9, 0, -1, vcc
	v_cmp_eq_u32_e32 vcc, s37, v11
	v_cmp_ne_u32_e64 s[0:1], 0, v15
	v_cndmask_b32_e32 v9, v13, v9, vcc
	v_cmp_ne_u32_e32 vcc, 0, v9
	v_cndmask_b32_e64 v9, v18, v16, s[0:1]
	v_cndmask_b32_e64 v15, v19, v17, s[0:1]
	v_cndmask_b32_e32 v3, v3, v9, vcc
	v_xor_b32_e32 v9, s35, v7
	v_xor_b32_e32 v7, s34, v7
	v_cndmask_b32_e32 v5, v5, v15, vcc
	v_xor_b32_e32 v3, v3, v7
	v_xor_b32_e32 v5, v5, v9
	v_sub_co_u32_e32 v16, vcc, v3, v7
	v_subb_co_u32_e32 v17, vcc, v5, v9, vcc
.LBB44_37:                              ;   in Loop: Header=BB44_23 Depth=2
	s_andn2_saveexec_b64 s[0:1], s[30:31]
	s_cbranch_execz .LBB44_39
; %bb.38:                               ;   in Loop: Header=BB44_23 Depth=2
	v_cvt_f32_u32_e32 v3, s55
	s_sub_i32 s16, 0, s55
	v_mov_b32_e32 v17, v2
	v_rcp_iflag_f32_e32 v3, v3
	v_mul_f32_e32 v3, 0x4f7ffffe, v3
	v_cvt_u32_f32_e32 v3, v3
	v_mul_lo_u32 v5, s16, v3
	v_mul_hi_u32 v5, v3, v5
	v_add_u32_e32 v3, v3, v5
	v_mul_hi_u32 v3, v14, v3
	v_mul_lo_u32 v5, v3, s55
	v_sub_u32_e32 v5, v14, v5
	v_add_u32_e32 v7, 1, v3
	v_subrev_u32_e32 v9, s55, v5
	v_cmp_le_u32_e32 vcc, s55, v5
	v_cndmask_b32_e32 v5, v5, v9, vcc
	v_cndmask_b32_e32 v3, v3, v7, vcc
	v_add_u32_e32 v7, 1, v3
	v_cmp_le_u32_e32 vcc, s55, v5
	v_cndmask_b32_e32 v16, v3, v7, vcc
.LBB44_39:                              ;   in Loop: Header=BB44_23 Depth=2
	s_or_b64 exec, exec, s[0:1]
	s_add_u32 s0, s43, s28
	s_addc_u32 s1, s44, s29
	s_add_i32 s16, s26, 3
	s_lshl_b64 s[28:29], s[16:17], 2
	s_add_u32 s30, s39, s28
	s_addc_u32 s31, s40, s29
	s_load_dword s57, s[30:31], 0x0
	s_load_dword s58, s[0:1], 0x0
                                        ; implicit-def: $vgpr18_vgpr19
	s_waitcnt lgkmcnt(0)
	s_ashr_i32 s0, s57, 31
	v_or_b32_e32 v3, s0, v17
	v_cmp_ne_u64_e32 vcc, 0, v[2:3]
	s_and_saveexec_b64 s[30:31], vcc
	s_xor_b64 s[30:31], exec, s[30:31]
	s_cbranch_execz .LBB44_41
; %bb.40:                               ;   in Loop: Header=BB44_23 Depth=2
	s_add_u32 s36, s57, s0
	s_mov_b32 s34, s0
	s_mov_b32 s35, s0
	s_addc_u32 s37, s0, s0
	s_xor_b64 s[36:37], s[36:37], s[34:35]
	v_cvt_f32_u32_e32 v3, s36
	v_cvt_f32_u32_e32 v5, s37
	s_sub_u32 s0, 0, s36
	s_subb_u32 s1, 0, s37
	v_mac_f32_e32 v3, 0x4f800000, v5
	v_rcp_f32_e32 v3, v3
	v_mul_f32_e32 v3, 0x5f7ffffc, v3
	v_mul_f32_e32 v5, 0x2f800000, v3
	v_trunc_f32_e32 v5, v5
	v_mac_f32_e32 v3, 0xcf800000, v5
	v_cvt_u32_f32_e32 v5, v5
	v_cvt_u32_f32_e32 v3, v3
	v_mul_lo_u32 v7, s0, v5
	v_mul_hi_u32 v11, s0, v3
	v_mul_lo_u32 v9, s1, v3
	v_add_u32_e32 v7, v11, v7
	v_mul_lo_u32 v13, s0, v3
	v_add_u32_e32 v7, v7, v9
	v_mul_lo_u32 v11, v3, v7
	v_mul_hi_u32 v15, v3, v13
	v_mul_hi_u32 v9, v3, v7
	v_add_co_u32_e32 v11, vcc, v15, v11
	v_addc_co_u32_e32 v9, vcc, 0, v9, vcc
	v_mul_hi_u32 v18, v5, v13
	v_mul_lo_u32 v13, v5, v13
	v_add_co_u32_e32 v11, vcc, v11, v13
	v_mul_hi_u32 v15, v5, v7
	v_addc_co_u32_e32 v9, vcc, v9, v18, vcc
	v_addc_co_u32_e32 v11, vcc, 0, v15, vcc
	v_mul_lo_u32 v7, v5, v7
	v_add_co_u32_e32 v7, vcc, v9, v7
	v_addc_co_u32_e32 v9, vcc, 0, v11, vcc
	v_add_co_u32_e32 v3, vcc, v3, v7
	v_addc_co_u32_e32 v5, vcc, v5, v9, vcc
	v_mul_lo_u32 v7, s0, v5
	v_mul_hi_u32 v9, s0, v3
	v_add_u32_e32 v7, v9, v7
	v_mul_lo_u32 v9, s1, v3
	v_add_u32_e32 v7, v7, v9
	v_mul_lo_u32 v11, s0, v3
	v_mul_hi_u32 v13, v5, v11
	v_mul_lo_u32 v15, v5, v11
	v_mul_lo_u32 v19, v3, v7
	v_mul_hi_u32 v11, v3, v11
	v_mul_hi_u32 v18, v3, v7
	v_add_co_u32_e32 v11, vcc, v11, v19
	v_addc_co_u32_e32 v18, vcc, 0, v18, vcc
	v_add_co_u32_e32 v11, vcc, v11, v15
	v_mul_hi_u32 v9, v5, v7
	v_addc_co_u32_e32 v11, vcc, v18, v13, vcc
	v_addc_co_u32_e32 v9, vcc, 0, v9, vcc
	v_mul_lo_u32 v7, v5, v7
	v_add_co_u32_e32 v7, vcc, v11, v7
	v_addc_co_u32_e32 v9, vcc, 0, v9, vcc
	v_add_co_u32_e32 v3, vcc, v3, v7
	v_addc_co_u32_e32 v5, vcc, v5, v9, vcc
	v_ashrrev_i32_e32 v7, 31, v17
	v_add_co_u32_e32 v9, vcc, v16, v7
	v_xor_b32_e32 v9, v9, v7
	v_addc_co_u32_e32 v11, vcc, v17, v7, vcc
	v_mad_u64_u32 v[18:19], s[0:1], v9, v5, 0
	v_mul_hi_u32 v13, v9, v3
	v_xor_b32_e32 v11, v11, v7
	v_add_co_u32_e32 v13, vcc, v13, v18
	v_addc_co_u32_e32 v15, vcc, 0, v19, vcc
	v_mad_u64_u32 v[20:21], s[0:1], v11, v3, 0
	v_add_co_u32_e32 v3, vcc, v13, v20
	v_mad_u64_u32 v[18:19], s[0:1], v11, v5, 0
	v_addc_co_u32_e32 v3, vcc, v15, v21, vcc
	v_addc_co_u32_e32 v5, vcc, 0, v19, vcc
	v_add_co_u32_e32 v3, vcc, v3, v18
	v_addc_co_u32_e32 v5, vcc, 0, v5, vcc
	v_mul_lo_u32 v13, s37, v3
	v_mul_lo_u32 v15, s36, v5
	v_mad_u64_u32 v[18:19], s[0:1], s36, v3, 0
	v_add3_u32 v13, v19, v15, v13
	v_sub_u32_e32 v15, v11, v13
	v_mov_b32_e32 v17, s37
	v_sub_co_u32_e32 v9, vcc, v9, v18
	v_subb_co_u32_e64 v15, s[0:1], v15, v17, vcc
	v_subrev_co_u32_e64 v17, s[0:1], s36, v9
	v_subbrev_co_u32_e64 v15, s[0:1], 0, v15, s[0:1]
	v_cmp_le_u32_e64 s[0:1], s37, v15
	v_cndmask_b32_e64 v18, 0, -1, s[0:1]
	v_cmp_le_u32_e64 s[0:1], s36, v17
	v_cndmask_b32_e64 v17, 0, -1, s[0:1]
	v_cmp_eq_u32_e64 s[0:1], s37, v15
	v_cndmask_b32_e64 v15, v18, v17, s[0:1]
	v_add_co_u32_e64 v17, s[0:1], 2, v3
	v_subb_co_u32_e32 v11, vcc, v11, v13, vcc
	v_addc_co_u32_e64 v18, s[0:1], 0, v5, s[0:1]
	v_cmp_le_u32_e32 vcc, s37, v11
	v_add_co_u32_e64 v19, s[0:1], 1, v3
	v_cndmask_b32_e64 v13, 0, -1, vcc
	v_cmp_le_u32_e32 vcc, s36, v9
	v_addc_co_u32_e64 v20, s[0:1], 0, v5, s[0:1]
	v_cndmask_b32_e64 v9, 0, -1, vcc
	v_cmp_eq_u32_e32 vcc, s37, v11
	v_cmp_ne_u32_e64 s[0:1], 0, v15
	v_cndmask_b32_e32 v9, v13, v9, vcc
	v_cmp_ne_u32_e32 vcc, 0, v9
	v_cndmask_b32_e64 v9, v19, v17, s[0:1]
	v_cndmask_b32_e64 v15, v20, v18, s[0:1]
	v_cndmask_b32_e32 v3, v3, v9, vcc
	v_xor_b32_e32 v9, s35, v7
	v_xor_b32_e32 v7, s34, v7
	v_cndmask_b32_e32 v5, v5, v15, vcc
	v_xor_b32_e32 v3, v3, v7
	v_xor_b32_e32 v5, v5, v9
	v_sub_co_u32_e32 v18, vcc, v3, v7
	v_subb_co_u32_e32 v19, vcc, v5, v9, vcc
.LBB44_41:                              ;   in Loop: Header=BB44_23 Depth=2
	s_andn2_saveexec_b64 s[0:1], s[30:31]
	s_cbranch_execz .LBB44_43
; %bb.42:                               ;   in Loop: Header=BB44_23 Depth=2
	v_cvt_f32_u32_e32 v3, s57
	s_sub_i32 s16, 0, s57
	v_mov_b32_e32 v19, v2
	v_rcp_iflag_f32_e32 v3, v3
	v_mul_f32_e32 v3, 0x4f7ffffe, v3
	v_cvt_u32_f32_e32 v3, v3
	v_mul_lo_u32 v5, s16, v3
	v_mul_hi_u32 v5, v3, v5
	v_add_u32_e32 v3, v3, v5
	v_mul_hi_u32 v3, v16, v3
	v_mul_lo_u32 v5, v3, s57
	v_sub_u32_e32 v5, v16, v5
	v_add_u32_e32 v7, 1, v3
	v_subrev_u32_e32 v9, s57, v5
	v_cmp_le_u32_e32 vcc, s57, v5
	v_cndmask_b32_e32 v5, v5, v9, vcc
	v_cndmask_b32_e32 v3, v3, v7, vcc
	v_add_u32_e32 v7, 1, v3
	v_cmp_le_u32_e32 vcc, s57, v5
	v_cndmask_b32_e32 v18, v3, v7, vcc
.LBB44_43:                              ;   in Loop: Header=BB44_23 Depth=2
	s_or_b64 exec, exec, s[0:1]
	s_add_u32 s0, s43, s28
	s_addc_u32 s1, s44, s29
	s_add_i32 s16, s26, 2
	s_lshl_b64 s[28:29], s[16:17], 2
	s_add_u32 s30, s39, s28
	s_addc_u32 s31, s40, s29
	s_load_dword s59, s[30:31], 0x0
	s_load_dword s60, s[0:1], 0x0
                                        ; implicit-def: $vgpr20_vgpr21
	s_waitcnt lgkmcnt(0)
	s_ashr_i32 s0, s59, 31
	v_or_b32_e32 v3, s0, v19
	v_cmp_ne_u64_e32 vcc, 0, v[2:3]
	s_and_saveexec_b64 s[30:31], vcc
	s_xor_b64 s[30:31], exec, s[30:31]
	s_cbranch_execz .LBB44_45
; %bb.44:                               ;   in Loop: Header=BB44_23 Depth=2
	s_add_u32 s36, s59, s0
	s_mov_b32 s34, s0
	s_mov_b32 s35, s0
	s_addc_u32 s37, s0, s0
	s_xor_b64 s[36:37], s[36:37], s[34:35]
	v_cvt_f32_u32_e32 v3, s36
	v_cvt_f32_u32_e32 v5, s37
	s_sub_u32 s0, 0, s36
	s_subb_u32 s1, 0, s37
	v_mac_f32_e32 v3, 0x4f800000, v5
	v_rcp_f32_e32 v3, v3
	v_mul_f32_e32 v3, 0x5f7ffffc, v3
	v_mul_f32_e32 v5, 0x2f800000, v3
	v_trunc_f32_e32 v5, v5
	v_mac_f32_e32 v3, 0xcf800000, v5
	v_cvt_u32_f32_e32 v5, v5
	v_cvt_u32_f32_e32 v3, v3
	v_mul_lo_u32 v7, s0, v5
	v_mul_hi_u32 v11, s0, v3
	v_mul_lo_u32 v9, s1, v3
	v_add_u32_e32 v7, v11, v7
	v_mul_lo_u32 v13, s0, v3
	v_add_u32_e32 v7, v7, v9
	v_mul_lo_u32 v11, v3, v7
	v_mul_hi_u32 v15, v3, v13
	v_mul_hi_u32 v9, v3, v7
	v_add_co_u32_e32 v11, vcc, v15, v11
	v_addc_co_u32_e32 v9, vcc, 0, v9, vcc
	v_mul_hi_u32 v17, v5, v13
	v_mul_lo_u32 v13, v5, v13
	v_add_co_u32_e32 v11, vcc, v11, v13
	v_mul_hi_u32 v15, v5, v7
	v_addc_co_u32_e32 v9, vcc, v9, v17, vcc
	v_addc_co_u32_e32 v11, vcc, 0, v15, vcc
	v_mul_lo_u32 v7, v5, v7
	v_add_co_u32_e32 v7, vcc, v9, v7
	v_addc_co_u32_e32 v9, vcc, 0, v11, vcc
	v_add_co_u32_e32 v3, vcc, v3, v7
	v_addc_co_u32_e32 v5, vcc, v5, v9, vcc
	v_mul_lo_u32 v7, s0, v5
	v_mul_hi_u32 v9, s0, v3
	v_add_u32_e32 v7, v9, v7
	v_mul_lo_u32 v9, s1, v3
	v_add_u32_e32 v7, v7, v9
	v_mul_lo_u32 v11, s0, v3
	v_mul_hi_u32 v13, v5, v11
	v_mul_lo_u32 v15, v5, v11
	v_mul_lo_u32 v20, v3, v7
	v_mul_hi_u32 v11, v3, v11
	v_mul_hi_u32 v17, v3, v7
	v_add_co_u32_e32 v11, vcc, v11, v20
	v_addc_co_u32_e32 v17, vcc, 0, v17, vcc
	v_add_co_u32_e32 v11, vcc, v11, v15
	v_mul_hi_u32 v9, v5, v7
	v_addc_co_u32_e32 v11, vcc, v17, v13, vcc
	v_addc_co_u32_e32 v9, vcc, 0, v9, vcc
	v_mul_lo_u32 v7, v5, v7
	v_add_co_u32_e32 v7, vcc, v11, v7
	v_addc_co_u32_e32 v9, vcc, 0, v9, vcc
	v_add_co_u32_e32 v3, vcc, v3, v7
	v_addc_co_u32_e32 v5, vcc, v5, v9, vcc
	v_ashrrev_i32_e32 v7, 31, v19
	v_add_co_u32_e32 v9, vcc, v18, v7
	v_xor_b32_e32 v9, v9, v7
	v_addc_co_u32_e32 v11, vcc, v19, v7, vcc
	v_mad_u64_u32 v[20:21], s[0:1], v9, v5, 0
	v_mul_hi_u32 v13, v9, v3
	v_xor_b32_e32 v11, v11, v7
	v_add_co_u32_e32 v13, vcc, v13, v20
	v_addc_co_u32_e32 v15, vcc, 0, v21, vcc
	v_mad_u64_u32 v[22:23], s[0:1], v11, v3, 0
	v_add_co_u32_e32 v3, vcc, v13, v22
	v_mad_u64_u32 v[20:21], s[0:1], v11, v5, 0
	v_addc_co_u32_e32 v3, vcc, v15, v23, vcc
	v_addc_co_u32_e32 v5, vcc, 0, v21, vcc
	v_add_co_u32_e32 v3, vcc, v3, v20
	v_addc_co_u32_e32 v5, vcc, 0, v5, vcc
	v_mul_lo_u32 v13, s37, v3
	v_mul_lo_u32 v15, s36, v5
	v_mad_u64_u32 v[20:21], s[0:1], s36, v3, 0
	v_add3_u32 v13, v21, v15, v13
	v_sub_u32_e32 v15, v11, v13
	v_mov_b32_e32 v17, s37
	v_sub_co_u32_e32 v9, vcc, v9, v20
	v_subb_co_u32_e64 v15, s[0:1], v15, v17, vcc
	v_subrev_co_u32_e64 v17, s[0:1], s36, v9
	v_subbrev_co_u32_e64 v15, s[0:1], 0, v15, s[0:1]
	v_cmp_le_u32_e64 s[0:1], s37, v15
	v_cndmask_b32_e64 v19, 0, -1, s[0:1]
	v_cmp_le_u32_e64 s[0:1], s36, v17
	v_cndmask_b32_e64 v17, 0, -1, s[0:1]
	v_cmp_eq_u32_e64 s[0:1], s37, v15
	v_cndmask_b32_e64 v15, v19, v17, s[0:1]
	v_add_co_u32_e64 v17, s[0:1], 2, v3
	v_subb_co_u32_e32 v11, vcc, v11, v13, vcc
	v_addc_co_u32_e64 v19, s[0:1], 0, v5, s[0:1]
	v_cmp_le_u32_e32 vcc, s37, v11
	v_add_co_u32_e64 v20, s[0:1], 1, v3
	v_cndmask_b32_e64 v13, 0, -1, vcc
	v_cmp_le_u32_e32 vcc, s36, v9
	v_addc_co_u32_e64 v21, s[0:1], 0, v5, s[0:1]
	v_cndmask_b32_e64 v9, 0, -1, vcc
	v_cmp_eq_u32_e32 vcc, s37, v11
	v_cmp_ne_u32_e64 s[0:1], 0, v15
	v_cndmask_b32_e32 v9, v13, v9, vcc
	v_cmp_ne_u32_e32 vcc, 0, v9
	v_cndmask_b32_e64 v9, v20, v17, s[0:1]
	v_cndmask_b32_e64 v15, v21, v19, s[0:1]
	v_cndmask_b32_e32 v3, v3, v9, vcc
	v_xor_b32_e32 v9, s35, v7
	v_xor_b32_e32 v7, s34, v7
	v_cndmask_b32_e32 v5, v5, v15, vcc
	v_xor_b32_e32 v3, v3, v7
	v_xor_b32_e32 v5, v5, v9
	v_sub_co_u32_e32 v20, vcc, v3, v7
	v_subb_co_u32_e32 v21, vcc, v5, v9, vcc
.LBB44_45:                              ;   in Loop: Header=BB44_23 Depth=2
	s_andn2_saveexec_b64 s[0:1], s[30:31]
	s_cbranch_execz .LBB44_47
; %bb.46:                               ;   in Loop: Header=BB44_23 Depth=2
	v_cvt_f32_u32_e32 v3, s59
	s_sub_i32 s16, 0, s59
	v_mov_b32_e32 v21, v2
	v_rcp_iflag_f32_e32 v3, v3
	v_mul_f32_e32 v3, 0x4f7ffffe, v3
	v_cvt_u32_f32_e32 v3, v3
	v_mul_lo_u32 v5, s16, v3
	v_mul_hi_u32 v5, v3, v5
	v_add_u32_e32 v3, v3, v5
	v_mul_hi_u32 v3, v18, v3
	v_mul_lo_u32 v5, v3, s59
	v_sub_u32_e32 v5, v18, v5
	v_add_u32_e32 v7, 1, v3
	v_subrev_u32_e32 v9, s59, v5
	v_cmp_le_u32_e32 vcc, s59, v5
	v_cndmask_b32_e32 v5, v5, v9, vcc
	v_cndmask_b32_e32 v3, v3, v7, vcc
	v_add_u32_e32 v7, 1, v3
	v_cmp_le_u32_e32 vcc, s59, v5
	v_cndmask_b32_e32 v20, v3, v7, vcc
.LBB44_47:                              ;   in Loop: Header=BB44_23 Depth=2
	s_or_b64 exec, exec, s[0:1]
	s_add_u32 s0, s43, s28
	s_addc_u32 s1, s44, s29
	s_add_i32 s16, s26, 1
	s_lshl_b64 s[28:29], s[16:17], 2
	s_add_u32 s30, s39, s28
	s_addc_u32 s31, s40, s29
	s_load_dword s16, s[30:31], 0x0
	s_load_dword s61, s[0:1], 0x0
                                        ; implicit-def: $vgpr22_vgpr23
	s_waitcnt lgkmcnt(0)
	s_ashr_i32 s0, s16, 31
	v_or_b32_e32 v3, s0, v21
	v_cmp_ne_u64_e32 vcc, 0, v[2:3]
	s_and_saveexec_b64 s[30:31], vcc
	s_xor_b64 s[30:31], exec, s[30:31]
	s_cbranch_execz .LBB44_49
; %bb.48:                               ;   in Loop: Header=BB44_23 Depth=2
	s_add_u32 s36, s16, s0
	s_mov_b32 s34, s0
	s_mov_b32 s35, s0
	s_addc_u32 s37, s0, s0
	s_xor_b64 s[36:37], s[36:37], s[34:35]
	v_cvt_f32_u32_e32 v3, s36
	v_cvt_f32_u32_e32 v5, s37
	s_sub_u32 s0, 0, s36
	s_subb_u32 s1, 0, s37
	v_mac_f32_e32 v3, 0x4f800000, v5
	v_rcp_f32_e32 v3, v3
	v_mul_f32_e32 v3, 0x5f7ffffc, v3
	v_mul_f32_e32 v5, 0x2f800000, v3
	v_trunc_f32_e32 v5, v5
	v_mac_f32_e32 v3, 0xcf800000, v5
	v_cvt_u32_f32_e32 v5, v5
	v_cvt_u32_f32_e32 v3, v3
	v_mul_lo_u32 v7, s0, v5
	v_mul_hi_u32 v11, s0, v3
	v_mul_lo_u32 v9, s1, v3
	v_add_u32_e32 v7, v11, v7
	v_mul_lo_u32 v13, s0, v3
	v_add_u32_e32 v7, v7, v9
	v_mul_lo_u32 v11, v3, v7
	v_mul_hi_u32 v15, v3, v13
	v_mul_hi_u32 v9, v3, v7
	v_add_co_u32_e32 v11, vcc, v15, v11
	v_addc_co_u32_e32 v9, vcc, 0, v9, vcc
	v_mul_hi_u32 v17, v5, v13
	v_mul_lo_u32 v13, v5, v13
	v_add_co_u32_e32 v11, vcc, v11, v13
	v_mul_hi_u32 v15, v5, v7
	v_addc_co_u32_e32 v9, vcc, v9, v17, vcc
	v_addc_co_u32_e32 v11, vcc, 0, v15, vcc
	v_mul_lo_u32 v7, v5, v7
	v_add_co_u32_e32 v7, vcc, v9, v7
	v_addc_co_u32_e32 v9, vcc, 0, v11, vcc
	v_add_co_u32_e32 v3, vcc, v3, v7
	v_addc_co_u32_e32 v5, vcc, v5, v9, vcc
	v_mul_lo_u32 v7, s0, v5
	v_mul_hi_u32 v9, s0, v3
	v_add_u32_e32 v7, v9, v7
	v_mul_lo_u32 v9, s1, v3
	v_add_u32_e32 v7, v7, v9
	v_mul_lo_u32 v11, s0, v3
	v_mul_hi_u32 v13, v5, v11
	v_mul_lo_u32 v15, v5, v11
	v_mul_lo_u32 v19, v3, v7
	v_mul_hi_u32 v11, v3, v11
	v_mul_hi_u32 v17, v3, v7
	v_add_co_u32_e32 v11, vcc, v11, v19
	v_addc_co_u32_e32 v17, vcc, 0, v17, vcc
	v_add_co_u32_e32 v11, vcc, v11, v15
	v_mul_hi_u32 v9, v5, v7
	v_addc_co_u32_e32 v11, vcc, v17, v13, vcc
	v_addc_co_u32_e32 v9, vcc, 0, v9, vcc
	v_mul_lo_u32 v7, v5, v7
	v_add_co_u32_e32 v7, vcc, v11, v7
	v_addc_co_u32_e32 v9, vcc, 0, v9, vcc
	v_add_co_u32_e32 v3, vcc, v3, v7
	v_addc_co_u32_e32 v5, vcc, v5, v9, vcc
	v_ashrrev_i32_e32 v7, 31, v21
	v_add_co_u32_e32 v9, vcc, v20, v7
	v_xor_b32_e32 v9, v9, v7
	v_addc_co_u32_e32 v11, vcc, v21, v7, vcc
	v_mad_u64_u32 v[22:23], s[0:1], v9, v5, 0
	v_mul_hi_u32 v13, v9, v3
	v_xor_b32_e32 v11, v11, v7
	v_add_co_u32_e32 v13, vcc, v13, v22
	v_addc_co_u32_e32 v15, vcc, 0, v23, vcc
	v_mad_u64_u32 v[24:25], s[0:1], v11, v3, 0
	v_add_co_u32_e32 v3, vcc, v13, v24
	v_mad_u64_u32 v[22:23], s[0:1], v11, v5, 0
	v_addc_co_u32_e32 v3, vcc, v15, v25, vcc
	v_addc_co_u32_e32 v5, vcc, 0, v23, vcc
	v_add_co_u32_e32 v3, vcc, v3, v22
	v_addc_co_u32_e32 v5, vcc, 0, v5, vcc
	v_mul_lo_u32 v13, s37, v3
	v_mul_lo_u32 v15, s36, v5
	v_mad_u64_u32 v[22:23], s[0:1], s36, v3, 0
	v_add3_u32 v13, v23, v15, v13
	v_sub_u32_e32 v15, v11, v13
	v_mov_b32_e32 v17, s37
	v_sub_co_u32_e32 v9, vcc, v9, v22
	v_subb_co_u32_e64 v15, s[0:1], v15, v17, vcc
	v_subrev_co_u32_e64 v17, s[0:1], s36, v9
	v_subbrev_co_u32_e64 v15, s[0:1], 0, v15, s[0:1]
	v_cmp_le_u32_e64 s[0:1], s37, v15
	v_cndmask_b32_e64 v19, 0, -1, s[0:1]
	v_cmp_le_u32_e64 s[0:1], s36, v17
	v_cndmask_b32_e64 v17, 0, -1, s[0:1]
	v_cmp_eq_u32_e64 s[0:1], s37, v15
	v_cndmask_b32_e64 v15, v19, v17, s[0:1]
	v_add_co_u32_e64 v17, s[0:1], 2, v3
	v_subb_co_u32_e32 v11, vcc, v11, v13, vcc
	v_addc_co_u32_e64 v19, s[0:1], 0, v5, s[0:1]
	v_cmp_le_u32_e32 vcc, s37, v11
	v_add_co_u32_e64 v21, s[0:1], 1, v3
	v_cndmask_b32_e64 v13, 0, -1, vcc
	v_cmp_le_u32_e32 vcc, s36, v9
	v_addc_co_u32_e64 v22, s[0:1], 0, v5, s[0:1]
	v_cndmask_b32_e64 v9, 0, -1, vcc
	v_cmp_eq_u32_e32 vcc, s37, v11
	v_cmp_ne_u32_e64 s[0:1], 0, v15
	v_cndmask_b32_e32 v9, v13, v9, vcc
	v_cmp_ne_u32_e32 vcc, 0, v9
	v_cndmask_b32_e64 v9, v21, v17, s[0:1]
	v_cndmask_b32_e64 v15, v22, v19, s[0:1]
	v_cndmask_b32_e32 v3, v3, v9, vcc
	v_xor_b32_e32 v9, s35, v7
	v_xor_b32_e32 v7, s34, v7
	v_cndmask_b32_e32 v5, v5, v15, vcc
	v_xor_b32_e32 v3, v3, v7
	v_xor_b32_e32 v5, v5, v9
	v_sub_co_u32_e32 v22, vcc, v3, v7
	v_subb_co_u32_e32 v23, vcc, v5, v9, vcc
.LBB44_49:                              ;   in Loop: Header=BB44_23 Depth=2
	s_andn2_saveexec_b64 s[0:1], s[30:31]
	s_cbranch_execz .LBB44_51
; %bb.50:                               ;   in Loop: Header=BB44_23 Depth=2
	v_cvt_f32_u32_e32 v3, s16
	s_sub_i32 s27, 0, s16
	v_mov_b32_e32 v23, v2
	v_rcp_iflag_f32_e32 v3, v3
	v_mul_f32_e32 v3, 0x4f7ffffe, v3
	v_cvt_u32_f32_e32 v3, v3
	v_mul_lo_u32 v5, s27, v3
	v_mul_hi_u32 v5, v3, v5
	v_add_u32_e32 v3, v3, v5
	v_mul_hi_u32 v3, v20, v3
	v_mul_lo_u32 v5, v3, s16
	v_sub_u32_e32 v5, v20, v5
	v_add_u32_e32 v7, 1, v3
	v_subrev_u32_e32 v9, s16, v5
	v_cmp_le_u32_e32 vcc, s16, v5
	v_cndmask_b32_e32 v5, v5, v9, vcc
	v_cndmask_b32_e32 v3, v3, v7, vcc
	v_add_u32_e32 v7, 1, v3
	v_cmp_le_u32_e32 vcc, s16, v5
	v_cndmask_b32_e32 v22, v3, v7, vcc
.LBB44_51:                              ;   in Loop: Header=BB44_23 Depth=2
	s_or_b64 exec, exec, s[0:1]
	s_add_u32 s0, s43, s28
	s_mov_b32 s27, s17
	s_addc_u32 s1, s44, s29
	s_lshl_b64 s[28:29], s[26:27], 2
	s_add_u32 s30, s39, s28
	s_addc_u32 s31, s40, s29
	s_load_dword s27, s[30:31], 0x0
	s_load_dword s62, s[0:1], 0x0
                                        ; implicit-def: $vgpr24_vgpr25
	s_waitcnt lgkmcnt(0)
	s_ashr_i32 s0, s27, 31
	v_or_b32_e32 v3, s0, v23
	v_cmp_ne_u64_e32 vcc, 0, v[2:3]
	s_and_saveexec_b64 s[30:31], vcc
	s_xor_b64 s[30:31], exec, s[30:31]
	s_cbranch_execz .LBB44_53
; %bb.52:                               ;   in Loop: Header=BB44_23 Depth=2
	s_add_u32 s36, s27, s0
	s_mov_b32 s34, s0
	s_mov_b32 s35, s0
	s_addc_u32 s37, s0, s0
	s_xor_b64 s[36:37], s[36:37], s[34:35]
	v_cvt_f32_u32_e32 v3, s36
	v_cvt_f32_u32_e32 v5, s37
	s_sub_u32 s0, 0, s36
	s_subb_u32 s1, 0, s37
	v_mac_f32_e32 v3, 0x4f800000, v5
	v_rcp_f32_e32 v3, v3
	v_mul_f32_e32 v3, 0x5f7ffffc, v3
	v_mul_f32_e32 v5, 0x2f800000, v3
	v_trunc_f32_e32 v5, v5
	v_mac_f32_e32 v3, 0xcf800000, v5
	v_cvt_u32_f32_e32 v5, v5
	v_cvt_u32_f32_e32 v3, v3
	v_mul_lo_u32 v7, s0, v5
	v_mul_hi_u32 v11, s0, v3
	v_mul_lo_u32 v9, s1, v3
	v_add_u32_e32 v7, v11, v7
	v_mul_lo_u32 v13, s0, v3
	v_add_u32_e32 v7, v7, v9
	v_mul_lo_u32 v11, v3, v7
	v_mul_hi_u32 v15, v3, v13
	v_mul_hi_u32 v9, v3, v7
	v_add_co_u32_e32 v11, vcc, v15, v11
	v_addc_co_u32_e32 v9, vcc, 0, v9, vcc
	v_mul_hi_u32 v17, v5, v13
	v_mul_lo_u32 v13, v5, v13
	v_add_co_u32_e32 v11, vcc, v11, v13
	v_mul_hi_u32 v15, v5, v7
	v_addc_co_u32_e32 v9, vcc, v9, v17, vcc
	v_addc_co_u32_e32 v11, vcc, 0, v15, vcc
	v_mul_lo_u32 v7, v5, v7
	v_add_co_u32_e32 v7, vcc, v9, v7
	v_addc_co_u32_e32 v9, vcc, 0, v11, vcc
	v_add_co_u32_e32 v3, vcc, v3, v7
	v_addc_co_u32_e32 v5, vcc, v5, v9, vcc
	v_mul_lo_u32 v7, s0, v5
	v_mul_hi_u32 v9, s0, v3
	v_add_u32_e32 v7, v9, v7
	v_mul_lo_u32 v9, s1, v3
	v_add_u32_e32 v7, v7, v9
	v_mul_lo_u32 v11, s0, v3
	v_mul_hi_u32 v13, v5, v11
	v_mul_lo_u32 v15, v5, v11
	v_mul_lo_u32 v19, v3, v7
	v_mul_hi_u32 v11, v3, v11
	v_mul_hi_u32 v17, v3, v7
	v_add_co_u32_e32 v11, vcc, v11, v19
	v_addc_co_u32_e32 v17, vcc, 0, v17, vcc
	v_add_co_u32_e32 v11, vcc, v11, v15
	v_mul_hi_u32 v9, v5, v7
	v_addc_co_u32_e32 v11, vcc, v17, v13, vcc
	v_addc_co_u32_e32 v9, vcc, 0, v9, vcc
	v_mul_lo_u32 v7, v5, v7
	v_add_co_u32_e32 v7, vcc, v11, v7
	v_addc_co_u32_e32 v9, vcc, 0, v9, vcc
	v_add_co_u32_e32 v3, vcc, v3, v7
	v_addc_co_u32_e32 v5, vcc, v5, v9, vcc
	v_ashrrev_i32_e32 v7, 31, v23
	v_add_co_u32_e32 v9, vcc, v22, v7
	v_xor_b32_e32 v9, v9, v7
	v_addc_co_u32_e32 v11, vcc, v23, v7, vcc
	v_mad_u64_u32 v[24:25], s[0:1], v9, v5, 0
	v_mul_hi_u32 v13, v9, v3
	v_xor_b32_e32 v11, v11, v7
	v_add_co_u32_e32 v13, vcc, v13, v24
	v_addc_co_u32_e32 v15, vcc, 0, v25, vcc
	v_mad_u64_u32 v[30:31], s[0:1], v11, v3, 0
	v_add_co_u32_e32 v3, vcc, v13, v30
	v_mad_u64_u32 v[24:25], s[0:1], v11, v5, 0
	v_addc_co_u32_e32 v3, vcc, v15, v31, vcc
	v_addc_co_u32_e32 v5, vcc, 0, v25, vcc
	v_add_co_u32_e32 v3, vcc, v3, v24
	v_addc_co_u32_e32 v5, vcc, 0, v5, vcc
	v_mul_lo_u32 v13, s37, v3
	v_mul_lo_u32 v15, s36, v5
	v_mad_u64_u32 v[24:25], s[0:1], s36, v3, 0
	v_add3_u32 v13, v25, v15, v13
	v_sub_u32_e32 v15, v11, v13
	v_mov_b32_e32 v17, s37
	v_sub_co_u32_e32 v9, vcc, v9, v24
	v_subb_co_u32_e64 v15, s[0:1], v15, v17, vcc
	v_subrev_co_u32_e64 v17, s[0:1], s36, v9
	v_subbrev_co_u32_e64 v15, s[0:1], 0, v15, s[0:1]
	v_cmp_le_u32_e64 s[0:1], s37, v15
	v_cndmask_b32_e64 v19, 0, -1, s[0:1]
	v_cmp_le_u32_e64 s[0:1], s36, v17
	v_cndmask_b32_e64 v17, 0, -1, s[0:1]
	v_cmp_eq_u32_e64 s[0:1], s37, v15
	v_cndmask_b32_e64 v15, v19, v17, s[0:1]
	v_add_co_u32_e64 v17, s[0:1], 2, v3
	v_subb_co_u32_e32 v11, vcc, v11, v13, vcc
	v_addc_co_u32_e64 v19, s[0:1], 0, v5, s[0:1]
	v_cmp_le_u32_e32 vcc, s37, v11
	v_add_co_u32_e64 v21, s[0:1], 1, v3
	v_cndmask_b32_e64 v13, 0, -1, vcc
	v_cmp_le_u32_e32 vcc, s36, v9
	v_addc_co_u32_e64 v23, s[0:1], 0, v5, s[0:1]
	v_cndmask_b32_e64 v9, 0, -1, vcc
	v_cmp_eq_u32_e32 vcc, s37, v11
	v_cmp_ne_u32_e64 s[0:1], 0, v15
	v_cndmask_b32_e32 v9, v13, v9, vcc
	v_cmp_ne_u32_e32 vcc, 0, v9
	v_cndmask_b32_e64 v9, v21, v17, s[0:1]
	v_cndmask_b32_e64 v15, v23, v19, s[0:1]
	v_cndmask_b32_e32 v3, v3, v9, vcc
	v_xor_b32_e32 v9, s35, v7
	v_xor_b32_e32 v7, s34, v7
	v_cndmask_b32_e32 v5, v5, v15, vcc
	v_xor_b32_e32 v3, v3, v7
	v_xor_b32_e32 v5, v5, v9
	v_sub_co_u32_e32 v24, vcc, v3, v7
	v_subb_co_u32_e32 v25, vcc, v5, v9, vcc
.LBB44_53:                              ;   in Loop: Header=BB44_23 Depth=2
	s_andn2_saveexec_b64 s[0:1], s[30:31]
	s_cbranch_execz .LBB44_55
; %bb.54:                               ;   in Loop: Header=BB44_23 Depth=2
	v_cvt_f32_u32_e32 v3, s27
	s_sub_i32 s30, 0, s27
	v_mov_b32_e32 v25, v2
	v_rcp_iflag_f32_e32 v3, v3
	v_mul_f32_e32 v3, 0x4f7ffffe, v3
	v_cvt_u32_f32_e32 v3, v3
	v_mul_lo_u32 v5, s30, v3
	v_mul_hi_u32 v5, v3, v5
	v_add_u32_e32 v3, v3, v5
	v_mul_hi_u32 v3, v22, v3
	v_mul_lo_u32 v5, v3, s27
	v_sub_u32_e32 v5, v22, v5
	v_add_u32_e32 v7, 1, v3
	v_subrev_u32_e32 v9, s27, v5
	v_cmp_le_u32_e32 vcc, s27, v5
	v_cndmask_b32_e32 v5, v5, v9, vcc
	v_cndmask_b32_e32 v3, v3, v7, vcc
	v_add_u32_e32 v7, 1, v3
	v_cmp_le_u32_e32 vcc, s27, v5
	v_cndmask_b32_e32 v24, v3, v7, vcc
.LBB44_55:                              ;   in Loop: Header=BB44_23 Depth=2
	s_or_b64 exec, exec, s[0:1]
	v_mul_lo_u32 v3, v10, s50
	v_mul_lo_u32 v5, v12, s51
	v_sub_u32_e32 v3, v8, v3
	v_sub_u32_e32 v5, v10, v5
	v_mul_lo_u32 v3, s52, v3
	v_mul_lo_u32 v5, s54, v5
	v_add3_u32 v3, v3, v4, v5
	v_mul_lo_u32 v4, v14, s53
	v_mul_lo_u32 v5, v16, s55
	v_sub_u32_e32 v4, v12, v4
	v_sub_u32_e32 v5, v14, v5
	s_add_u32 s0, s43, s28
	v_mul_lo_u32 v4, s56, v4
	v_mul_lo_u32 v5, s58, v5
	s_addc_u32 s1, s44, s29
	v_add3_u32 v3, v4, v3, v5
	v_mul_lo_u32 v4, v18, s57
	v_mul_lo_u32 v5, v20, s59
	s_load_dword s0, s[0:1], 0x0
	v_sub_u32_e32 v4, v16, v4
	v_sub_u32_e32 v5, v18, v5
	v_mul_lo_u32 v4, s60, v4
	v_mul_lo_u32 v5, s61, v5
	v_add3_u32 v3, v4, v3, v5
	v_mul_lo_u32 v4, v22, s16
	v_mul_lo_u32 v5, v24, s27
	v_sub_u32_e32 v4, v20, v4
	v_sub_u32_e32 v5, v22, v5
	v_mul_lo_u32 v4, s62, v4
	s_waitcnt lgkmcnt(0)
	v_mul_lo_u32 v5, s0, v5
	s_add_i32 s26, s26, -8
	s_cmp_eq_u32 s26, -8
	v_add3_u32 v4, v4, v3, v5
	s_cbranch_scc1 .LBB44_57
; %bb.56:                               ;   in Loop: Header=BB44_23 Depth=2
	v_pk_mov_b32 v[8:9], v[24:25], v[24:25] op_sel:[0,1]
	s_branch .LBB44_23
.LBB44_57:                              ;   in Loop: Header=BB44_3 Depth=1
	s_load_dword s16, s[14:15], 0x0
	s_waitcnt lgkmcnt(0)
	v_cmp_gt_i32_e32 vcc, s16, v28
	s_and_b64 exec, exec, vcc
	s_cbranch_execz .LBB44_2
; %bb.58:                               ;   in Loop: Header=BB44_3 Depth=1
	v_ashrrev_i32_e32 v7, 31, v6
	v_cmp_lt_i64_e32 vcc, s[8:9], v[6:7]
	s_and_saveexec_b64 s[0:1], vcc
	s_cbranch_execz .LBB44_60
; %bb.59:                               ;   in Loop: Header=BB44_3 Depth=1
	v_ashrrev_i32_e32 v5, 31, v4
	v_lshlrev_b64 v[6:7], 1, v[4:5]
	v_mov_b32_e32 v3, s3
	v_add_co_u32_e32 v6, vcc, s2, v6
	v_addc_co_u32_e32 v7, vcc, v3, v7, vcc
	global_store_short v[6:7], v2, off
.LBB44_60:                              ;   in Loop: Header=BB44_3 Depth=1
	s_or_b64 exec, exec, s[0:1]
	v_add_u32_e32 v3, 1, v28
	v_cmp_gt_i32_e32 vcc, s16, v3
	s_and_b64 exec, exec, vcc
	s_cbranch_execz .LBB44_2
; %bb.61:                               ;   in Loop: Header=BB44_3 Depth=1
	v_sub_u32_e32 v6, v3, v27
	v_ashrrev_i32_e32 v7, 31, v6
	v_cmp_lt_i64_e32 vcc, s[8:9], v[6:7]
	s_and_saveexec_b64 s[0:1], vcc
	s_cbranch_execz .LBB44_63
; %bb.62:                               ;   in Loop: Header=BB44_3 Depth=1
	v_add_u32_e32 v6, s49, v4
	v_ashrrev_i32_e32 v7, 31, v6
	v_lshlrev_b64 v[6:7], 1, v[6:7]
	v_mov_b32_e32 v3, s3
	v_add_co_u32_e32 v6, vcc, s2, v6
	v_addc_co_u32_e32 v7, vcc, v3, v7, vcc
	global_store_short v[6:7], v2, off
.LBB44_63:                              ;   in Loop: Header=BB44_3 Depth=1
	s_or_b64 exec, exec, s[0:1]
	v_add_u32_e32 v3, 2, v28
	v_cmp_gt_i32_e32 vcc, s16, v3
	s_and_b64 exec, exec, vcc
	s_cbranch_execz .LBB44_2
; %bb.64:                               ;   in Loop: Header=BB44_3 Depth=1
	v_sub_u32_e32 v6, v3, v27
	v_ashrrev_i32_e32 v7, 31, v6
	v_cmp_lt_i64_e32 vcc, s[8:9], v[6:7]
	s_and_saveexec_b64 s[0:1], vcc
	s_cbranch_execz .LBB44_66
; %bb.65:                               ;   in Loop: Header=BB44_3 Depth=1
	v_lshl_add_u32 v6, s49, 1, v4
	v_ashrrev_i32_e32 v7, 31, v6
	v_lshlrev_b64 v[6:7], 1, v[6:7]
	v_mov_b32_e32 v3, s3
	v_add_co_u32_e32 v6, vcc, s2, v6
	v_addc_co_u32_e32 v7, vcc, v3, v7, vcc
	global_store_short v[6:7], v2, off
.LBB44_66:                              ;   in Loop: Header=BB44_3 Depth=1
	s_or_b64 exec, exec, s[0:1]
	v_add_u32_e32 v3, 3, v28
	v_cmp_gt_i32_e32 vcc, s16, v3
	s_and_b64 exec, exec, vcc
	s_cbranch_execz .LBB44_2
; %bb.67:                               ;   in Loop: Header=BB44_3 Depth=1
	v_sub_u32_e32 v6, v3, v27
	v_ashrrev_i32_e32 v7, 31, v6
	v_cmp_lt_i64_e32 vcc, s[8:9], v[6:7]
	s_and_b64 exec, exec, vcc
	s_cbranch_execz .LBB44_2
; %bb.68:                               ;   in Loop: Header=BB44_3 Depth=1
	v_mad_u64_u32 v[4:5], s[0:1], s49, 3, v[4:5]
	v_ashrrev_i32_e32 v5, 31, v4
	v_lshlrev_b64 v[4:5], 1, v[4:5]
	v_mov_b32_e32 v3, s3
	v_add_co_u32_e32 v4, vcc, s2, v4
	v_addc_co_u32_e32 v5, vcc, v3, v5, vcc
	global_store_short v[4:5], v2, off
	s_branch .LBB44_2
.LBB44_69:
	s_endpgm
	.section	.rodata,"a",@progbits
	.p2align	6, 0x0
	.amdhsa_kernel _ZN2at6native16triu_tril_kernelIN3c108BFloat16EiLb0ELi4ELb1EEEvNS_4cuda6detail10TensorInfoIT_T0_EENS6_IKS7_S8_EEllS8_
		.amdhsa_group_segment_fixed_size 0
		.amdhsa_private_segment_fixed_size 0
		.amdhsa_kernarg_size 712
		.amdhsa_user_sgpr_count 6
		.amdhsa_user_sgpr_private_segment_buffer 1
		.amdhsa_user_sgpr_dispatch_ptr 0
		.amdhsa_user_sgpr_queue_ptr 0
		.amdhsa_user_sgpr_kernarg_segment_ptr 1
		.amdhsa_user_sgpr_dispatch_id 0
		.amdhsa_user_sgpr_flat_scratch_init 0
		.amdhsa_user_sgpr_kernarg_preload_length 0
		.amdhsa_user_sgpr_kernarg_preload_offset 0
		.amdhsa_user_sgpr_private_segment_size 0
		.amdhsa_uses_dynamic_stack 0
		.amdhsa_system_sgpr_private_segment_wavefront_offset 0
		.amdhsa_system_sgpr_workgroup_id_x 1
		.amdhsa_system_sgpr_workgroup_id_y 0
		.amdhsa_system_sgpr_workgroup_id_z 0
		.amdhsa_system_sgpr_workgroup_info 0
		.amdhsa_system_vgpr_workitem_id 0
		.amdhsa_next_free_vgpr 32
		.amdhsa_next_free_sgpr 63
		.amdhsa_accum_offset 32
		.amdhsa_reserve_vcc 1
		.amdhsa_reserve_flat_scratch 0
		.amdhsa_float_round_mode_32 0
		.amdhsa_float_round_mode_16_64 0
		.amdhsa_float_denorm_mode_32 3
		.amdhsa_float_denorm_mode_16_64 3
		.amdhsa_dx10_clamp 1
		.amdhsa_ieee_mode 1
		.amdhsa_fp16_overflow 0
		.amdhsa_tg_split 0
		.amdhsa_exception_fp_ieee_invalid_op 0
		.amdhsa_exception_fp_denorm_src 0
		.amdhsa_exception_fp_ieee_div_zero 0
		.amdhsa_exception_fp_ieee_overflow 0
		.amdhsa_exception_fp_ieee_underflow 0
		.amdhsa_exception_fp_ieee_inexact 0
		.amdhsa_exception_int_div_zero 0
	.end_amdhsa_kernel
	.section	.text._ZN2at6native16triu_tril_kernelIN3c108BFloat16EiLb0ELi4ELb1EEEvNS_4cuda6detail10TensorInfoIT_T0_EENS6_IKS7_S8_EEllS8_,"axG",@progbits,_ZN2at6native16triu_tril_kernelIN3c108BFloat16EiLb0ELi4ELb1EEEvNS_4cuda6detail10TensorInfoIT_T0_EENS6_IKS7_S8_EEllS8_,comdat
.Lfunc_end44:
	.size	_ZN2at6native16triu_tril_kernelIN3c108BFloat16EiLb0ELi4ELb1EEEvNS_4cuda6detail10TensorInfoIT_T0_EENS6_IKS7_S8_EEllS8_, .Lfunc_end44-_ZN2at6native16triu_tril_kernelIN3c108BFloat16EiLb0ELi4ELb1EEEvNS_4cuda6detail10TensorInfoIT_T0_EENS6_IKS7_S8_EEllS8_
                                        ; -- End function
	.section	.AMDGPU.csdata,"",@progbits
; Kernel info:
; codeLenInByte = 10296
; NumSgprs: 67
; NumVgprs: 32
; NumAgprs: 0
; TotalNumVgprs: 32
; ScratchSize: 0
; MemoryBound: 0
; FloatMode: 240
; IeeeMode: 1
; LDSByteSize: 0 bytes/workgroup (compile time only)
; SGPRBlocks: 8
; VGPRBlocks: 3
; NumSGPRsForWavesPerEU: 67
; NumVGPRsForWavesPerEU: 32
; AccumOffset: 32
; Occupancy: 8
; WaveLimiterHint : 0
; COMPUTE_PGM_RSRC2:SCRATCH_EN: 0
; COMPUTE_PGM_RSRC2:USER_SGPR: 6
; COMPUTE_PGM_RSRC2:TRAP_HANDLER: 0
; COMPUTE_PGM_RSRC2:TGID_X_EN: 1
; COMPUTE_PGM_RSRC2:TGID_Y_EN: 0
; COMPUTE_PGM_RSRC2:TGID_Z_EN: 0
; COMPUTE_PGM_RSRC2:TIDIG_COMP_CNT: 0
; COMPUTE_PGM_RSRC3_GFX90A:ACCUM_OFFSET: 7
; COMPUTE_PGM_RSRC3_GFX90A:TG_SPLIT: 0
	.section	.text._ZN2at6native16triu_tril_kernelIN3c108BFloat16EiLb0ELi4ELb0EEEvNS_4cuda6detail10TensorInfoIT_T0_EENS6_IKS7_S8_EEllS8_,"axG",@progbits,_ZN2at6native16triu_tril_kernelIN3c108BFloat16EiLb0ELi4ELb0EEEvNS_4cuda6detail10TensorInfoIT_T0_EENS6_IKS7_S8_EEllS8_,comdat
	.protected	_ZN2at6native16triu_tril_kernelIN3c108BFloat16EiLb0ELi4ELb0EEEvNS_4cuda6detail10TensorInfoIT_T0_EENS6_IKS7_S8_EEllS8_ ; -- Begin function _ZN2at6native16triu_tril_kernelIN3c108BFloat16EiLb0ELi4ELb0EEEvNS_4cuda6detail10TensorInfoIT_T0_EENS6_IKS7_S8_EEllS8_
	.globl	_ZN2at6native16triu_tril_kernelIN3c108BFloat16EiLb0ELi4ELb0EEEvNS_4cuda6detail10TensorInfoIT_T0_EENS6_IKS7_S8_EEllS8_
	.p2align	8
	.type	_ZN2at6native16triu_tril_kernelIN3c108BFloat16EiLb0ELi4ELb0EEEvNS_4cuda6detail10TensorInfoIT_T0_EENS6_IKS7_S8_EEllS8_,@function
_ZN2at6native16triu_tril_kernelIN3c108BFloat16EiLb0ELi4ELb0EEEvNS_4cuda6detail10TensorInfoIT_T0_EENS6_IKS7_S8_EEllS8_: ; @_ZN2at6native16triu_tril_kernelIN3c108BFloat16EiLb0ELi4ELb0EEEvNS_4cuda6detail10TensorInfoIT_T0_EENS6_IKS7_S8_EEllS8_
; %bb.0:
	s_load_dword s2, s[4:5], 0x1d4
	s_load_dwordx4 s[8:11], s[4:5], 0x1b0
	s_add_u32 s0, s4, 0x1c8
	v_mov_b32_e32 v2, 0
	s_addc_u32 s1, s5, 0
	s_waitcnt lgkmcnt(0)
	s_and_b32 s2, s2, 0xffff
	v_mov_b32_e32 v1, v2
	v_mov_b32_e32 v3, s6
	v_mad_u64_u32 v[0:1], s[6:7], s2, v3, v[0:1]
	v_lshlrev_b64 v[0:1], 2, v[0:1]
	v_cmp_gt_i64_e32 vcc, s[10:11], v[0:1]
	s_and_saveexec_b64 s[6:7], vcc
	s_cbranch_execz .LBB45_58
; %bb.1:
	s_load_dword s20, s[4:5], 0x1a8
	s_add_u32 s33, s4, 0xd8
	s_addc_u32 s42, s5, 0
	s_load_dword s3, s[0:1], 0x0
	s_load_dwordx2 s[6:7], s[4:5], 0xd8
	s_mov_b64 s[30:31], 0
	s_waitcnt lgkmcnt(0)
	s_ashr_i32 s21, s20, 31
	s_lshl_b64 s[0:1], s[20:21], 2
	s_add_u32 s18, s0, -8
	s_addc_u32 s19, s1, -1
	s_add_u32 s0, s33, s18
	s_addc_u32 s1, s42, s19
	s_load_dwordx2 s[12:13], s[0:1], 0x8
	s_load_dword s43, s[4:5], 0x1c0
	s_load_dwordx2 s[16:17], s[0:1], 0x6c
	s_mul_i32 s3, s3, s2
	v_cmp_gt_i64_e64 s[14:15], s[20:21], 2
	s_waitcnt lgkmcnt(0)
	s_ashr_i32 s44, s12, 31
	v_cvt_f32_u32_e32 v3, s43
	s_ashr_i32 s45, s43, 31
	s_add_u32 s46, s4, 0x6c
	s_addc_u32 s47, s5, 0
	v_rcp_iflag_f32_e32 v3, v3
	s_add_u32 s0, s46, s18
	s_addc_u32 s1, s47, s19
	s_load_dwordx2 s[18:19], s[0:1], 0x0
	v_mul_f32_e32 v3, 0x4f7ffffe, v3
	s_load_dwordx2 s[4:5], s[4:5], 0x0
	s_add_i32 s48, s20, -3
	s_lshl_b32 s49, s3, 2
	s_and_b32 s51, s20, 3
	v_cvt_u32_f32_e32 v22, v3
	s_cmp_lg_u32 s51, 2
	s_mov_b32 s21, 0
	s_cselect_b64 s[22:23], -1, 0
	s_cmp_gt_u32 s48, 2
	s_mov_b32 s50, s21
	s_cselect_b64 s[24:25], -1, 0
	s_ashr_i32 s27, s17, 31
	s_mov_b32 s26, s17
	s_waitcnt lgkmcnt(0)
	s_ashr_i32 s29, s19, 31
	s_mov_b32 s28, s19
	s_branch .LBB45_3
.LBB45_2:                               ;   in Loop: Header=BB45_3 Depth=1
	s_or_b64 exec, exec, s[0:1]
	v_mov_b32_e32 v3, s50
	v_add_co_u32_e32 v0, vcc, s49, v0
	v_addc_co_u32_e32 v1, vcc, v1, v3, vcc
	v_cmp_le_i64_e32 vcc, s[10:11], v[0:1]
	s_or_b64 s[30:31], vcc, s[30:31]
	s_andn2_b64 exec, exec, s[30:31]
	s_cbranch_execz .LBB45_58
.LBB45_3:                               ; =>This Loop Header: Depth=1
                                        ;     Child Loop BB45_37 Depth 2
                                        ;     Child Loop BB45_18 Depth 2
	v_or_b32_e32 v3, s45, v1
	v_cmp_ne_u64_e32 vcc, 0, v[2:3]
                                        ; implicit-def: $vgpr4_vgpr5
                                        ; implicit-def: $vgpr14_vgpr15
	s_and_saveexec_b64 s[0:1], vcc
	s_xor_b64 s[34:35], exec, s[0:1]
	s_cbranch_execz .LBB45_5
; %bb.4:                                ;   in Loop: Header=BB45_3 Depth=1
	s_add_u32 s0, s43, s45
	s_mov_b32 s2, s45
	s_mov_b32 s3, s45
	s_addc_u32 s1, s45, s45
	s_xor_b64 s[36:37], s[0:1], s[2:3]
	v_cvt_f32_u32_e32 v3, s36
	v_cvt_f32_u32_e32 v4, s37
	s_sub_u32 s0, 0, s36
	s_subb_u32 s1, 0, s37
	v_mac_f32_e32 v3, 0x4f800000, v4
	v_rcp_f32_e32 v3, v3
	v_mul_f32_e32 v3, 0x5f7ffffc, v3
	v_mul_f32_e32 v4, 0x2f800000, v3
	v_trunc_f32_e32 v4, v4
	v_mac_f32_e32 v3, 0xcf800000, v4
	v_cvt_u32_f32_e32 v4, v4
	v_cvt_u32_f32_e32 v3, v3
	v_mul_lo_u32 v5, s0, v4
	v_mul_hi_u32 v7, s0, v3
	v_mul_lo_u32 v6, s1, v3
	v_add_u32_e32 v5, v7, v5
	v_mul_lo_u32 v8, s0, v3
	v_add_u32_e32 v5, v5, v6
	v_mul_lo_u32 v7, v3, v5
	v_mul_hi_u32 v9, v3, v8
	v_mul_hi_u32 v6, v3, v5
	v_add_co_u32_e32 v7, vcc, v9, v7
	v_addc_co_u32_e32 v6, vcc, 0, v6, vcc
	v_mul_hi_u32 v10, v4, v8
	v_mul_lo_u32 v8, v4, v8
	v_add_co_u32_e32 v7, vcc, v7, v8
	v_mul_hi_u32 v9, v4, v5
	v_addc_co_u32_e32 v6, vcc, v6, v10, vcc
	v_addc_co_u32_e32 v7, vcc, 0, v9, vcc
	v_mul_lo_u32 v5, v4, v5
	v_add_co_u32_e32 v5, vcc, v6, v5
	v_addc_co_u32_e32 v6, vcc, 0, v7, vcc
	v_add_co_u32_e32 v3, vcc, v3, v5
	v_addc_co_u32_e32 v4, vcc, v4, v6, vcc
	v_mul_lo_u32 v5, s0, v4
	v_mul_hi_u32 v6, s0, v3
	v_add_u32_e32 v5, v6, v5
	v_mul_lo_u32 v6, s1, v3
	v_add_u32_e32 v5, v5, v6
	v_mul_lo_u32 v7, s0, v3
	v_mul_hi_u32 v8, v4, v7
	v_mul_lo_u32 v9, v4, v7
	v_mul_lo_u32 v11, v3, v5
	v_mul_hi_u32 v7, v3, v7
	v_mul_hi_u32 v10, v3, v5
	v_add_co_u32_e32 v7, vcc, v7, v11
	v_addc_co_u32_e32 v10, vcc, 0, v10, vcc
	v_add_co_u32_e32 v7, vcc, v7, v9
	v_mul_hi_u32 v6, v4, v5
	v_addc_co_u32_e32 v7, vcc, v10, v8, vcc
	v_addc_co_u32_e32 v6, vcc, 0, v6, vcc
	v_mul_lo_u32 v5, v4, v5
	v_add_co_u32_e32 v5, vcc, v7, v5
	v_addc_co_u32_e32 v6, vcc, 0, v6, vcc
	v_add_co_u32_e32 v3, vcc, v3, v5
	v_addc_co_u32_e32 v6, vcc, v4, v6, vcc
	v_ashrrev_i32_e32 v8, 31, v1
	v_add_co_u32_e32 v4, vcc, v0, v8
	v_addc_co_u32_e32 v5, vcc, v1, v8, vcc
	v_xor_b32_e32 v10, v4, v8
	v_xor_b32_e32 v9, v5, v8
	v_mad_u64_u32 v[4:5], s[0:1], v10, v6, 0
	v_mul_hi_u32 v7, v10, v3
	v_add_co_u32_e32 v11, vcc, v7, v4
	v_addc_co_u32_e32 v12, vcc, 0, v5, vcc
	v_mad_u64_u32 v[4:5], s[0:1], v9, v6, 0
	v_mad_u64_u32 v[6:7], s[0:1], v9, v3, 0
	v_add_co_u32_e32 v3, vcc, v11, v6
	v_addc_co_u32_e32 v3, vcc, v12, v7, vcc
	v_addc_co_u32_e32 v5, vcc, 0, v5, vcc
	v_add_co_u32_e32 v3, vcc, v3, v4
	v_addc_co_u32_e32 v6, vcc, 0, v5, vcc
	v_mul_lo_u32 v7, s37, v3
	v_mul_lo_u32 v11, s36, v6
	v_mad_u64_u32 v[4:5], s[0:1], s36, v3, 0
	v_add3_u32 v5, v5, v11, v7
	v_sub_u32_e32 v7, v9, v5
	v_mov_b32_e32 v11, s37
	v_sub_co_u32_e32 v4, vcc, v10, v4
	v_subb_co_u32_e64 v7, s[0:1], v7, v11, vcc
	v_subrev_co_u32_e64 v10, s[0:1], s36, v4
	v_subbrev_co_u32_e64 v7, s[0:1], 0, v7, s[0:1]
	v_cmp_le_u32_e64 s[0:1], s37, v7
	v_cndmask_b32_e64 v11, 0, -1, s[0:1]
	v_cmp_le_u32_e64 s[0:1], s36, v10
	v_cndmask_b32_e64 v12, 0, -1, s[0:1]
	v_cmp_eq_u32_e64 s[0:1], s37, v7
	v_cndmask_b32_e64 v7, v11, v12, s[0:1]
	v_add_co_u32_e64 v11, s[0:1], 2, v3
	v_addc_co_u32_e64 v12, s[0:1], 0, v6, s[0:1]
	v_add_co_u32_e64 v13, s[0:1], 1, v3
	v_subb_co_u32_e32 v5, vcc, v9, v5, vcc
	v_addc_co_u32_e64 v14, s[0:1], 0, v6, s[0:1]
	v_cmp_le_u32_e32 vcc, s37, v5
	v_cmp_ne_u32_e64 s[0:1], 0, v7
	v_cndmask_b32_e64 v9, 0, -1, vcc
	v_cmp_le_u32_e32 vcc, s36, v4
	v_cndmask_b32_e64 v7, v14, v12, s[0:1]
	v_cndmask_b32_e64 v12, 0, -1, vcc
	v_cmp_eq_u32_e32 vcc, s37, v5
	v_cndmask_b32_e32 v5, v9, v12, vcc
	v_cmp_ne_u32_e32 vcc, 0, v5
	v_cndmask_b32_e32 v5, v6, v7, vcc
	v_cndmask_b32_e64 v6, v13, v11, s[0:1]
	v_cndmask_b32_e32 v3, v3, v6, vcc
	v_xor_b32_e32 v7, s2, v8
	v_xor_b32_e32 v6, s3, v8
	;; [unrolled: 1-line block ×4, first 2 shown]
	v_sub_co_u32_e64 v14, s[2:3], v3, v7
	v_subb_co_u32_e64 v15, s[2:3], v5, v6, s[2:3]
	v_subrev_co_u32_e64 v3, s[2:3], s36, v10
	v_cndmask_b32_e64 v3, v10, v3, s[0:1]
	v_cndmask_b32_e32 v3, v4, v3, vcc
	v_xor_b32_e32 v3, v3, v8
	v_sub_co_u32_e32 v4, vcc, v3, v8
.LBB45_5:                               ;   in Loop: Header=BB45_3 Depth=1
	s_andn2_saveexec_b64 s[2:3], s[34:35]
	s_cbranch_execz .LBB45_7
; %bb.6:                                ;   in Loop: Header=BB45_3 Depth=1
	s_sub_i32 s0, 0, s43
	v_mul_lo_u32 v3, s0, v22
	v_mul_hi_u32 v3, v22, v3
	v_add_u32_e32 v3, v22, v3
	v_mul_hi_u32 v3, v0, v3
	v_mul_lo_u32 v4, v3, s43
	v_sub_u32_e32 v4, v0, v4
	v_subrev_u32_e32 v5, s43, v4
	v_cmp_le_u32_e32 vcc, s43, v4
	v_cndmask_b32_e32 v4, v4, v5, vcc
	v_subrev_u32_e32 v5, s43, v4
	v_cmp_le_u32_e64 s[0:1], s43, v4
	v_cndmask_b32_e64 v4, v4, v5, s[0:1]
	v_add_u32_e32 v5, 1, v3
	v_cndmask_b32_e32 v3, v3, v5, vcc
	v_add_u32_e32 v5, 1, v3
	v_cndmask_b32_e64 v14, v3, v5, s[0:1]
	v_mov_b32_e32 v15, v2
.LBB45_7:                               ;   in Loop: Header=BB45_3 Depth=1
	s_or_b64 exec, exec, s[2:3]
	v_or_b32_e32 v3, s44, v15
	v_cmp_ne_u64_e32 vcc, 0, v[2:3]
                                        ; implicit-def: $vgpr8_vgpr9
	s_and_saveexec_b64 s[0:1], vcc
	s_xor_b64 s[2:3], exec, s[0:1]
	s_cbranch_execz .LBB45_9
; %bb.8:                                ;   in Loop: Header=BB45_3 Depth=1
	s_add_u32 s34, s12, s44
	s_mov_b32 s0, s44
	s_mov_b32 s1, s44
	s_addc_u32 s35, s44, s44
	s_xor_b64 s[34:35], s[34:35], s[0:1]
	v_cvt_f32_u32_e32 v5, s34
	v_cvt_f32_u32_e32 v6, s35
	s_sub_u32 s0, 0, s34
	s_subb_u32 s1, 0, s35
	v_mac_f32_e32 v5, 0x4f800000, v6
	v_rcp_f32_e32 v5, v5
	v_mul_f32_e32 v5, 0x5f7ffffc, v5
	v_mul_f32_e32 v6, 0x2f800000, v5
	v_trunc_f32_e32 v6, v6
	v_mac_f32_e32 v5, 0xcf800000, v6
	v_cvt_u32_f32_e32 v6, v6
	v_cvt_u32_f32_e32 v5, v5
	v_mul_lo_u32 v7, s0, v6
	v_mul_hi_u32 v9, s0, v5
	v_mul_lo_u32 v8, s1, v5
	v_add_u32_e32 v7, v9, v7
	v_mul_lo_u32 v10, s0, v5
	v_add_u32_e32 v7, v7, v8
	v_mul_lo_u32 v9, v5, v7
	v_mul_hi_u32 v11, v5, v10
	v_mul_hi_u32 v8, v5, v7
	v_add_co_u32_e32 v9, vcc, v11, v9
	v_addc_co_u32_e32 v8, vcc, 0, v8, vcc
	v_mul_hi_u32 v12, v6, v10
	v_mul_lo_u32 v10, v6, v10
	v_add_co_u32_e32 v9, vcc, v9, v10
	v_mul_hi_u32 v11, v6, v7
	v_addc_co_u32_e32 v8, vcc, v8, v12, vcc
	v_addc_co_u32_e32 v9, vcc, 0, v11, vcc
	v_mul_lo_u32 v7, v6, v7
	v_add_co_u32_e32 v7, vcc, v8, v7
	v_addc_co_u32_e32 v8, vcc, 0, v9, vcc
	v_add_co_u32_e32 v5, vcc, v5, v7
	v_addc_co_u32_e32 v6, vcc, v6, v8, vcc
	v_mul_lo_u32 v7, s0, v6
	v_mul_hi_u32 v8, s0, v5
	v_add_u32_e32 v7, v8, v7
	v_mul_lo_u32 v8, s1, v5
	v_add_u32_e32 v7, v7, v8
	v_mul_lo_u32 v9, s0, v5
	v_mul_hi_u32 v10, v6, v9
	v_mul_lo_u32 v11, v6, v9
	v_mul_lo_u32 v13, v5, v7
	v_mul_hi_u32 v9, v5, v9
	v_mul_hi_u32 v12, v5, v7
	v_add_co_u32_e32 v9, vcc, v9, v13
	v_addc_co_u32_e32 v12, vcc, 0, v12, vcc
	v_add_co_u32_e32 v9, vcc, v9, v11
	v_mul_hi_u32 v8, v6, v7
	v_addc_co_u32_e32 v9, vcc, v12, v10, vcc
	v_addc_co_u32_e32 v8, vcc, 0, v8, vcc
	v_mul_lo_u32 v7, v6, v7
	v_add_co_u32_e32 v7, vcc, v9, v7
	v_addc_co_u32_e32 v8, vcc, 0, v8, vcc
	v_add_co_u32_e32 v5, vcc, v5, v7
	v_addc_co_u32_e32 v8, vcc, v6, v8, vcc
	v_ashrrev_i32_e32 v10, 31, v15
	v_add_co_u32_e32 v6, vcc, v14, v10
	v_addc_co_u32_e32 v7, vcc, v15, v10, vcc
	v_xor_b32_e32 v12, v6, v10
	v_xor_b32_e32 v11, v7, v10
	v_mad_u64_u32 v[6:7], s[0:1], v12, v8, 0
	v_mul_hi_u32 v9, v12, v5
	v_add_co_u32_e32 v13, vcc, v9, v6
	v_addc_co_u32_e32 v16, vcc, 0, v7, vcc
	v_mad_u64_u32 v[6:7], s[0:1], v11, v8, 0
	v_mad_u64_u32 v[8:9], s[0:1], v11, v5, 0
	v_add_co_u32_e32 v5, vcc, v13, v8
	v_addc_co_u32_e32 v5, vcc, v16, v9, vcc
	v_addc_co_u32_e32 v7, vcc, 0, v7, vcc
	v_add_co_u32_e32 v5, vcc, v5, v6
	v_addc_co_u32_e32 v6, vcc, 0, v7, vcc
	v_mul_lo_u32 v8, s35, v5
	v_mul_lo_u32 v9, s34, v6
	v_mad_u64_u32 v[6:7], s[0:1], s34, v5, 0
	v_add3_u32 v5, v7, v9, v8
	v_sub_u32_e32 v7, v11, v5
	v_mov_b32_e32 v8, s35
	v_sub_co_u32_e32 v6, vcc, v12, v6
	v_subb_co_u32_e64 v7, s[0:1], v7, v8, vcc
	v_subrev_co_u32_e64 v8, s[0:1], s34, v6
	v_subbrev_co_u32_e64 v7, s[0:1], 0, v7, s[0:1]
	v_cmp_le_u32_e64 s[0:1], s35, v7
	v_subb_co_u32_e32 v5, vcc, v11, v5, vcc
	v_cndmask_b32_e64 v9, 0, -1, s[0:1]
	v_cmp_le_u32_e64 s[0:1], s34, v8
	v_cmp_le_u32_e32 vcc, s35, v5
	v_cndmask_b32_e64 v12, 0, -1, s[0:1]
	v_cmp_eq_u32_e64 s[0:1], s35, v7
	v_cndmask_b32_e64 v11, 0, -1, vcc
	v_cmp_le_u32_e32 vcc, s34, v6
	v_cndmask_b32_e64 v7, v9, v12, s[0:1]
	v_cndmask_b32_e64 v12, 0, -1, vcc
	v_cmp_eq_u32_e32 vcc, s35, v5
	v_subrev_co_u32_e64 v9, s[0:1], s34, v8
	v_cndmask_b32_e32 v5, v11, v12, vcc
	v_cmp_ne_u32_e32 vcc, 0, v7
	v_cndmask_b32_e32 v7, v8, v9, vcc
	v_cmp_ne_u32_e32 vcc, 0, v5
	v_cndmask_b32_e32 v5, v6, v7, vcc
	v_xor_b32_e32 v5, v5, v10
	v_sub_co_u32_e32 v8, vcc, v5, v10
.LBB45_9:                               ;   in Loop: Header=BB45_3 Depth=1
	s_andn2_saveexec_b64 s[0:1], s[2:3]
	s_cbranch_execz .LBB45_11
; %bb.10:                               ;   in Loop: Header=BB45_3 Depth=1
	v_cvt_f32_u32_e32 v5, s12
	s_sub_i32 s2, 0, s12
	v_rcp_iflag_f32_e32 v5, v5
	v_mul_f32_e32 v5, 0x4f7ffffe, v5
	v_cvt_u32_f32_e32 v5, v5
	v_mul_lo_u32 v6, s2, v5
	v_mul_hi_u32 v6, v5, v6
	v_add_u32_e32 v5, v5, v6
	v_mul_hi_u32 v5, v14, v5
	v_mul_lo_u32 v5, v5, s12
	v_sub_u32_e32 v5, v14, v5
	v_subrev_u32_e32 v6, s12, v5
	v_cmp_le_u32_e32 vcc, s12, v5
	v_cndmask_b32_e32 v5, v5, v6, vcc
	v_subrev_u32_e32 v6, s12, v5
	v_cmp_le_u32_e32 vcc, s12, v5
	v_cndmask_b32_e32 v8, v5, v6, vcc
.LBB45_11:                              ;   in Loop: Header=BB45_3 Depth=1
	s_or_b64 exec, exec, s[0:1]
	v_mul_lo_u32 v6, s17, v4
	v_mad_u64_u32 v[10:11], s[0:1], s16, v8, v[6:7]
	v_mul_lo_u32 v6, s19, v4
	s_andn2_b64 vcc, exec, s[14:15]
	v_mad_u64_u32 v[6:7], s[0:1], s18, v8, v[6:7]
	s_cbranch_vccnz .LBB45_41
; %bb.12:                               ;   in Loop: Header=BB45_3 Depth=1
	v_cmp_ne_u64_e32 vcc, 0, v[2:3]
                                        ; implicit-def: $vgpr12_vgpr13
	s_and_saveexec_b64 s[0:1], vcc
	s_xor_b64 s[2:3], exec, s[0:1]
	s_cbranch_execz .LBB45_14
; %bb.13:                               ;   in Loop: Header=BB45_3 Depth=1
	s_add_u32 s0, s12, s44
	s_mov_b32 s34, s44
	s_mov_b32 s35, s44
	s_addc_u32 s1, s44, s44
	s_xor_b64 s[36:37], s[0:1], s[34:35]
	v_cvt_f32_u32_e32 v3, s36
	v_cvt_f32_u32_e32 v5, s37
	s_sub_u32 s0, 0, s36
	s_subb_u32 s1, 0, s37
	v_mac_f32_e32 v3, 0x4f800000, v5
	v_rcp_f32_e32 v3, v3
	v_mul_f32_e32 v3, 0x5f7ffffc, v3
	v_mul_f32_e32 v5, 0x2f800000, v3
	v_trunc_f32_e32 v5, v5
	v_mac_f32_e32 v3, 0xcf800000, v5
	v_cvt_u32_f32_e32 v5, v5
	v_cvt_u32_f32_e32 v3, v3
	v_mul_lo_u32 v7, s0, v5
	v_mul_hi_u32 v11, s0, v3
	v_mul_lo_u32 v9, s1, v3
	v_add_u32_e32 v7, v11, v7
	v_mul_lo_u32 v12, s0, v3
	v_add_u32_e32 v7, v7, v9
	v_mul_lo_u32 v11, v3, v7
	v_mul_hi_u32 v13, v3, v12
	v_mul_hi_u32 v9, v3, v7
	v_add_co_u32_e32 v11, vcc, v13, v11
	v_addc_co_u32_e32 v9, vcc, 0, v9, vcc
	v_mul_hi_u32 v16, v5, v12
	v_mul_lo_u32 v12, v5, v12
	v_add_co_u32_e32 v11, vcc, v11, v12
	v_mul_hi_u32 v13, v5, v7
	v_addc_co_u32_e32 v9, vcc, v9, v16, vcc
	v_addc_co_u32_e32 v11, vcc, 0, v13, vcc
	v_mul_lo_u32 v7, v5, v7
	v_add_co_u32_e32 v7, vcc, v9, v7
	v_addc_co_u32_e32 v9, vcc, 0, v11, vcc
	v_add_co_u32_e32 v3, vcc, v3, v7
	v_addc_co_u32_e32 v5, vcc, v5, v9, vcc
	v_mul_lo_u32 v7, s0, v5
	v_mul_hi_u32 v9, s0, v3
	v_add_u32_e32 v7, v9, v7
	v_mul_lo_u32 v9, s1, v3
	v_add_u32_e32 v7, v7, v9
	v_mul_lo_u32 v11, s0, v3
	v_mul_hi_u32 v12, v5, v11
	v_mul_lo_u32 v13, v5, v11
	v_mul_lo_u32 v17, v3, v7
	v_mul_hi_u32 v11, v3, v11
	v_mul_hi_u32 v16, v3, v7
	v_add_co_u32_e32 v11, vcc, v11, v17
	v_addc_co_u32_e32 v16, vcc, 0, v16, vcc
	v_add_co_u32_e32 v11, vcc, v11, v13
	v_mul_hi_u32 v9, v5, v7
	v_addc_co_u32_e32 v11, vcc, v16, v12, vcc
	v_addc_co_u32_e32 v9, vcc, 0, v9, vcc
	v_mul_lo_u32 v7, v5, v7
	v_add_co_u32_e32 v7, vcc, v11, v7
	v_addc_co_u32_e32 v9, vcc, 0, v9, vcc
	v_add_co_u32_e32 v3, vcc, v3, v7
	v_addc_co_u32_e32 v5, vcc, v5, v9, vcc
	v_ashrrev_i32_e32 v7, 31, v15
	v_add_co_u32_e32 v9, vcc, v14, v7
	v_xor_b32_e32 v9, v9, v7
	v_addc_co_u32_e32 v11, vcc, v15, v7, vcc
	v_mad_u64_u32 v[12:13], s[0:1], v9, v5, 0
	v_mul_hi_u32 v14, v9, v3
	v_xor_b32_e32 v11, v11, v7
	v_add_co_u32_e32 v16, vcc, v14, v12
	v_addc_co_u32_e32 v17, vcc, 0, v13, vcc
	v_mad_u64_u32 v[14:15], s[0:1], v11, v3, 0
	v_add_co_u32_e32 v3, vcc, v16, v14
	v_mad_u64_u32 v[12:13], s[0:1], v11, v5, 0
	v_addc_co_u32_e32 v3, vcc, v17, v15, vcc
	v_addc_co_u32_e32 v5, vcc, 0, v13, vcc
	v_add_co_u32_e32 v3, vcc, v3, v12
	v_addc_co_u32_e32 v5, vcc, 0, v5, vcc
	v_mul_lo_u32 v14, s37, v3
	v_mul_lo_u32 v15, s36, v5
	v_mad_u64_u32 v[12:13], s[0:1], s36, v3, 0
	v_add3_u32 v13, v13, v15, v14
	v_sub_u32_e32 v14, v11, v13
	v_mov_b32_e32 v15, s37
	v_sub_co_u32_e32 v9, vcc, v9, v12
	v_subb_co_u32_e64 v12, s[0:1], v14, v15, vcc
	v_subrev_co_u32_e64 v14, s[0:1], s36, v9
	v_subbrev_co_u32_e64 v12, s[0:1], 0, v12, s[0:1]
	v_cmp_le_u32_e64 s[0:1], s37, v12
	v_cndmask_b32_e64 v15, 0, -1, s[0:1]
	v_cmp_le_u32_e64 s[0:1], s36, v14
	v_cndmask_b32_e64 v14, 0, -1, s[0:1]
	v_cmp_eq_u32_e64 s[0:1], s37, v12
	v_cndmask_b32_e64 v12, v15, v14, s[0:1]
	v_add_co_u32_e64 v14, s[0:1], 2, v3
	v_subb_co_u32_e32 v11, vcc, v11, v13, vcc
	v_addc_co_u32_e64 v15, s[0:1], 0, v5, s[0:1]
	v_cmp_le_u32_e32 vcc, s37, v11
	v_add_co_u32_e64 v16, s[0:1], 1, v3
	v_cndmask_b32_e64 v13, 0, -1, vcc
	v_cmp_le_u32_e32 vcc, s36, v9
	v_addc_co_u32_e64 v17, s[0:1], 0, v5, s[0:1]
	v_cndmask_b32_e64 v9, 0, -1, vcc
	v_cmp_eq_u32_e32 vcc, s37, v11
	v_cmp_ne_u32_e64 s[0:1], 0, v12
	v_cndmask_b32_e32 v9, v13, v9, vcc
	v_cmp_ne_u32_e32 vcc, 0, v9
	v_cndmask_b32_e64 v9, v16, v14, s[0:1]
	v_cndmask_b32_e64 v12, v17, v15, s[0:1]
	v_cndmask_b32_e32 v3, v3, v9, vcc
	v_xor_b32_e32 v9, s35, v7
	v_xor_b32_e32 v7, s34, v7
	v_cndmask_b32_e32 v5, v5, v12, vcc
	v_xor_b32_e32 v3, v3, v7
	v_xor_b32_e32 v5, v5, v9
	v_sub_co_u32_e32 v12, vcc, v3, v7
	v_subb_co_u32_e32 v13, vcc, v5, v9, vcc
                                        ; implicit-def: $vgpr14_vgpr15
.LBB45_14:                              ;   in Loop: Header=BB45_3 Depth=1
	s_andn2_saveexec_b64 s[0:1], s[2:3]
	s_cbranch_execz .LBB45_16
; %bb.15:                               ;   in Loop: Header=BB45_3 Depth=1
	v_cvt_f32_u32_e32 v3, s12
	s_sub_i32 s2, 0, s12
	v_mov_b32_e32 v13, v2
	v_rcp_iflag_f32_e32 v3, v3
	v_mul_f32_e32 v3, 0x4f7ffffe, v3
	v_cvt_u32_f32_e32 v3, v3
	v_mul_lo_u32 v5, s2, v3
	v_mul_hi_u32 v5, v3, v5
	v_add_u32_e32 v3, v3, v5
	v_mul_hi_u32 v3, v14, v3
	v_mul_lo_u32 v5, v3, s12
	v_sub_u32_e32 v5, v14, v5
	v_add_u32_e32 v7, 1, v3
	v_subrev_u32_e32 v9, s12, v5
	v_cmp_le_u32_e32 vcc, s12, v5
	v_cndmask_b32_e32 v5, v5, v9, vcc
	v_cndmask_b32_e32 v3, v3, v7, vcc
	v_add_u32_e32 v7, 1, v3
	v_cmp_le_u32_e32 vcc, s12, v5
	v_cndmask_b32_e32 v12, v3, v7, vcc
.LBB45_16:                              ;   in Loop: Header=BB45_3 Depth=1
	s_or_b64 exec, exec, s[0:1]
	s_andn2_b64 vcc, exec, s[22:23]
	s_mov_b32 s52, 1
	s_mov_b32 s20, s48
	s_cbranch_vccz .LBB45_37
.LBB45_17:                              ;   in Loop: Header=BB45_3 Depth=1
	s_and_b64 vcc, exec, s[24:25]
	s_cbranch_vccz .LBB45_41
.LBB45_18:                              ;   Parent Loop BB45_3 Depth=1
                                        ; =>  This Inner Loop Header: Depth=2
	s_lshl_b64 s[2:3], s[20:21], 2
	s_add_u32 s34, s33, s2
	s_addc_u32 s35, s42, s3
	s_load_dword s52, s[34:35], 0x8
                                        ; implicit-def: $vgpr14_vgpr15
	s_waitcnt lgkmcnt(0)
	s_ashr_i32 s0, s52, 31
	v_or_b32_e32 v3, s0, v13
	v_cmp_ne_u64_e32 vcc, 0, v[2:3]
	s_and_saveexec_b64 s[36:37], vcc
	s_xor_b64 s[36:37], exec, s[36:37]
	s_cbranch_execz .LBB45_20
; %bb.19:                               ;   in Loop: Header=BB45_18 Depth=2
	s_add_u32 s40, s52, s0
	s_mov_b32 s38, s0
	s_mov_b32 s39, s0
	s_addc_u32 s41, s0, s0
	s_xor_b64 s[40:41], s[40:41], s[38:39]
	v_cvt_f32_u32_e32 v3, s40
	v_cvt_f32_u32_e32 v5, s41
	s_sub_u32 s0, 0, s40
	s_subb_u32 s1, 0, s41
	v_mac_f32_e32 v3, 0x4f800000, v5
	v_rcp_f32_e32 v3, v3
	v_mul_f32_e32 v3, 0x5f7ffffc, v3
	v_mul_f32_e32 v5, 0x2f800000, v3
	v_trunc_f32_e32 v5, v5
	v_mac_f32_e32 v3, 0xcf800000, v5
	v_cvt_u32_f32_e32 v5, v5
	v_cvt_u32_f32_e32 v3, v3
	v_mul_lo_u32 v7, s0, v5
	v_mul_hi_u32 v11, s0, v3
	v_mul_lo_u32 v9, s1, v3
	v_add_u32_e32 v7, v11, v7
	v_mul_lo_u32 v14, s0, v3
	v_add_u32_e32 v7, v7, v9
	v_mul_lo_u32 v11, v3, v7
	v_mul_hi_u32 v15, v3, v14
	v_mul_hi_u32 v9, v3, v7
	v_add_co_u32_e32 v11, vcc, v15, v11
	v_addc_co_u32_e32 v9, vcc, 0, v9, vcc
	v_mul_hi_u32 v16, v5, v14
	v_mul_lo_u32 v14, v5, v14
	v_add_co_u32_e32 v11, vcc, v11, v14
	v_mul_hi_u32 v15, v5, v7
	v_addc_co_u32_e32 v9, vcc, v9, v16, vcc
	v_addc_co_u32_e32 v11, vcc, 0, v15, vcc
	v_mul_lo_u32 v7, v5, v7
	v_add_co_u32_e32 v7, vcc, v9, v7
	v_addc_co_u32_e32 v9, vcc, 0, v11, vcc
	v_add_co_u32_e32 v3, vcc, v3, v7
	v_addc_co_u32_e32 v5, vcc, v5, v9, vcc
	v_mul_lo_u32 v7, s0, v5
	v_mul_hi_u32 v9, s0, v3
	v_add_u32_e32 v7, v9, v7
	v_mul_lo_u32 v9, s1, v3
	v_add_u32_e32 v7, v7, v9
	v_mul_lo_u32 v11, s0, v3
	v_mul_hi_u32 v14, v5, v11
	v_mul_lo_u32 v15, v5, v11
	v_mul_lo_u32 v17, v3, v7
	v_mul_hi_u32 v11, v3, v11
	v_mul_hi_u32 v16, v3, v7
	v_add_co_u32_e32 v11, vcc, v11, v17
	v_addc_co_u32_e32 v16, vcc, 0, v16, vcc
	v_add_co_u32_e32 v11, vcc, v11, v15
	v_mul_hi_u32 v9, v5, v7
	v_addc_co_u32_e32 v11, vcc, v16, v14, vcc
	v_addc_co_u32_e32 v9, vcc, 0, v9, vcc
	v_mul_lo_u32 v7, v5, v7
	v_add_co_u32_e32 v7, vcc, v11, v7
	v_addc_co_u32_e32 v9, vcc, 0, v9, vcc
	v_add_co_u32_e32 v3, vcc, v3, v7
	v_addc_co_u32_e32 v5, vcc, v5, v9, vcc
	v_ashrrev_i32_e32 v7, 31, v13
	v_add_co_u32_e32 v9, vcc, v12, v7
	v_xor_b32_e32 v9, v9, v7
	v_addc_co_u32_e32 v11, vcc, v13, v7, vcc
	v_mad_u64_u32 v[14:15], s[0:1], v9, v5, 0
	v_mul_hi_u32 v13, v9, v3
	v_xor_b32_e32 v11, v11, v7
	v_add_co_u32_e32 v13, vcc, v13, v14
	v_addc_co_u32_e32 v18, vcc, 0, v15, vcc
	v_mad_u64_u32 v[16:17], s[0:1], v11, v3, 0
	v_add_co_u32_e32 v3, vcc, v13, v16
	v_mad_u64_u32 v[14:15], s[0:1], v11, v5, 0
	v_addc_co_u32_e32 v3, vcc, v18, v17, vcc
	v_addc_co_u32_e32 v5, vcc, 0, v15, vcc
	v_add_co_u32_e32 v3, vcc, v3, v14
	v_addc_co_u32_e32 v5, vcc, 0, v5, vcc
	v_mul_lo_u32 v13, s41, v3
	v_mul_lo_u32 v16, s40, v5
	v_mad_u64_u32 v[14:15], s[0:1], s40, v3, 0
	v_add3_u32 v13, v15, v16, v13
	v_sub_u32_e32 v15, v11, v13
	v_mov_b32_e32 v16, s41
	v_sub_co_u32_e32 v9, vcc, v9, v14
	v_subb_co_u32_e64 v14, s[0:1], v15, v16, vcc
	v_subrev_co_u32_e64 v15, s[0:1], s40, v9
	v_subbrev_co_u32_e64 v14, s[0:1], 0, v14, s[0:1]
	v_cmp_le_u32_e64 s[0:1], s41, v14
	v_cndmask_b32_e64 v16, 0, -1, s[0:1]
	v_cmp_le_u32_e64 s[0:1], s40, v15
	v_cndmask_b32_e64 v15, 0, -1, s[0:1]
	v_cmp_eq_u32_e64 s[0:1], s41, v14
	v_cndmask_b32_e64 v14, v16, v15, s[0:1]
	v_add_co_u32_e64 v15, s[0:1], 2, v3
	v_subb_co_u32_e32 v11, vcc, v11, v13, vcc
	v_addc_co_u32_e64 v16, s[0:1], 0, v5, s[0:1]
	v_cmp_le_u32_e32 vcc, s41, v11
	v_add_co_u32_e64 v17, s[0:1], 1, v3
	v_cndmask_b32_e64 v13, 0, -1, vcc
	v_cmp_le_u32_e32 vcc, s40, v9
	v_addc_co_u32_e64 v18, s[0:1], 0, v5, s[0:1]
	v_cndmask_b32_e64 v9, 0, -1, vcc
	v_cmp_eq_u32_e32 vcc, s41, v11
	v_cmp_ne_u32_e64 s[0:1], 0, v14
	v_cndmask_b32_e32 v9, v13, v9, vcc
	v_cmp_ne_u32_e32 vcc, 0, v9
	v_cndmask_b32_e64 v9, v17, v15, s[0:1]
	v_cndmask_b32_e64 v14, v18, v16, s[0:1]
	v_cndmask_b32_e32 v3, v3, v9, vcc
	v_xor_b32_e32 v9, s39, v7
	v_xor_b32_e32 v7, s38, v7
	v_cndmask_b32_e32 v5, v5, v14, vcc
	v_xor_b32_e32 v3, v3, v7
	v_xor_b32_e32 v5, v5, v9
	v_sub_co_u32_e32 v14, vcc, v3, v7
	v_subb_co_u32_e32 v15, vcc, v5, v9, vcc
.LBB45_20:                              ;   in Loop: Header=BB45_18 Depth=2
	s_andn2_saveexec_b64 s[0:1], s[36:37]
	s_cbranch_execz .LBB45_22
; %bb.21:                               ;   in Loop: Header=BB45_18 Depth=2
	v_cvt_f32_u32_e32 v3, s52
	s_sub_i32 s36, 0, s52
	v_mov_b32_e32 v15, v2
	v_rcp_iflag_f32_e32 v3, v3
	v_mul_f32_e32 v3, 0x4f7ffffe, v3
	v_cvt_u32_f32_e32 v3, v3
	v_mul_lo_u32 v5, s36, v3
	v_mul_hi_u32 v5, v3, v5
	v_add_u32_e32 v3, v3, v5
	v_mul_hi_u32 v3, v12, v3
	v_mul_lo_u32 v5, v3, s52
	v_sub_u32_e32 v5, v12, v5
	v_add_u32_e32 v7, 1, v3
	v_subrev_u32_e32 v9, s52, v5
	v_cmp_le_u32_e32 vcc, s52, v5
	v_cndmask_b32_e32 v5, v5, v9, vcc
	v_cndmask_b32_e32 v3, v3, v7, vcc
	v_add_u32_e32 v7, 1, v3
	v_cmp_le_u32_e32 vcc, s52, v5
	v_cndmask_b32_e32 v14, v3, v7, vcc
.LBB45_22:                              ;   in Loop: Header=BB45_18 Depth=2
	s_or_b64 exec, exec, s[0:1]
	s_add_u32 s0, s46, s2
	s_addc_u32 s1, s47, s3
	s_add_i32 s2, s20, -1
	s_mov_b32 s3, s21
	s_lshl_b64 s[36:37], s[2:3], 2
	s_add_u32 s2, s33, s36
	s_addc_u32 s3, s42, s37
	s_load_dword s53, s[2:3], 0x8
	s_load_dword s54, s[34:35], 0x6c
	;; [unrolled: 1-line block ×3, first 2 shown]
                                        ; implicit-def: $vgpr16_vgpr17
	s_waitcnt lgkmcnt(0)
	s_ashr_i32 s0, s53, 31
	v_or_b32_e32 v3, s0, v15
	v_cmp_ne_u64_e32 vcc, 0, v[2:3]
	s_and_saveexec_b64 s[34:35], vcc
	s_xor_b64 s[34:35], exec, s[34:35]
	s_cbranch_execz .LBB45_24
; %bb.23:                               ;   in Loop: Header=BB45_18 Depth=2
	s_add_u32 s40, s53, s0
	s_mov_b32 s38, s0
	s_mov_b32 s39, s0
	s_addc_u32 s41, s0, s0
	s_xor_b64 s[40:41], s[40:41], s[38:39]
	v_cvt_f32_u32_e32 v3, s40
	v_cvt_f32_u32_e32 v5, s41
	s_sub_u32 s0, 0, s40
	s_subb_u32 s1, 0, s41
	v_mac_f32_e32 v3, 0x4f800000, v5
	v_rcp_f32_e32 v3, v3
	v_mul_f32_e32 v3, 0x5f7ffffc, v3
	v_mul_f32_e32 v5, 0x2f800000, v3
	v_trunc_f32_e32 v5, v5
	v_mac_f32_e32 v3, 0xcf800000, v5
	v_cvt_u32_f32_e32 v5, v5
	v_cvt_u32_f32_e32 v3, v3
	v_mul_lo_u32 v7, s0, v5
	v_mul_hi_u32 v11, s0, v3
	v_mul_lo_u32 v9, s1, v3
	v_add_u32_e32 v7, v11, v7
	v_mul_lo_u32 v13, s0, v3
	v_add_u32_e32 v7, v7, v9
	v_mul_lo_u32 v11, v3, v7
	v_mul_hi_u32 v16, v3, v13
	v_mul_hi_u32 v9, v3, v7
	v_add_co_u32_e32 v11, vcc, v16, v11
	v_addc_co_u32_e32 v9, vcc, 0, v9, vcc
	v_mul_hi_u32 v17, v5, v13
	v_mul_lo_u32 v13, v5, v13
	v_add_co_u32_e32 v11, vcc, v11, v13
	v_mul_hi_u32 v16, v5, v7
	v_addc_co_u32_e32 v9, vcc, v9, v17, vcc
	v_addc_co_u32_e32 v11, vcc, 0, v16, vcc
	v_mul_lo_u32 v7, v5, v7
	v_add_co_u32_e32 v7, vcc, v9, v7
	v_addc_co_u32_e32 v9, vcc, 0, v11, vcc
	v_add_co_u32_e32 v3, vcc, v3, v7
	v_addc_co_u32_e32 v5, vcc, v5, v9, vcc
	v_mul_lo_u32 v7, s0, v5
	v_mul_hi_u32 v9, s0, v3
	v_add_u32_e32 v7, v9, v7
	v_mul_lo_u32 v9, s1, v3
	v_add_u32_e32 v7, v7, v9
	v_mul_lo_u32 v11, s0, v3
	v_mul_hi_u32 v13, v5, v11
	v_mul_lo_u32 v16, v5, v11
	v_mul_lo_u32 v18, v3, v7
	v_mul_hi_u32 v11, v3, v11
	v_mul_hi_u32 v17, v3, v7
	v_add_co_u32_e32 v11, vcc, v11, v18
	v_addc_co_u32_e32 v17, vcc, 0, v17, vcc
	v_add_co_u32_e32 v11, vcc, v11, v16
	v_mul_hi_u32 v9, v5, v7
	v_addc_co_u32_e32 v11, vcc, v17, v13, vcc
	v_addc_co_u32_e32 v9, vcc, 0, v9, vcc
	v_mul_lo_u32 v7, v5, v7
	v_add_co_u32_e32 v7, vcc, v11, v7
	v_addc_co_u32_e32 v9, vcc, 0, v9, vcc
	v_add_co_u32_e32 v3, vcc, v3, v7
	v_addc_co_u32_e32 v5, vcc, v5, v9, vcc
	v_ashrrev_i32_e32 v7, 31, v15
	v_add_co_u32_e32 v9, vcc, v14, v7
	v_xor_b32_e32 v9, v9, v7
	v_addc_co_u32_e32 v11, vcc, v15, v7, vcc
	v_mad_u64_u32 v[16:17], s[0:1], v9, v5, 0
	v_mul_hi_u32 v13, v9, v3
	v_xor_b32_e32 v11, v11, v7
	v_add_co_u32_e32 v13, vcc, v13, v16
	v_addc_co_u32_e32 v15, vcc, 0, v17, vcc
	v_mad_u64_u32 v[18:19], s[0:1], v11, v3, 0
	v_add_co_u32_e32 v3, vcc, v13, v18
	v_mad_u64_u32 v[16:17], s[0:1], v11, v5, 0
	v_addc_co_u32_e32 v3, vcc, v15, v19, vcc
	v_addc_co_u32_e32 v5, vcc, 0, v17, vcc
	v_add_co_u32_e32 v3, vcc, v3, v16
	v_addc_co_u32_e32 v5, vcc, 0, v5, vcc
	v_mul_lo_u32 v13, s41, v3
	v_mul_lo_u32 v15, s40, v5
	v_mad_u64_u32 v[16:17], s[0:1], s40, v3, 0
	v_add3_u32 v13, v17, v15, v13
	v_sub_u32_e32 v15, v11, v13
	v_mov_b32_e32 v17, s41
	v_sub_co_u32_e32 v9, vcc, v9, v16
	v_subb_co_u32_e64 v15, s[0:1], v15, v17, vcc
	v_subrev_co_u32_e64 v16, s[0:1], s40, v9
	v_subbrev_co_u32_e64 v15, s[0:1], 0, v15, s[0:1]
	v_cmp_le_u32_e64 s[0:1], s41, v15
	v_cndmask_b32_e64 v17, 0, -1, s[0:1]
	v_cmp_le_u32_e64 s[0:1], s40, v16
	v_cndmask_b32_e64 v16, 0, -1, s[0:1]
	v_cmp_eq_u32_e64 s[0:1], s41, v15
	v_cndmask_b32_e64 v15, v17, v16, s[0:1]
	v_add_co_u32_e64 v16, s[0:1], 2, v3
	v_subb_co_u32_e32 v11, vcc, v11, v13, vcc
	v_addc_co_u32_e64 v17, s[0:1], 0, v5, s[0:1]
	v_cmp_le_u32_e32 vcc, s41, v11
	v_add_co_u32_e64 v18, s[0:1], 1, v3
	v_cndmask_b32_e64 v13, 0, -1, vcc
	v_cmp_le_u32_e32 vcc, s40, v9
	v_addc_co_u32_e64 v19, s[0:1], 0, v5, s[0:1]
	v_cndmask_b32_e64 v9, 0, -1, vcc
	v_cmp_eq_u32_e32 vcc, s41, v11
	v_cmp_ne_u32_e64 s[0:1], 0, v15
	v_cndmask_b32_e32 v9, v13, v9, vcc
	v_cmp_ne_u32_e32 vcc, 0, v9
	v_cndmask_b32_e64 v9, v18, v16, s[0:1]
	v_cndmask_b32_e64 v15, v19, v17, s[0:1]
	v_cndmask_b32_e32 v3, v3, v9, vcc
	v_xor_b32_e32 v9, s39, v7
	v_xor_b32_e32 v7, s38, v7
	v_cndmask_b32_e32 v5, v5, v15, vcc
	v_xor_b32_e32 v3, v3, v7
	v_xor_b32_e32 v5, v5, v9
	v_sub_co_u32_e32 v16, vcc, v3, v7
	v_subb_co_u32_e32 v17, vcc, v5, v9, vcc
.LBB45_24:                              ;   in Loop: Header=BB45_18 Depth=2
	s_andn2_saveexec_b64 s[0:1], s[34:35]
	s_cbranch_execz .LBB45_26
; %bb.25:                               ;   in Loop: Header=BB45_18 Depth=2
	v_cvt_f32_u32_e32 v3, s53
	s_sub_i32 s34, 0, s53
	v_mov_b32_e32 v17, v2
	v_rcp_iflag_f32_e32 v3, v3
	v_mul_f32_e32 v3, 0x4f7ffffe, v3
	v_cvt_u32_f32_e32 v3, v3
	v_mul_lo_u32 v5, s34, v3
	v_mul_hi_u32 v5, v3, v5
	v_add_u32_e32 v3, v3, v5
	v_mul_hi_u32 v3, v14, v3
	v_mul_lo_u32 v5, v3, s53
	v_sub_u32_e32 v5, v14, v5
	v_add_u32_e32 v7, 1, v3
	v_subrev_u32_e32 v9, s53, v5
	v_cmp_le_u32_e32 vcc, s53, v5
	v_cndmask_b32_e32 v5, v5, v9, vcc
	v_cndmask_b32_e32 v3, v3, v7, vcc
	v_add_u32_e32 v7, 1, v3
	v_cmp_le_u32_e32 vcc, s53, v5
	v_cndmask_b32_e32 v16, v3, v7, vcc
.LBB45_26:                              ;   in Loop: Header=BB45_18 Depth=2
	s_or_b64 exec, exec, s[0:1]
	s_add_u32 s0, s46, s36
	s_addc_u32 s1, s47, s37
	s_add_i32 s34, s20, -2
	s_mov_b32 s35, s21
	s_lshl_b64 s[34:35], s[34:35], 2
	s_add_u32 s36, s33, s34
	s_addc_u32 s37, s42, s35
	s_load_dword s56, s[36:37], 0x8
	s_load_dword s58, s[2:3], 0x6c
	;; [unrolled: 1-line block ×3, first 2 shown]
                                        ; implicit-def: $vgpr18_vgpr19
	s_waitcnt lgkmcnt(0)
	s_ashr_i32 s0, s56, 31
	v_or_b32_e32 v3, s0, v17
	v_cmp_ne_u64_e32 vcc, 0, v[2:3]
	s_and_saveexec_b64 s[2:3], vcc
	s_xor_b64 s[2:3], exec, s[2:3]
	s_cbranch_execz .LBB45_28
; %bb.27:                               ;   in Loop: Header=BB45_18 Depth=2
	s_add_u32 s40, s56, s0
	s_mov_b32 s38, s0
	s_mov_b32 s39, s0
	s_addc_u32 s41, s0, s0
	s_xor_b64 s[40:41], s[40:41], s[38:39]
	v_cvt_f32_u32_e32 v3, s40
	v_cvt_f32_u32_e32 v5, s41
	s_sub_u32 s0, 0, s40
	s_subb_u32 s1, 0, s41
	v_mac_f32_e32 v3, 0x4f800000, v5
	v_rcp_f32_e32 v3, v3
	v_mul_f32_e32 v3, 0x5f7ffffc, v3
	v_mul_f32_e32 v5, 0x2f800000, v3
	v_trunc_f32_e32 v5, v5
	v_mac_f32_e32 v3, 0xcf800000, v5
	v_cvt_u32_f32_e32 v5, v5
	v_cvt_u32_f32_e32 v3, v3
	v_mul_lo_u32 v7, s0, v5
	v_mul_hi_u32 v11, s0, v3
	v_mul_lo_u32 v9, s1, v3
	v_add_u32_e32 v7, v11, v7
	v_mul_lo_u32 v13, s0, v3
	v_add_u32_e32 v7, v7, v9
	v_mul_lo_u32 v11, v3, v7
	v_mul_hi_u32 v15, v3, v13
	v_mul_hi_u32 v9, v3, v7
	v_add_co_u32_e32 v11, vcc, v15, v11
	v_addc_co_u32_e32 v9, vcc, 0, v9, vcc
	v_mul_hi_u32 v18, v5, v13
	v_mul_lo_u32 v13, v5, v13
	v_add_co_u32_e32 v11, vcc, v11, v13
	v_mul_hi_u32 v15, v5, v7
	v_addc_co_u32_e32 v9, vcc, v9, v18, vcc
	v_addc_co_u32_e32 v11, vcc, 0, v15, vcc
	v_mul_lo_u32 v7, v5, v7
	v_add_co_u32_e32 v7, vcc, v9, v7
	v_addc_co_u32_e32 v9, vcc, 0, v11, vcc
	v_add_co_u32_e32 v3, vcc, v3, v7
	v_addc_co_u32_e32 v5, vcc, v5, v9, vcc
	v_mul_lo_u32 v7, s0, v5
	v_mul_hi_u32 v9, s0, v3
	v_add_u32_e32 v7, v9, v7
	v_mul_lo_u32 v9, s1, v3
	v_add_u32_e32 v7, v7, v9
	v_mul_lo_u32 v11, s0, v3
	v_mul_hi_u32 v13, v5, v11
	v_mul_lo_u32 v15, v5, v11
	v_mul_lo_u32 v19, v3, v7
	v_mul_hi_u32 v11, v3, v11
	v_mul_hi_u32 v18, v3, v7
	v_add_co_u32_e32 v11, vcc, v11, v19
	v_addc_co_u32_e32 v18, vcc, 0, v18, vcc
	v_add_co_u32_e32 v11, vcc, v11, v15
	v_mul_hi_u32 v9, v5, v7
	v_addc_co_u32_e32 v11, vcc, v18, v13, vcc
	v_addc_co_u32_e32 v9, vcc, 0, v9, vcc
	v_mul_lo_u32 v7, v5, v7
	v_add_co_u32_e32 v7, vcc, v11, v7
	v_addc_co_u32_e32 v9, vcc, 0, v9, vcc
	v_add_co_u32_e32 v3, vcc, v3, v7
	v_addc_co_u32_e32 v5, vcc, v5, v9, vcc
	v_ashrrev_i32_e32 v7, 31, v17
	v_add_co_u32_e32 v9, vcc, v16, v7
	v_xor_b32_e32 v9, v9, v7
	v_addc_co_u32_e32 v11, vcc, v17, v7, vcc
	v_mad_u64_u32 v[18:19], s[0:1], v9, v5, 0
	v_mul_hi_u32 v13, v9, v3
	v_xor_b32_e32 v11, v11, v7
	v_add_co_u32_e32 v13, vcc, v13, v18
	v_addc_co_u32_e32 v15, vcc, 0, v19, vcc
	v_mad_u64_u32 v[20:21], s[0:1], v11, v3, 0
	v_add_co_u32_e32 v3, vcc, v13, v20
	v_mad_u64_u32 v[18:19], s[0:1], v11, v5, 0
	v_addc_co_u32_e32 v3, vcc, v15, v21, vcc
	v_addc_co_u32_e32 v5, vcc, 0, v19, vcc
	v_add_co_u32_e32 v3, vcc, v3, v18
	v_addc_co_u32_e32 v5, vcc, 0, v5, vcc
	v_mul_lo_u32 v13, s41, v3
	v_mul_lo_u32 v15, s40, v5
	v_mad_u64_u32 v[18:19], s[0:1], s40, v3, 0
	v_add3_u32 v13, v19, v15, v13
	v_sub_u32_e32 v15, v11, v13
	v_mov_b32_e32 v17, s41
	v_sub_co_u32_e32 v9, vcc, v9, v18
	v_subb_co_u32_e64 v15, s[0:1], v15, v17, vcc
	v_subrev_co_u32_e64 v17, s[0:1], s40, v9
	v_subbrev_co_u32_e64 v15, s[0:1], 0, v15, s[0:1]
	v_cmp_le_u32_e64 s[0:1], s41, v15
	v_cndmask_b32_e64 v18, 0, -1, s[0:1]
	v_cmp_le_u32_e64 s[0:1], s40, v17
	v_cndmask_b32_e64 v17, 0, -1, s[0:1]
	v_cmp_eq_u32_e64 s[0:1], s41, v15
	v_cndmask_b32_e64 v15, v18, v17, s[0:1]
	v_add_co_u32_e64 v17, s[0:1], 2, v3
	v_subb_co_u32_e32 v11, vcc, v11, v13, vcc
	v_addc_co_u32_e64 v18, s[0:1], 0, v5, s[0:1]
	v_cmp_le_u32_e32 vcc, s41, v11
	v_add_co_u32_e64 v19, s[0:1], 1, v3
	v_cndmask_b32_e64 v13, 0, -1, vcc
	v_cmp_le_u32_e32 vcc, s40, v9
	v_addc_co_u32_e64 v20, s[0:1], 0, v5, s[0:1]
	v_cndmask_b32_e64 v9, 0, -1, vcc
	v_cmp_eq_u32_e32 vcc, s41, v11
	v_cmp_ne_u32_e64 s[0:1], 0, v15
	v_cndmask_b32_e32 v9, v13, v9, vcc
	v_cmp_ne_u32_e32 vcc, 0, v9
	v_cndmask_b32_e64 v9, v19, v17, s[0:1]
	v_cndmask_b32_e64 v15, v20, v18, s[0:1]
	v_cndmask_b32_e32 v3, v3, v9, vcc
	v_xor_b32_e32 v9, s39, v7
	v_xor_b32_e32 v7, s38, v7
	v_cndmask_b32_e32 v5, v5, v15, vcc
	v_xor_b32_e32 v3, v3, v7
	v_xor_b32_e32 v5, v5, v9
	v_sub_co_u32_e32 v18, vcc, v3, v7
	v_subb_co_u32_e32 v19, vcc, v5, v9, vcc
.LBB45_28:                              ;   in Loop: Header=BB45_18 Depth=2
	s_andn2_saveexec_b64 s[0:1], s[2:3]
	s_cbranch_execz .LBB45_30
; %bb.29:                               ;   in Loop: Header=BB45_18 Depth=2
	v_cvt_f32_u32_e32 v3, s56
	s_sub_i32 s2, 0, s56
	v_mov_b32_e32 v19, v2
	v_rcp_iflag_f32_e32 v3, v3
	v_mul_f32_e32 v3, 0x4f7ffffe, v3
	v_cvt_u32_f32_e32 v3, v3
	v_mul_lo_u32 v5, s2, v3
	v_mul_hi_u32 v5, v3, v5
	v_add_u32_e32 v3, v3, v5
	v_mul_hi_u32 v3, v16, v3
	v_mul_lo_u32 v5, v3, s56
	v_sub_u32_e32 v5, v16, v5
	v_add_u32_e32 v7, 1, v3
	v_subrev_u32_e32 v9, s56, v5
	v_cmp_le_u32_e32 vcc, s56, v5
	v_cndmask_b32_e32 v5, v5, v9, vcc
	v_cndmask_b32_e32 v3, v3, v7, vcc
	v_add_u32_e32 v7, 1, v3
	v_cmp_le_u32_e32 vcc, s56, v5
	v_cndmask_b32_e32 v18, v3, v7, vcc
.LBB45_30:                              ;   in Loop: Header=BB45_18 Depth=2
	s_or_b64 exec, exec, s[0:1]
	s_add_u32 s0, s46, s34
	s_addc_u32 s1, s47, s35
	s_add_i32 s2, s20, -3
	s_mov_b32 s3, s21
	s_lshl_b64 s[2:3], s[2:3], 2
	s_add_u32 s34, s33, s2
	s_addc_u32 s35, s42, s3
	s_load_dword s59, s[34:35], 0x8
	s_load_dword s60, s[36:37], 0x6c
	;; [unrolled: 1-line block ×3, first 2 shown]
                                        ; implicit-def: $vgpr20_vgpr21
	s_waitcnt lgkmcnt(0)
	s_ashr_i32 s0, s59, 31
	v_or_b32_e32 v3, s0, v19
	v_cmp_ne_u64_e32 vcc, 0, v[2:3]
	s_and_saveexec_b64 s[36:37], vcc
	s_xor_b64 s[36:37], exec, s[36:37]
	s_cbranch_execz .LBB45_32
; %bb.31:                               ;   in Loop: Header=BB45_18 Depth=2
	s_add_u32 s40, s59, s0
	s_mov_b32 s38, s0
	s_mov_b32 s39, s0
	s_addc_u32 s41, s0, s0
	s_xor_b64 s[40:41], s[40:41], s[38:39]
	v_cvt_f32_u32_e32 v3, s40
	v_cvt_f32_u32_e32 v5, s41
	s_sub_u32 s0, 0, s40
	s_subb_u32 s1, 0, s41
	v_mac_f32_e32 v3, 0x4f800000, v5
	v_rcp_f32_e32 v3, v3
	v_mul_f32_e32 v3, 0x5f7ffffc, v3
	v_mul_f32_e32 v5, 0x2f800000, v3
	v_trunc_f32_e32 v5, v5
	v_mac_f32_e32 v3, 0xcf800000, v5
	v_cvt_u32_f32_e32 v5, v5
	v_cvt_u32_f32_e32 v3, v3
	v_mul_lo_u32 v7, s0, v5
	v_mul_hi_u32 v11, s0, v3
	v_mul_lo_u32 v9, s1, v3
	v_add_u32_e32 v7, v11, v7
	v_mul_lo_u32 v13, s0, v3
	v_add_u32_e32 v7, v7, v9
	v_mul_lo_u32 v11, v3, v7
	v_mul_hi_u32 v15, v3, v13
	v_mul_hi_u32 v9, v3, v7
	v_add_co_u32_e32 v11, vcc, v15, v11
	v_addc_co_u32_e32 v9, vcc, 0, v9, vcc
	v_mul_hi_u32 v17, v5, v13
	v_mul_lo_u32 v13, v5, v13
	v_add_co_u32_e32 v11, vcc, v11, v13
	v_mul_hi_u32 v15, v5, v7
	v_addc_co_u32_e32 v9, vcc, v9, v17, vcc
	v_addc_co_u32_e32 v11, vcc, 0, v15, vcc
	v_mul_lo_u32 v7, v5, v7
	v_add_co_u32_e32 v7, vcc, v9, v7
	v_addc_co_u32_e32 v9, vcc, 0, v11, vcc
	v_add_co_u32_e32 v3, vcc, v3, v7
	v_addc_co_u32_e32 v5, vcc, v5, v9, vcc
	v_mul_lo_u32 v7, s0, v5
	v_mul_hi_u32 v9, s0, v3
	v_add_u32_e32 v7, v9, v7
	v_mul_lo_u32 v9, s1, v3
	v_add_u32_e32 v7, v7, v9
	v_mul_lo_u32 v11, s0, v3
	v_mul_hi_u32 v13, v5, v11
	v_mul_lo_u32 v15, v5, v11
	v_mul_lo_u32 v20, v3, v7
	v_mul_hi_u32 v11, v3, v11
	v_mul_hi_u32 v17, v3, v7
	v_add_co_u32_e32 v11, vcc, v11, v20
	v_addc_co_u32_e32 v17, vcc, 0, v17, vcc
	v_add_co_u32_e32 v11, vcc, v11, v15
	v_mul_hi_u32 v9, v5, v7
	v_addc_co_u32_e32 v11, vcc, v17, v13, vcc
	v_addc_co_u32_e32 v9, vcc, 0, v9, vcc
	v_mul_lo_u32 v7, v5, v7
	v_add_co_u32_e32 v7, vcc, v11, v7
	v_addc_co_u32_e32 v9, vcc, 0, v9, vcc
	v_add_co_u32_e32 v3, vcc, v3, v7
	v_addc_co_u32_e32 v5, vcc, v5, v9, vcc
	v_ashrrev_i32_e32 v7, 31, v19
	v_add_co_u32_e32 v9, vcc, v18, v7
	v_xor_b32_e32 v9, v9, v7
	v_addc_co_u32_e32 v11, vcc, v19, v7, vcc
	v_mad_u64_u32 v[20:21], s[0:1], v9, v5, 0
	v_mul_hi_u32 v13, v9, v3
	v_xor_b32_e32 v11, v11, v7
	v_add_co_u32_e32 v13, vcc, v13, v20
	v_addc_co_u32_e32 v15, vcc, 0, v21, vcc
	v_mad_u64_u32 v[24:25], s[0:1], v11, v3, 0
	v_add_co_u32_e32 v3, vcc, v13, v24
	v_mad_u64_u32 v[20:21], s[0:1], v11, v5, 0
	v_addc_co_u32_e32 v3, vcc, v15, v25, vcc
	v_addc_co_u32_e32 v5, vcc, 0, v21, vcc
	v_add_co_u32_e32 v3, vcc, v3, v20
	v_addc_co_u32_e32 v5, vcc, 0, v5, vcc
	v_mul_lo_u32 v13, s41, v3
	v_mul_lo_u32 v15, s40, v5
	v_mad_u64_u32 v[20:21], s[0:1], s40, v3, 0
	v_add3_u32 v13, v21, v15, v13
	v_sub_u32_e32 v15, v11, v13
	v_mov_b32_e32 v17, s41
	v_sub_co_u32_e32 v9, vcc, v9, v20
	v_subb_co_u32_e64 v15, s[0:1], v15, v17, vcc
	v_subrev_co_u32_e64 v17, s[0:1], s40, v9
	v_subbrev_co_u32_e64 v15, s[0:1], 0, v15, s[0:1]
	v_cmp_le_u32_e64 s[0:1], s41, v15
	v_cndmask_b32_e64 v19, 0, -1, s[0:1]
	v_cmp_le_u32_e64 s[0:1], s40, v17
	v_cndmask_b32_e64 v17, 0, -1, s[0:1]
	v_cmp_eq_u32_e64 s[0:1], s41, v15
	v_cndmask_b32_e64 v15, v19, v17, s[0:1]
	v_add_co_u32_e64 v17, s[0:1], 2, v3
	v_subb_co_u32_e32 v11, vcc, v11, v13, vcc
	v_addc_co_u32_e64 v19, s[0:1], 0, v5, s[0:1]
	v_cmp_le_u32_e32 vcc, s41, v11
	v_add_co_u32_e64 v20, s[0:1], 1, v3
	v_cndmask_b32_e64 v13, 0, -1, vcc
	v_cmp_le_u32_e32 vcc, s40, v9
	v_addc_co_u32_e64 v21, s[0:1], 0, v5, s[0:1]
	v_cndmask_b32_e64 v9, 0, -1, vcc
	v_cmp_eq_u32_e32 vcc, s41, v11
	v_cmp_ne_u32_e64 s[0:1], 0, v15
	v_cndmask_b32_e32 v9, v13, v9, vcc
	v_cmp_ne_u32_e32 vcc, 0, v9
	v_cndmask_b32_e64 v9, v20, v17, s[0:1]
	v_cndmask_b32_e64 v15, v21, v19, s[0:1]
	v_cndmask_b32_e32 v3, v3, v9, vcc
	v_xor_b32_e32 v9, s39, v7
	v_xor_b32_e32 v7, s38, v7
	v_cndmask_b32_e32 v5, v5, v15, vcc
	v_xor_b32_e32 v3, v3, v7
	v_xor_b32_e32 v5, v5, v9
	v_sub_co_u32_e32 v20, vcc, v3, v7
	v_subb_co_u32_e32 v21, vcc, v5, v9, vcc
.LBB45_32:                              ;   in Loop: Header=BB45_18 Depth=2
	s_andn2_saveexec_b64 s[0:1], s[36:37]
	s_cbranch_execz .LBB45_34
; %bb.33:                               ;   in Loop: Header=BB45_18 Depth=2
	v_cvt_f32_u32_e32 v3, s59
	s_sub_i32 s36, 0, s59
	v_mov_b32_e32 v21, v2
	v_rcp_iflag_f32_e32 v3, v3
	v_mul_f32_e32 v3, 0x4f7ffffe, v3
	v_cvt_u32_f32_e32 v3, v3
	v_mul_lo_u32 v5, s36, v3
	v_mul_hi_u32 v5, v3, v5
	v_add_u32_e32 v3, v3, v5
	v_mul_hi_u32 v3, v18, v3
	v_mul_lo_u32 v5, v3, s59
	v_sub_u32_e32 v5, v18, v5
	v_add_u32_e32 v7, 1, v3
	v_subrev_u32_e32 v9, s59, v5
	v_cmp_le_u32_e32 vcc, s59, v5
	v_cndmask_b32_e32 v5, v5, v9, vcc
	v_cndmask_b32_e32 v3, v3, v7, vcc
	v_add_u32_e32 v7, 1, v3
	v_cmp_le_u32_e32 vcc, s59, v5
	v_cndmask_b32_e32 v20, v3, v7, vcc
.LBB45_34:                              ;   in Loop: Header=BB45_18 Depth=2
	s_or_b64 exec, exec, s[0:1]
	s_add_u32 s0, s46, s2
	v_mul_lo_u32 v3, v14, s52
	v_mul_lo_u32 v7, v16, s53
	s_load_dword s2, s[34:35], 0x6c
	s_addc_u32 s1, s47, s3
	s_load_dword s0, s[0:1], 0x0
	v_sub_u32_e32 v3, v12, v3
	v_sub_u32_e32 v7, v14, v7
	v_mul_lo_u32 v5, s54, v3
	v_mul_lo_u32 v3, s55, v3
	;; [unrolled: 1-line block ×4, first 2 shown]
	v_add3_u32 v5, v5, v10, v9
	v_add3_u32 v3, v3, v6, v7
	v_mul_lo_u32 v6, v18, s56
	v_mul_lo_u32 v9, v20, s59
	v_sub_u32_e32 v6, v16, v6
	v_sub_u32_e32 v9, v18, v9
	v_mul_lo_u32 v7, s60, v6
	s_waitcnt lgkmcnt(0)
	v_mul_lo_u32 v10, s2, v9
	v_mul_lo_u32 v6, s61, v6
	v_add3_u32 v10, v7, v5, v10
	v_mul_lo_u32 v5, s0, v9
	s_add_i32 s20, s20, -4
	s_cmp_eq_u32 s20, -1
	v_add3_u32 v6, v6, v3, v5
	s_cbranch_scc1 .LBB45_41
; %bb.35:                               ;   in Loop: Header=BB45_18 Depth=2
	v_pk_mov_b32 v[12:13], v[20:21], v[20:21] op_sel:[0,1]
	s_branch .LBB45_18
.LBB45_36:                              ;   in Loop: Header=BB45_37 Depth=2
	s_or_b64 exec, exec, s[0:1]
	s_load_dword s34, s[34:35], 0x6c
	s_add_u32 s0, s46, s2
	s_addc_u32 s1, s47, s3
	s_load_dword s2, s[0:1], 0x0
	v_mul_lo_u32 v3, v12, s53
	v_sub_u32_e32 v3, v14, v3
	s_waitcnt lgkmcnt(0)
	v_mad_u64_u32 v[10:11], s[0:1], s34, v3, v[10:11]
	s_add_i32 s20, s20, -1
	s_xor_b32 s0, s51, s52
	s_add_i32 s52, s52, 1
	s_cmp_lg_u32 s0, 2
	v_mad_u64_u32 v[6:7], s[0:1], s2, v3, v[6:7]
	s_cbranch_scc0 .LBB45_17
.LBB45_37:                              ;   Parent Loop BB45_3 Depth=1
                                        ; =>  This Inner Loop Header: Depth=2
	s_lshl_b64 s[2:3], s[20:21], 2
	s_add_u32 s34, s33, s2
	s_addc_u32 s35, s42, s3
	s_load_dword s53, s[34:35], 0x8
	v_pk_mov_b32 v[14:15], v[12:13], v[12:13] op_sel:[0,1]
                                        ; implicit-def: $vgpr12_vgpr13
	s_waitcnt lgkmcnt(0)
	s_ashr_i32 s0, s53, 31
	v_or_b32_e32 v3, s0, v15
	v_cmp_ne_u64_e32 vcc, 0, v[2:3]
	s_and_saveexec_b64 s[36:37], vcc
	s_xor_b64 s[36:37], exec, s[36:37]
	s_cbranch_execz .LBB45_39
; %bb.38:                               ;   in Loop: Header=BB45_37 Depth=2
	s_add_u32 s40, s53, s0
	s_mov_b32 s38, s0
	s_mov_b32 s39, s0
	s_addc_u32 s41, s0, s0
	s_xor_b64 s[40:41], s[40:41], s[38:39]
	v_cvt_f32_u32_e32 v3, s40
	v_cvt_f32_u32_e32 v5, s41
	s_sub_u32 s0, 0, s40
	s_subb_u32 s1, 0, s41
	v_mac_f32_e32 v3, 0x4f800000, v5
	v_rcp_f32_e32 v3, v3
	v_mul_f32_e32 v3, 0x5f7ffffc, v3
	v_mul_f32_e32 v5, 0x2f800000, v3
	v_trunc_f32_e32 v5, v5
	v_mac_f32_e32 v3, 0xcf800000, v5
	v_cvt_u32_f32_e32 v5, v5
	v_cvt_u32_f32_e32 v3, v3
	v_mul_lo_u32 v7, s0, v5
	v_mul_hi_u32 v11, s0, v3
	v_mul_lo_u32 v9, s1, v3
	v_add_u32_e32 v7, v11, v7
	v_mul_lo_u32 v12, s0, v3
	v_add_u32_e32 v7, v7, v9
	v_mul_lo_u32 v11, v3, v7
	v_mul_hi_u32 v13, v3, v12
	v_mul_hi_u32 v9, v3, v7
	v_add_co_u32_e32 v11, vcc, v13, v11
	v_addc_co_u32_e32 v9, vcc, 0, v9, vcc
	v_mul_hi_u32 v16, v5, v12
	v_mul_lo_u32 v12, v5, v12
	v_add_co_u32_e32 v11, vcc, v11, v12
	v_mul_hi_u32 v13, v5, v7
	v_addc_co_u32_e32 v9, vcc, v9, v16, vcc
	v_addc_co_u32_e32 v11, vcc, 0, v13, vcc
	v_mul_lo_u32 v7, v5, v7
	v_add_co_u32_e32 v7, vcc, v9, v7
	v_addc_co_u32_e32 v9, vcc, 0, v11, vcc
	v_add_co_u32_e32 v3, vcc, v3, v7
	v_addc_co_u32_e32 v5, vcc, v5, v9, vcc
	v_mul_lo_u32 v7, s0, v5
	v_mul_hi_u32 v9, s0, v3
	v_add_u32_e32 v7, v9, v7
	v_mul_lo_u32 v9, s1, v3
	v_add_u32_e32 v7, v7, v9
	v_mul_lo_u32 v11, s0, v3
	v_mul_hi_u32 v12, v5, v11
	v_mul_lo_u32 v13, v5, v11
	v_mul_lo_u32 v17, v3, v7
	v_mul_hi_u32 v11, v3, v11
	v_mul_hi_u32 v16, v3, v7
	v_add_co_u32_e32 v11, vcc, v11, v17
	v_addc_co_u32_e32 v16, vcc, 0, v16, vcc
	v_add_co_u32_e32 v11, vcc, v11, v13
	v_mul_hi_u32 v9, v5, v7
	v_addc_co_u32_e32 v11, vcc, v16, v12, vcc
	v_addc_co_u32_e32 v9, vcc, 0, v9, vcc
	v_mul_lo_u32 v7, v5, v7
	v_add_co_u32_e32 v7, vcc, v11, v7
	v_addc_co_u32_e32 v9, vcc, 0, v9, vcc
	v_add_co_u32_e32 v3, vcc, v3, v7
	v_addc_co_u32_e32 v5, vcc, v5, v9, vcc
	v_ashrrev_i32_e32 v7, 31, v15
	v_add_co_u32_e32 v9, vcc, v14, v7
	v_xor_b32_e32 v9, v9, v7
	v_addc_co_u32_e32 v11, vcc, v15, v7, vcc
	v_mad_u64_u32 v[12:13], s[0:1], v9, v5, 0
	v_mul_hi_u32 v15, v9, v3
	v_xor_b32_e32 v11, v11, v7
	v_add_co_u32_e32 v15, vcc, v15, v12
	v_addc_co_u32_e32 v18, vcc, 0, v13, vcc
	v_mad_u64_u32 v[16:17], s[0:1], v11, v3, 0
	v_add_co_u32_e32 v3, vcc, v15, v16
	v_mad_u64_u32 v[12:13], s[0:1], v11, v5, 0
	v_addc_co_u32_e32 v3, vcc, v18, v17, vcc
	v_addc_co_u32_e32 v5, vcc, 0, v13, vcc
	v_add_co_u32_e32 v3, vcc, v3, v12
	v_addc_co_u32_e32 v5, vcc, 0, v5, vcc
	v_mul_lo_u32 v15, s41, v3
	v_mul_lo_u32 v16, s40, v5
	v_mad_u64_u32 v[12:13], s[0:1], s40, v3, 0
	v_add3_u32 v13, v13, v16, v15
	v_sub_u32_e32 v15, v11, v13
	v_mov_b32_e32 v16, s41
	v_sub_co_u32_e32 v9, vcc, v9, v12
	v_subb_co_u32_e64 v12, s[0:1], v15, v16, vcc
	v_subrev_co_u32_e64 v15, s[0:1], s40, v9
	v_subbrev_co_u32_e64 v12, s[0:1], 0, v12, s[0:1]
	v_cmp_le_u32_e64 s[0:1], s41, v12
	v_cndmask_b32_e64 v16, 0, -1, s[0:1]
	v_cmp_le_u32_e64 s[0:1], s40, v15
	v_cndmask_b32_e64 v15, 0, -1, s[0:1]
	v_cmp_eq_u32_e64 s[0:1], s41, v12
	v_cndmask_b32_e64 v12, v16, v15, s[0:1]
	v_add_co_u32_e64 v15, s[0:1], 2, v3
	v_subb_co_u32_e32 v11, vcc, v11, v13, vcc
	v_addc_co_u32_e64 v16, s[0:1], 0, v5, s[0:1]
	v_cmp_le_u32_e32 vcc, s41, v11
	v_add_co_u32_e64 v17, s[0:1], 1, v3
	v_cndmask_b32_e64 v13, 0, -1, vcc
	v_cmp_le_u32_e32 vcc, s40, v9
	v_addc_co_u32_e64 v18, s[0:1], 0, v5, s[0:1]
	v_cndmask_b32_e64 v9, 0, -1, vcc
	v_cmp_eq_u32_e32 vcc, s41, v11
	v_cmp_ne_u32_e64 s[0:1], 0, v12
	v_cndmask_b32_e32 v9, v13, v9, vcc
	v_cmp_ne_u32_e32 vcc, 0, v9
	v_cndmask_b32_e64 v9, v17, v15, s[0:1]
	v_cndmask_b32_e64 v12, v18, v16, s[0:1]
	v_cndmask_b32_e32 v3, v3, v9, vcc
	v_xor_b32_e32 v9, s39, v7
	v_xor_b32_e32 v7, s38, v7
	v_cndmask_b32_e32 v5, v5, v12, vcc
	v_xor_b32_e32 v3, v3, v7
	v_xor_b32_e32 v5, v5, v9
	v_sub_co_u32_e32 v12, vcc, v3, v7
	v_subb_co_u32_e32 v13, vcc, v5, v9, vcc
.LBB45_39:                              ;   in Loop: Header=BB45_37 Depth=2
	s_andn2_saveexec_b64 s[0:1], s[36:37]
	s_cbranch_execz .LBB45_36
; %bb.40:                               ;   in Loop: Header=BB45_37 Depth=2
	v_cvt_f32_u32_e32 v3, s53
	s_sub_i32 s36, 0, s53
	v_mov_b32_e32 v13, v2
	v_rcp_iflag_f32_e32 v3, v3
	v_mul_f32_e32 v3, 0x4f7ffffe, v3
	v_cvt_u32_f32_e32 v3, v3
	v_mul_lo_u32 v5, s36, v3
	v_mul_hi_u32 v5, v3, v5
	v_add_u32_e32 v3, v3, v5
	v_mul_hi_u32 v3, v14, v3
	v_mul_lo_u32 v5, v3, s53
	v_sub_u32_e32 v5, v14, v5
	v_add_u32_e32 v7, 1, v3
	v_subrev_u32_e32 v9, s53, v5
	v_cmp_le_u32_e32 vcc, s53, v5
	v_cndmask_b32_e32 v5, v5, v9, vcc
	v_cndmask_b32_e32 v3, v3, v7, vcc
	v_add_u32_e32 v7, 1, v3
	v_cmp_le_u32_e32 vcc, s53, v5
	v_cndmask_b32_e32 v12, v3, v7, vcc
	s_branch .LBB45_36
.LBB45_41:                              ;   in Loop: Header=BB45_3 Depth=1
	v_mov_b32_e32 v3, v4
	v_sub_u32_e32 v4, v4, v8
	v_ashrrev_i32_e32 v5, 31, v4
	v_cmp_ge_i64_e32 vcc, s[8:9], v[4:5]
                                        ; implicit-def: $vgpr14
                                        ; implicit-def: $vgpr12
                                        ; implicit-def: $vgpr11
                                        ; implicit-def: $vgpr9
	s_and_saveexec_b64 s[0:1], vcc
	s_xor_b64 s[0:1], exec, s[0:1]
	s_cbranch_execnz .LBB45_44
; %bb.42:                               ;   in Loop: Header=BB45_3 Depth=1
	s_andn2_saveexec_b64 s[0:1], s[0:1]
	s_cbranch_execnz .LBB45_53
.LBB45_43:                              ;   in Loop: Header=BB45_3 Depth=1
	s_or_b64 exec, exec, s[0:1]
	v_cmp_gt_i32_e32 vcc, s13, v3
	s_and_saveexec_b64 s[0:1], vcc
	s_cbranch_execz .LBB45_2
	s_branch .LBB45_54
.LBB45_44:                              ;   in Loop: Header=BB45_3 Depth=1
	v_cmp_gt_i32_e32 vcc, s13, v3
	v_mov_b32_e32 v13, 0
	v_mov_b32_e32 v11, 0
	;; [unrolled: 1-line block ×4, first 2 shown]
	s_and_saveexec_b64 s[2:3], vcc
	s_cbranch_execz .LBB45_52
; %bb.45:                               ;   in Loop: Header=BB45_3 Depth=1
	v_ashrrev_i32_e32 v11, 31, v10
	v_lshlrev_b64 v[4:5], 1, v[10:11]
	v_mov_b32_e32 v7, s7
	v_add_co_u32_e32 v4, vcc, s6, v4
	v_addc_co_u32_e32 v5, vcc, v7, v5, vcc
	global_load_ushort v7, v[4:5], off
	v_add_u32_e32 v9, 1, v3
	v_cmp_gt_i32_e32 vcc, s13, v9
	v_mov_b32_e32 v9, 0
	v_mov_b32_e32 v11, 0
	;; [unrolled: 1-line block ×3, first 2 shown]
	s_and_saveexec_b64 s[34:35], vcc
	s_xor_b64 s[34:35], exec, s[34:35]
	s_cbranch_execz .LBB45_51
; %bb.46:                               ;   in Loop: Header=BB45_3 Depth=1
	s_lshl_b64 s[36:37], s[26:27], 1
	v_mov_b32_e32 v9, s37
	v_add_co_u32_e32 v4, vcc, s36, v4
	v_addc_co_u32_e32 v5, vcc, v5, v9, vcc
	global_load_ushort v9, v[4:5], off
	v_add_u32_e32 v4, 2, v3
	v_cmp_gt_i32_e32 vcc, s13, v4
	v_mov_b32_e32 v11, 0
	v_mov_b32_e32 v13, 0
	s_and_saveexec_b64 s[36:37], vcc
	s_xor_b64 s[36:37], exec, s[36:37]
	s_cbranch_execz .LBB45_50
; %bb.47:                               ;   in Loop: Header=BB45_3 Depth=1
	s_add_i32 s20, s26, s26
	v_add_u32_e32 v4, s20, v10
	v_ashrrev_i32_e32 v5, 31, v4
	v_lshlrev_b64 v[10:11], 1, v[4:5]
	v_mov_b32_e32 v5, s7
	v_add_co_u32_e32 v10, vcc, s6, v10
	v_addc_co_u32_e32 v11, vcc, v5, v11, vcc
	global_load_ushort v11, v[10:11], off
	v_add_u32_e32 v5, 3, v3
	v_cmp_gt_i32_e32 vcc, s13, v5
	v_mov_b32_e32 v13, 0
	s_and_saveexec_b64 s[38:39], vcc
	s_xor_b64 s[38:39], exec, s[38:39]
	s_cbranch_execz .LBB45_49
; %bb.48:                               ;   in Loop: Header=BB45_3 Depth=1
	v_add_u32_e32 v4, s26, v4
	v_ashrrev_i32_e32 v5, 31, v4
	v_lshlrev_b64 v[4:5], 1, v[4:5]
	v_mov_b32_e32 v10, s7
	v_add_co_u32_e32 v4, vcc, s6, v4
	v_addc_co_u32_e32 v5, vcc, v10, v5, vcc
	global_load_ushort v13, v[4:5], off
.LBB45_49:                              ;   in Loop: Header=BB45_3 Depth=1
	s_or_b64 exec, exec, s[38:39]
.LBB45_50:                              ;   in Loop: Header=BB45_3 Depth=1
	s_or_b64 exec, exec, s[36:37]
.LBB45_51:                              ;   in Loop: Header=BB45_3 Depth=1
	s_or_b64 exec, exec, s[34:35]
.LBB45_52:                              ;   in Loop: Header=BB45_3 Depth=1
	s_or_b64 exec, exec, s[2:3]
	v_sub_u32_e32 v4, v3, v8
	v_ashrrev_i32_e32 v5, 31, v4
	v_add_u32_e32 v16, 1, v4
	v_cmp_ge_i64_e32 vcc, s[8:9], v[4:5]
	v_ashrrev_i32_e32 v17, 31, v16
	s_waitcnt vmcnt(0)
	v_cndmask_b32_e32 v14, 0, v7, vcc
	v_cmp_ge_i64_e32 vcc, s[8:9], v[16:17]
	v_add_u32_e32 v8, 2, v4
	v_cndmask_b32_e32 v12, 0, v9, vcc
	v_ashrrev_i32_e32 v9, 31, v8
	v_add_u32_e32 v4, 3, v4
	v_cmp_ge_i64_e32 vcc, s[8:9], v[8:9]
	v_ashrrev_i32_e32 v5, 31, v4
	v_cndmask_b32_e32 v11, 0, v11, vcc
	v_cmp_ge_i64_e32 vcc, s[8:9], v[4:5]
	v_cndmask_b32_e32 v9, 0, v13, vcc
	s_andn2_saveexec_b64 s[0:1], s[0:1]
	s_cbranch_execz .LBB45_43
.LBB45_53:                              ;   in Loop: Header=BB45_3 Depth=1
	v_mov_b32_e32 v9, 0
	v_mov_b32_e32 v11, 0
	;; [unrolled: 1-line block ×4, first 2 shown]
	s_or_b64 exec, exec, s[0:1]
	v_cmp_gt_i32_e32 vcc, s13, v3
	s_and_saveexec_b64 s[0:1], vcc
	s_cbranch_execz .LBB45_2
.LBB45_54:                              ;   in Loop: Header=BB45_3 Depth=1
	v_ashrrev_i32_e32 v7, 31, v6
	v_lshlrev_b64 v[4:5], 1, v[6:7]
	v_mov_b32_e32 v7, s5
	v_add_co_u32_e32 v4, vcc, s4, v4
	v_addc_co_u32_e32 v5, vcc, v7, v5, vcc
	v_add_u32_e32 v7, 1, v3
	v_cmp_gt_i32_e32 vcc, s13, v7
	global_store_short v[4:5], v14, off
	s_and_saveexec_b64 s[2:3], vcc
	s_xor_b64 s[2:3], exec, s[2:3]
	s_cbranch_execz .LBB45_2
; %bb.55:                               ;   in Loop: Header=BB45_3 Depth=1
	s_lshl_b64 s[2:3], s[28:29], 1
	v_mov_b32_e32 v7, s3
	v_add_co_u32_e32 v4, vcc, s2, v4
	v_addc_co_u32_e32 v5, vcc, v5, v7, vcc
	global_store_short v[4:5], v12, off
	v_add_u32_e32 v4, 2, v3
	v_cmp_gt_i32_e32 vcc, s13, v4
	s_and_saveexec_b64 s[2:3], vcc
	s_xor_b64 s[2:3], exec, s[2:3]
	s_cbranch_execz .LBB45_2
; %bb.56:                               ;   in Loop: Header=BB45_3 Depth=1
	s_add_i32 s2, s28, s28
	v_add_u32_e32 v4, s2, v6
	v_ashrrev_i32_e32 v5, 31, v4
	v_lshlrev_b64 v[6:7], 1, v[4:5]
	v_mov_b32_e32 v5, s5
	v_add_co_u32_e32 v6, vcc, s4, v6
	v_addc_co_u32_e32 v7, vcc, v5, v7, vcc
	v_add_u32_e32 v3, 3, v3
	v_cmp_gt_i32_e32 vcc, s13, v3
	global_store_short v[6:7], v11, off
	s_and_saveexec_b64 s[2:3], vcc
	s_xor_b64 s[2:3], exec, s[2:3]
	s_cbranch_execz .LBB45_2
; %bb.57:                               ;   in Loop: Header=BB45_3 Depth=1
	v_add_u32_e32 v4, s28, v4
	v_ashrrev_i32_e32 v5, 31, v4
	v_lshlrev_b64 v[4:5], 1, v[4:5]
	v_mov_b32_e32 v3, s5
	v_add_co_u32_e32 v4, vcc, s4, v4
	v_addc_co_u32_e32 v5, vcc, v3, v5, vcc
	global_store_short v[4:5], v9, off
	s_branch .LBB45_2
.LBB45_58:
	s_endpgm
	.section	.rodata,"a",@progbits
	.p2align	6, 0x0
	.amdhsa_kernel _ZN2at6native16triu_tril_kernelIN3c108BFloat16EiLb0ELi4ELb0EEEvNS_4cuda6detail10TensorInfoIT_T0_EENS6_IKS7_S8_EEllS8_
		.amdhsa_group_segment_fixed_size 0
		.amdhsa_private_segment_fixed_size 0
		.amdhsa_kernarg_size 712
		.amdhsa_user_sgpr_count 6
		.amdhsa_user_sgpr_private_segment_buffer 1
		.amdhsa_user_sgpr_dispatch_ptr 0
		.amdhsa_user_sgpr_queue_ptr 0
		.amdhsa_user_sgpr_kernarg_segment_ptr 1
		.amdhsa_user_sgpr_dispatch_id 0
		.amdhsa_user_sgpr_flat_scratch_init 0
		.amdhsa_user_sgpr_kernarg_preload_length 0
		.amdhsa_user_sgpr_kernarg_preload_offset 0
		.amdhsa_user_sgpr_private_segment_size 0
		.amdhsa_uses_dynamic_stack 0
		.amdhsa_system_sgpr_private_segment_wavefront_offset 0
		.amdhsa_system_sgpr_workgroup_id_x 1
		.amdhsa_system_sgpr_workgroup_id_y 0
		.amdhsa_system_sgpr_workgroup_id_z 0
		.amdhsa_system_sgpr_workgroup_info 0
		.amdhsa_system_vgpr_workitem_id 0
		.amdhsa_next_free_vgpr 26
		.amdhsa_next_free_sgpr 62
		.amdhsa_accum_offset 28
		.amdhsa_reserve_vcc 1
		.amdhsa_reserve_flat_scratch 0
		.amdhsa_float_round_mode_32 0
		.amdhsa_float_round_mode_16_64 0
		.amdhsa_float_denorm_mode_32 3
		.amdhsa_float_denorm_mode_16_64 3
		.amdhsa_dx10_clamp 1
		.amdhsa_ieee_mode 1
		.amdhsa_fp16_overflow 0
		.amdhsa_tg_split 0
		.amdhsa_exception_fp_ieee_invalid_op 0
		.amdhsa_exception_fp_denorm_src 0
		.amdhsa_exception_fp_ieee_div_zero 0
		.amdhsa_exception_fp_ieee_overflow 0
		.amdhsa_exception_fp_ieee_underflow 0
		.amdhsa_exception_fp_ieee_inexact 0
		.amdhsa_exception_int_div_zero 0
	.end_amdhsa_kernel
	.section	.text._ZN2at6native16triu_tril_kernelIN3c108BFloat16EiLb0ELi4ELb0EEEvNS_4cuda6detail10TensorInfoIT_T0_EENS6_IKS7_S8_EEllS8_,"axG",@progbits,_ZN2at6native16triu_tril_kernelIN3c108BFloat16EiLb0ELi4ELb0EEEvNS_4cuda6detail10TensorInfoIT_T0_EENS6_IKS7_S8_EEllS8_,comdat
.Lfunc_end45:
	.size	_ZN2at6native16triu_tril_kernelIN3c108BFloat16EiLb0ELi4ELb0EEEvNS_4cuda6detail10TensorInfoIT_T0_EENS6_IKS7_S8_EEllS8_, .Lfunc_end45-_ZN2at6native16triu_tril_kernelIN3c108BFloat16EiLb0ELi4ELb0EEEvNS_4cuda6detail10TensorInfoIT_T0_EENS6_IKS7_S8_EEllS8_
                                        ; -- End function
	.section	.AMDGPU.csdata,"",@progbits
; Kernel info:
; codeLenInByte = 7944
; NumSgprs: 66
; NumVgprs: 26
; NumAgprs: 0
; TotalNumVgprs: 26
; ScratchSize: 0
; MemoryBound: 0
; FloatMode: 240
; IeeeMode: 1
; LDSByteSize: 0 bytes/workgroup (compile time only)
; SGPRBlocks: 8
; VGPRBlocks: 3
; NumSGPRsForWavesPerEU: 66
; NumVGPRsForWavesPerEU: 26
; AccumOffset: 28
; Occupancy: 8
; WaveLimiterHint : 0
; COMPUTE_PGM_RSRC2:SCRATCH_EN: 0
; COMPUTE_PGM_RSRC2:USER_SGPR: 6
; COMPUTE_PGM_RSRC2:TRAP_HANDLER: 0
; COMPUTE_PGM_RSRC2:TGID_X_EN: 1
; COMPUTE_PGM_RSRC2:TGID_Y_EN: 0
; COMPUTE_PGM_RSRC2:TGID_Z_EN: 0
; COMPUTE_PGM_RSRC2:TIDIG_COMP_CNT: 0
; COMPUTE_PGM_RSRC3_GFX90A:ACCUM_OFFSET: 6
; COMPUTE_PGM_RSRC3_GFX90A:TG_SPLIT: 0
	.section	.text._ZN2at6native16triu_tril_kernelIN3c108BFloat16ElLb0ELi4ELb1EEEvNS_4cuda6detail10TensorInfoIT_T0_EENS6_IKS7_S8_EEllS8_,"axG",@progbits,_ZN2at6native16triu_tril_kernelIN3c108BFloat16ElLb0ELi4ELb1EEEvNS_4cuda6detail10TensorInfoIT_T0_EENS6_IKS7_S8_EEllS8_,comdat
	.protected	_ZN2at6native16triu_tril_kernelIN3c108BFloat16ElLb0ELi4ELb1EEEvNS_4cuda6detail10TensorInfoIT_T0_EENS6_IKS7_S8_EEllS8_ ; -- Begin function _ZN2at6native16triu_tril_kernelIN3c108BFloat16ElLb0ELi4ELb1EEEvNS_4cuda6detail10TensorInfoIT_T0_EENS6_IKS7_S8_EEllS8_
	.globl	_ZN2at6native16triu_tril_kernelIN3c108BFloat16ElLb0ELi4ELb1EEEvNS_4cuda6detail10TensorInfoIT_T0_EENS6_IKS7_S8_EEllS8_
	.p2align	8
	.type	_ZN2at6native16triu_tril_kernelIN3c108BFloat16ElLb0ELi4ELb1EEEvNS_4cuda6detail10TensorInfoIT_T0_EENS6_IKS7_S8_EEllS8_,@function
_ZN2at6native16triu_tril_kernelIN3c108BFloat16ElLb0ELi4ELb1EEEvNS_4cuda6detail10TensorInfoIT_T0_EENS6_IKS7_S8_EEllS8_: ; @_ZN2at6native16triu_tril_kernelIN3c108BFloat16ElLb0ELi4ELb1EEEvNS_4cuda6detail10TensorInfoIT_T0_EENS6_IKS7_S8_EEllS8_
; %bb.0:
	s_load_dword s2, s[4:5], 0x364
	s_load_dwordx4 s[8:11], s[4:5], 0x340
	s_add_u32 s0, s4, 0x358
	v_mov_b32_e32 v2, 0
	s_addc_u32 s1, s5, 0
	s_waitcnt lgkmcnt(0)
	s_and_b32 s12, s2, 0xffff
	v_mov_b32_e32 v1, v2
	v_mov_b32_e32 v3, s6
	v_mad_u64_u32 v[0:1], s[2:3], s12, v3, v[0:1]
	v_lshlrev_b64 v[0:1], 2, v[0:1]
	v_cmp_gt_i64_e32 vcc, s[10:11], v[0:1]
	s_and_saveexec_b64 s[2:3], vcc
	s_cbranch_execz .LBB46_29
; %bb.1:
	s_load_dword s13, s[0:1], 0x0
	s_load_dword s18, s[4:5], 0x338
	s_load_dwordx2 s[2:3], s[4:5], 0x350
	s_load_dwordx2 s[6:7], s[4:5], 0x0
	s_mov_b32 s48, 0
	s_waitcnt lgkmcnt(0)
	s_mul_i32 s20, s13, s12
	s_ashr_i32 s19, s18, 31
	s_add_u32 s24, s4, 0x1a8
	s_addc_u32 s25, s5, 0
	s_lshl_b64 s[0:1], s[18:19], 3
	s_add_u32 s16, s0, -16
	s_addc_u32 s17, s1, -1
	s_add_u32 s14, s24, s16
	s_addc_u32 s15, s25, s17
	v_cmp_gt_i64_e64 s[12:13], s[18:19], 2
	s_add_u32 s19, s0, -8
	s_addc_u32 s21, s1, -1
	s_add_u32 s26, s4, 0xd0
	s_addc_u32 s27, s5, 0
	s_add_u32 s4, s26, s19
	v_cvt_f32_u32_e32 v3, s2
	s_addc_u32 s5, s27, s21
	s_add_u32 s16, s26, s16
	s_addc_u32 s17, s27, s17
	s_add_i32 s0, s18, -3
	s_ashr_i32 s1, s0, 31
	v_rcp_iflag_f32_e32 v3, v3
	s_add_u32 s18, s24, s19
	s_addc_u32 s19, s25, s21
	s_lshl_b32 s33, s20, 2
	s_lshl_b64 s[22:23], s[0:1], 3
	s_add_u32 s20, s26, s22
	s_load_dwordx2 s[14:15], s[14:15], 0x0
	s_addc_u32 s21, s27, s23
	v_mul_f32_e32 v3, 0x4f7ffffe, v3
	s_add_u32 s22, s24, s22
	v_cvt_u32_f32_e32 v14, v3
	s_addc_u32 s23, s25, s23
	s_add_u32 s24, s0, 1
	s_addc_u32 s25, s1, 0
	s_mov_b64 s[26:27], 0
	s_branch .LBB46_3
.LBB46_2:                               ;   in Loop: Header=BB46_3 Depth=1
	s_or_b64 exec, exec, s[28:29]
	v_mov_b32_e32 v3, s48
	v_add_co_u32_e32 v0, vcc, s33, v0
	v_addc_co_u32_e32 v1, vcc, v1, v3, vcc
	v_cmp_le_i64_e32 vcc, s[10:11], v[0:1]
	s_or_b64 s[26:27], vcc, s[26:27]
	s_andn2_b64 exec, exec, s[26:27]
	s_cbranch_execz .LBB46_29
.LBB46_3:                               ; =>This Loop Header: Depth=1
                                        ;     Child Loop BB46_25 Depth 2
	v_or_b32_e32 v3, s3, v1
	v_cmp_ne_u64_e32 vcc, 0, v[2:3]
                                        ; implicit-def: $vgpr6_vgpr7
	s_and_saveexec_b64 s[0:1], vcc
	s_xor_b64 s[28:29], exec, s[0:1]
	s_cbranch_execz .LBB46_5
; %bb.4:                                ;   in Loop: Header=BB46_3 Depth=1
	s_ashr_i32 s30, s3, 31
	s_add_u32 s0, s2, s30
	s_mov_b32 s31, s30
	s_addc_u32 s1, s3, s30
	s_xor_b64 s[34:35], s[0:1], s[30:31]
	v_cvt_f32_u32_e32 v3, s34
	v_cvt_f32_u32_e32 v4, s35
	s_sub_u32 s0, 0, s34
	s_subb_u32 s1, 0, s35
	v_mac_f32_e32 v3, 0x4f800000, v4
	v_rcp_f32_e32 v3, v3
	v_mul_f32_e32 v3, 0x5f7ffffc, v3
	v_mul_f32_e32 v4, 0x2f800000, v3
	v_trunc_f32_e32 v4, v4
	v_mac_f32_e32 v3, 0xcf800000, v4
	v_cvt_u32_f32_e32 v4, v4
	v_cvt_u32_f32_e32 v3, v3
	v_mul_lo_u32 v5, s0, v4
	v_mul_hi_u32 v7, s0, v3
	v_mul_lo_u32 v6, s1, v3
	v_add_u32_e32 v5, v7, v5
	v_mul_lo_u32 v8, s0, v3
	v_add_u32_e32 v5, v5, v6
	v_mul_lo_u32 v7, v3, v5
	v_mul_hi_u32 v9, v3, v8
	v_mul_hi_u32 v6, v3, v5
	v_add_co_u32_e32 v7, vcc, v9, v7
	v_addc_co_u32_e32 v6, vcc, 0, v6, vcc
	v_mul_hi_u32 v10, v4, v8
	v_mul_lo_u32 v8, v4, v8
	v_add_co_u32_e32 v7, vcc, v7, v8
	v_mul_hi_u32 v9, v4, v5
	v_addc_co_u32_e32 v6, vcc, v6, v10, vcc
	v_addc_co_u32_e32 v7, vcc, 0, v9, vcc
	v_mul_lo_u32 v5, v4, v5
	v_add_co_u32_e32 v5, vcc, v6, v5
	v_addc_co_u32_e32 v6, vcc, 0, v7, vcc
	v_add_co_u32_e32 v3, vcc, v3, v5
	v_addc_co_u32_e32 v4, vcc, v4, v6, vcc
	v_mul_lo_u32 v5, s0, v4
	v_mul_hi_u32 v6, s0, v3
	v_add_u32_e32 v5, v6, v5
	v_mul_lo_u32 v6, s1, v3
	v_add_u32_e32 v5, v5, v6
	v_mul_lo_u32 v7, s0, v3
	v_mul_hi_u32 v8, v4, v7
	v_mul_lo_u32 v9, v4, v7
	v_mul_lo_u32 v11, v3, v5
	v_mul_hi_u32 v7, v3, v7
	v_mul_hi_u32 v10, v3, v5
	v_add_co_u32_e32 v7, vcc, v7, v11
	v_addc_co_u32_e32 v10, vcc, 0, v10, vcc
	v_add_co_u32_e32 v7, vcc, v7, v9
	v_mul_hi_u32 v6, v4, v5
	v_addc_co_u32_e32 v7, vcc, v10, v8, vcc
	v_addc_co_u32_e32 v6, vcc, 0, v6, vcc
	v_mul_lo_u32 v5, v4, v5
	v_add_co_u32_e32 v5, vcc, v7, v5
	v_addc_co_u32_e32 v6, vcc, 0, v6, vcc
	v_add_co_u32_e32 v3, vcc, v3, v5
	v_addc_co_u32_e32 v6, vcc, v4, v6, vcc
	v_ashrrev_i32_e32 v8, 31, v1
	v_add_co_u32_e32 v4, vcc, v0, v8
	v_addc_co_u32_e32 v5, vcc, v1, v8, vcc
	v_xor_b32_e32 v10, v4, v8
	v_xor_b32_e32 v9, v5, v8
	v_mad_u64_u32 v[4:5], s[0:1], v10, v6, 0
	v_mul_hi_u32 v7, v10, v3
	v_add_co_u32_e32 v11, vcc, v7, v4
	v_addc_co_u32_e32 v12, vcc, 0, v5, vcc
	v_mad_u64_u32 v[4:5], s[0:1], v9, v6, 0
	v_mad_u64_u32 v[6:7], s[0:1], v9, v3, 0
	v_add_co_u32_e32 v3, vcc, v11, v6
	v_addc_co_u32_e32 v3, vcc, v12, v7, vcc
	v_addc_co_u32_e32 v5, vcc, 0, v5, vcc
	v_add_co_u32_e32 v3, vcc, v3, v4
	v_addc_co_u32_e32 v6, vcc, 0, v5, vcc
	v_mul_lo_u32 v7, s35, v3
	v_mul_lo_u32 v11, s34, v6
	v_mad_u64_u32 v[4:5], s[0:1], s34, v3, 0
	v_add3_u32 v5, v5, v11, v7
	v_sub_u32_e32 v7, v9, v5
	v_mov_b32_e32 v11, s35
	v_sub_co_u32_e32 v4, vcc, v10, v4
	v_subb_co_u32_e64 v7, s[0:1], v7, v11, vcc
	v_subrev_co_u32_e64 v10, s[0:1], s34, v4
	v_subbrev_co_u32_e64 v7, s[0:1], 0, v7, s[0:1]
	v_cmp_le_u32_e64 s[0:1], s35, v7
	v_cndmask_b32_e64 v11, 0, -1, s[0:1]
	v_cmp_le_u32_e64 s[0:1], s34, v10
	v_cndmask_b32_e64 v10, 0, -1, s[0:1]
	v_cmp_eq_u32_e64 s[0:1], s35, v7
	v_cndmask_b32_e64 v7, v11, v10, s[0:1]
	v_add_co_u32_e64 v10, s[0:1], 2, v3
	v_subb_co_u32_e32 v5, vcc, v9, v5, vcc
	v_addc_co_u32_e64 v11, s[0:1], 0, v6, s[0:1]
	v_cmp_le_u32_e32 vcc, s35, v5
	v_add_co_u32_e64 v12, s[0:1], 1, v3
	v_cndmask_b32_e64 v9, 0, -1, vcc
	v_cmp_le_u32_e32 vcc, s34, v4
	v_addc_co_u32_e64 v13, s[0:1], 0, v6, s[0:1]
	v_cndmask_b32_e64 v4, 0, -1, vcc
	v_cmp_eq_u32_e32 vcc, s35, v5
	v_cmp_ne_u32_e64 s[0:1], 0, v7
	v_cndmask_b32_e32 v4, v9, v4, vcc
	v_cmp_ne_u32_e32 vcc, 0, v4
	v_cndmask_b32_e64 v5, v12, v10, s[0:1]
	v_cndmask_b32_e64 v7, v13, v11, s[0:1]
	v_cndmask_b32_e32 v3, v3, v5, vcc
	v_xor_b32_e32 v5, s30, v8
	v_cndmask_b32_e32 v4, v6, v7, vcc
	v_xor_b32_e32 v3, v3, v5
	v_xor_b32_e32 v4, v4, v5
	v_sub_co_u32_e32 v6, vcc, v3, v5
	v_subb_co_u32_e32 v7, vcc, v4, v5, vcc
.LBB46_5:                               ;   in Loop: Header=BB46_3 Depth=1
	s_andn2_saveexec_b64 s[0:1], s[28:29]
	s_cbranch_execz .LBB46_7
; %bb.6:                                ;   in Loop: Header=BB46_3 Depth=1
	s_sub_i32 s28, 0, s2
	v_mul_lo_u32 v3, s28, v14
	v_mul_hi_u32 v3, v14, v3
	v_add_u32_e32 v3, v14, v3
	v_mul_hi_u32 v3, v0, v3
	v_mul_lo_u32 v4, v3, s2
	v_sub_u32_e32 v4, v0, v4
	v_subrev_u32_e32 v5, s2, v4
	v_cmp_le_u32_e32 vcc, s2, v4
	v_cndmask_b32_e32 v4, v4, v5, vcc
	v_add_u32_e32 v5, 1, v3
	v_cndmask_b32_e32 v3, v3, v5, vcc
	v_add_u32_e32 v5, 1, v3
	v_cmp_le_u32_e32 vcc, s2, v4
	v_cndmask_b32_e32 v6, v3, v5, vcc
	v_mov_b32_e32 v7, v2
.LBB46_7:                               ;   in Loop: Header=BB46_3 Depth=1
	s_or_b64 exec, exec, s[0:1]
	s_waitcnt lgkmcnt(0)
	v_or_b32_e32 v3, s15, v7
	v_cmp_ne_u64_e32 vcc, 0, v[2:3]
                                        ; implicit-def: $vgpr8_vgpr9
	s_and_saveexec_b64 s[0:1], vcc
	s_xor_b64 s[28:29], exec, s[0:1]
	s_cbranch_execz .LBB46_9
; %bb.8:                                ;   in Loop: Header=BB46_3 Depth=1
	s_ashr_i32 s30, s15, 31
	s_add_u32 s0, s14, s30
	s_mov_b32 s31, s30
	s_addc_u32 s1, s15, s30
	s_xor_b64 s[34:35], s[0:1], s[30:31]
	v_cvt_f32_u32_e32 v3, s34
	v_cvt_f32_u32_e32 v4, s35
	s_sub_u32 s0, 0, s34
	s_subb_u32 s1, 0, s35
	v_mac_f32_e32 v3, 0x4f800000, v4
	v_rcp_f32_e32 v3, v3
	v_mul_f32_e32 v3, 0x5f7ffffc, v3
	v_mul_f32_e32 v4, 0x2f800000, v3
	v_trunc_f32_e32 v4, v4
	v_mac_f32_e32 v3, 0xcf800000, v4
	v_cvt_u32_f32_e32 v4, v4
	v_cvt_u32_f32_e32 v3, v3
	v_mul_lo_u32 v5, s0, v4
	v_mul_hi_u32 v9, s0, v3
	v_mul_lo_u32 v8, s1, v3
	v_add_u32_e32 v5, v9, v5
	v_mul_lo_u32 v10, s0, v3
	v_add_u32_e32 v5, v5, v8
	v_mul_lo_u32 v9, v3, v5
	v_mul_hi_u32 v11, v3, v10
	v_mul_hi_u32 v8, v3, v5
	v_add_co_u32_e32 v9, vcc, v11, v9
	v_addc_co_u32_e32 v8, vcc, 0, v8, vcc
	v_mul_hi_u32 v12, v4, v10
	v_mul_lo_u32 v10, v4, v10
	v_add_co_u32_e32 v9, vcc, v9, v10
	v_mul_hi_u32 v11, v4, v5
	v_addc_co_u32_e32 v8, vcc, v8, v12, vcc
	v_addc_co_u32_e32 v9, vcc, 0, v11, vcc
	v_mul_lo_u32 v5, v4, v5
	v_add_co_u32_e32 v5, vcc, v8, v5
	v_addc_co_u32_e32 v8, vcc, 0, v9, vcc
	v_add_co_u32_e32 v3, vcc, v3, v5
	v_addc_co_u32_e32 v4, vcc, v4, v8, vcc
	v_mul_lo_u32 v5, s0, v4
	v_mul_hi_u32 v8, s0, v3
	v_add_u32_e32 v5, v8, v5
	v_mul_lo_u32 v8, s1, v3
	v_add_u32_e32 v5, v5, v8
	v_mul_lo_u32 v9, s0, v3
	v_mul_hi_u32 v10, v4, v9
	v_mul_lo_u32 v11, v4, v9
	v_mul_lo_u32 v13, v3, v5
	v_mul_hi_u32 v9, v3, v9
	v_mul_hi_u32 v12, v3, v5
	v_add_co_u32_e32 v9, vcc, v9, v13
	v_addc_co_u32_e32 v12, vcc, 0, v12, vcc
	v_add_co_u32_e32 v9, vcc, v9, v11
	v_mul_hi_u32 v8, v4, v5
	v_addc_co_u32_e32 v9, vcc, v12, v10, vcc
	v_addc_co_u32_e32 v8, vcc, 0, v8, vcc
	v_mul_lo_u32 v5, v4, v5
	v_add_co_u32_e32 v5, vcc, v9, v5
	v_addc_co_u32_e32 v8, vcc, 0, v8, vcc
	v_add_co_u32_e32 v3, vcc, v3, v5
	v_addc_co_u32_e32 v8, vcc, v4, v8, vcc
	v_ashrrev_i32_e32 v10, 31, v7
	v_add_co_u32_e32 v4, vcc, v6, v10
	v_addc_co_u32_e32 v5, vcc, v7, v10, vcc
	v_xor_b32_e32 v12, v4, v10
	v_xor_b32_e32 v11, v5, v10
	v_mad_u64_u32 v[4:5], s[0:1], v12, v8, 0
	v_mul_hi_u32 v9, v12, v3
	v_add_co_u32_e32 v13, vcc, v9, v4
	v_addc_co_u32_e32 v15, vcc, 0, v5, vcc
	v_mad_u64_u32 v[4:5], s[0:1], v11, v8, 0
	v_mad_u64_u32 v[8:9], s[0:1], v11, v3, 0
	v_add_co_u32_e32 v3, vcc, v13, v8
	v_addc_co_u32_e32 v3, vcc, v15, v9, vcc
	v_addc_co_u32_e32 v5, vcc, 0, v5, vcc
	v_add_co_u32_e32 v3, vcc, v3, v4
	v_addc_co_u32_e32 v8, vcc, 0, v5, vcc
	v_mul_lo_u32 v9, s35, v3
	v_mul_lo_u32 v13, s34, v8
	v_mad_u64_u32 v[4:5], s[0:1], s34, v3, 0
	v_add3_u32 v5, v5, v13, v9
	v_sub_u32_e32 v9, v11, v5
	v_mov_b32_e32 v13, s35
	v_sub_co_u32_e32 v4, vcc, v12, v4
	v_subb_co_u32_e64 v9, s[0:1], v9, v13, vcc
	v_subrev_co_u32_e64 v12, s[0:1], s34, v4
	v_subbrev_co_u32_e64 v9, s[0:1], 0, v9, s[0:1]
	v_cmp_le_u32_e64 s[0:1], s35, v9
	v_cndmask_b32_e64 v13, 0, -1, s[0:1]
	v_cmp_le_u32_e64 s[0:1], s34, v12
	v_cndmask_b32_e64 v12, 0, -1, s[0:1]
	v_cmp_eq_u32_e64 s[0:1], s35, v9
	v_cndmask_b32_e64 v9, v13, v12, s[0:1]
	v_add_co_u32_e64 v12, s[0:1], 2, v3
	v_subb_co_u32_e32 v5, vcc, v11, v5, vcc
	v_addc_co_u32_e64 v13, s[0:1], 0, v8, s[0:1]
	v_cmp_le_u32_e32 vcc, s35, v5
	v_add_co_u32_e64 v15, s[0:1], 1, v3
	v_cndmask_b32_e64 v11, 0, -1, vcc
	v_cmp_le_u32_e32 vcc, s34, v4
	v_addc_co_u32_e64 v16, s[0:1], 0, v8, s[0:1]
	v_cndmask_b32_e64 v4, 0, -1, vcc
	v_cmp_eq_u32_e32 vcc, s35, v5
	v_cmp_ne_u32_e64 s[0:1], 0, v9
	v_cndmask_b32_e32 v4, v11, v4, vcc
	v_cmp_ne_u32_e32 vcc, 0, v4
	v_cndmask_b32_e64 v5, v15, v12, s[0:1]
	v_cndmask_b32_e64 v9, v16, v13, s[0:1]
	v_cndmask_b32_e32 v3, v3, v5, vcc
	v_xor_b32_e32 v5, s30, v10
	v_cndmask_b32_e32 v4, v8, v9, vcc
	v_xor_b32_e32 v3, v3, v5
	v_xor_b32_e32 v4, v4, v5
	v_sub_co_u32_e32 v8, vcc, v3, v5
	v_subb_co_u32_e32 v9, vcc, v4, v5, vcc
.LBB46_9:                               ;   in Loop: Header=BB46_3 Depth=1
	s_andn2_saveexec_b64 s[0:1], s[28:29]
	s_cbranch_execz .LBB46_11
; %bb.10:                               ;   in Loop: Header=BB46_3 Depth=1
	v_cvt_f32_u32_e32 v3, s14
	s_sub_i32 s28, 0, s14
	v_mov_b32_e32 v9, v2
	v_rcp_iflag_f32_e32 v3, v3
	v_mul_f32_e32 v3, 0x4f7ffffe, v3
	v_cvt_u32_f32_e32 v3, v3
	v_mul_lo_u32 v4, s28, v3
	v_mul_hi_u32 v4, v3, v4
	v_add_u32_e32 v3, v3, v4
	v_mul_hi_u32 v3, v6, v3
	v_mul_lo_u32 v4, v3, s14
	v_sub_u32_e32 v4, v6, v4
	v_add_u32_e32 v5, 1, v3
	v_subrev_u32_e32 v8, s14, v4
	v_cmp_le_u32_e32 vcc, s14, v4
	v_cndmask_b32_e32 v4, v4, v8, vcc
	v_cndmask_b32_e32 v3, v3, v5, vcc
	v_add_u32_e32 v5, 1, v3
	v_cmp_le_u32_e32 vcc, s14, v4
	v_cndmask_b32_e32 v8, v3, v5, vcc
.LBB46_11:                              ;   in Loop: Header=BB46_3 Depth=1
	s_or_b64 exec, exec, s[0:1]
	v_mul_lo_u32 v3, v7, s2
	v_mul_lo_u32 v10, v6, s3
	v_mad_u64_u32 v[4:5], s[0:1], v6, s2, 0
	v_add3_u32 v3, v5, v10, v3
	v_sub_co_u32_e32 v4, vcc, v0, v4
	v_subb_co_u32_e32 v5, vcc, v1, v3, vcc
	v_mul_lo_u32 v3, v9, s14
	v_mul_lo_u32 v12, v8, s15
	v_mad_u64_u32 v[10:11], s[0:1], v8, s14, 0
	v_add3_u32 v3, v11, v12, v3
	v_sub_co_u32_e32 v15, vcc, v6, v10
	v_subb_co_u32_e32 v16, vcc, v7, v3, vcc
	v_sub_co_u32_e32 v6, vcc, v4, v15
	v_subb_co_u32_e32 v7, vcc, v5, v16, vcc
	v_add_co_u32_e32 v10, vcc, 4, v6
	v_addc_co_u32_e32 v11, vcc, 0, v7, vcc
	v_cmp_lt_i64_e32 vcc, s[8:9], v[10:11]
	s_and_saveexec_b64 s[28:29], vcc
	s_cbranch_execz .LBB46_2
; %bb.12:                               ;   in Loop: Header=BB46_3 Depth=1
	s_load_dwordx2 s[30:31], s[4:5], 0x0
	s_load_dwordx2 s[0:1], s[16:17], 0x0
	s_and_b64 vcc, exec, s[12:13]
	s_mov_b64 s[36:37], s[22:23]
	s_mov_b64 s[38:39], s[20:21]
	s_waitcnt lgkmcnt(0)
	v_mul_lo_u32 v3, s31, v4
	v_mul_lo_u32 v12, s30, v5
	v_mad_u64_u32 v[10:11], s[34:35], s30, v4, 0
	v_add3_u32 v11, v11, v12, v3
	v_mad_u64_u32 v[10:11], s[34:35], s0, v15, v[10:11]
	v_mul_lo_u32 v3, s0, v16
	v_mul_lo_u32 v12, s1, v15
	v_add3_u32 v11, v12, v11, v3
	s_mov_b64 s[34:35], s[24:25]
	s_cbranch_vccnz .LBB46_25
.LBB46_13:                              ;   in Loop: Header=BB46_3 Depth=1
	s_load_dwordx2 s[0:1], s[18:19], 0x0
	s_waitcnt lgkmcnt(0)
	v_cmp_gt_i64_e32 vcc, s[0:1], v[4:5]
	s_and_b64 exec, exec, vcc
	s_cbranch_execz .LBB46_2
; %bb.14:                               ;   in Loop: Header=BB46_3 Depth=1
	v_lshlrev_b64 v[8:9], 1, v[10:11]
	v_mov_b32_e32 v3, s7
	v_add_co_u32_e32 v8, vcc, s6, v8
	v_addc_co_u32_e32 v9, vcc, v3, v9, vcc
	v_cmp_lt_i64_e32 vcc, s[8:9], v[6:7]
	s_and_saveexec_b64 s[34:35], vcc
	s_cbranch_execz .LBB46_16
; %bb.15:                               ;   in Loop: Header=BB46_3 Depth=1
	global_store_short v[8:9], v2, off
.LBB46_16:                              ;   in Loop: Header=BB46_3 Depth=1
	s_or_b64 exec, exec, s[34:35]
	v_add_co_u32_e32 v6, vcc, 1, v4
	v_addc_co_u32_e32 v7, vcc, 0, v5, vcc
	v_cmp_gt_i64_e32 vcc, s[0:1], v[6:7]
	s_and_b64 exec, exec, vcc
	s_cbranch_execz .LBB46_2
; %bb.17:                               ;   in Loop: Header=BB46_3 Depth=1
	v_sub_co_u32_e32 v6, vcc, v6, v15
	v_subb_co_u32_e32 v7, vcc, v7, v16, vcc
	v_cmp_lt_i64_e32 vcc, s[8:9], v[6:7]
	s_and_saveexec_b64 s[34:35], vcc
	s_cbranch_execz .LBB46_19
; %bb.18:                               ;   in Loop: Header=BB46_3 Depth=1
	s_lshl_b64 s[36:37], s[30:31], 1
	v_mov_b32_e32 v3, s37
	v_add_co_u32_e32 v6, vcc, s36, v8
	v_addc_co_u32_e32 v7, vcc, v9, v3, vcc
	global_store_short v[6:7], v2, off
.LBB46_19:                              ;   in Loop: Header=BB46_3 Depth=1
	s_or_b64 exec, exec, s[34:35]
	v_add_co_u32_e32 v6, vcc, 2, v4
	v_addc_co_u32_e32 v7, vcc, 0, v5, vcc
	v_cmp_gt_i64_e32 vcc, s[0:1], v[6:7]
	s_and_b64 exec, exec, vcc
	s_cbranch_execz .LBB46_2
; %bb.20:                               ;   in Loop: Header=BB46_3 Depth=1
	v_sub_co_u32_e32 v6, vcc, v6, v15
	v_subb_co_u32_e32 v7, vcc, v7, v16, vcc
	v_cmp_lt_i64_e32 vcc, s[8:9], v[6:7]
	s_and_saveexec_b64 s[34:35], vcc
	s_cbranch_execz .LBB46_22
; %bb.21:                               ;   in Loop: Header=BB46_3 Depth=1
	s_lshl_b64 s[36:37], s[30:31], 2
	v_mov_b32_e32 v3, s37
	v_add_co_u32_e32 v6, vcc, s36, v8
	v_addc_co_u32_e32 v7, vcc, v9, v3, vcc
	global_store_short v[6:7], v2, off
.LBB46_22:                              ;   in Loop: Header=BB46_3 Depth=1
	s_or_b64 exec, exec, s[34:35]
	v_add_co_u32_e32 v4, vcc, 3, v4
	v_addc_co_u32_e32 v5, vcc, 0, v5, vcc
	v_cmp_gt_i64_e32 vcc, s[0:1], v[4:5]
	v_sub_co_u32_e64 v4, s[0:1], v4, v15
	v_subb_co_u32_e64 v5, s[0:1], v5, v16, s[0:1]
	v_cmp_lt_i64_e64 s[0:1], s[8:9], v[4:5]
	s_and_b64 s[0:1], vcc, s[0:1]
	s_and_b64 exec, exec, s[0:1]
	s_cbranch_execz .LBB46_2
; %bb.23:                               ;   in Loop: Header=BB46_3 Depth=1
	v_mad_u64_u32 v[4:5], s[0:1], s30, 6, v[8:9]
	v_mov_b32_e32 v6, v5
	v_mad_u64_u32 v[6:7], s[0:1], s31, 6, v[6:7]
	v_mov_b32_e32 v5, v6
	global_store_short v[4:5], v2, off
	s_branch .LBB46_2
.LBB46_24:                              ;   in Loop: Header=BB46_25 Depth=2
	s_or_b64 exec, exec, s[0:1]
	v_mad_u64_u32 v[18:19], s[0:1], v12, s40, 0
	s_load_dwordx2 s[0:1], s[38:39], 0x0
	s_add_u32 s38, s38, -8
	s_addc_u32 s39, s39, -1
	v_mul_lo_u32 v3, v13, s40
	v_mul_lo_u32 v17, v12, s41
	s_add_u32 s36, s36, -8
	v_add3_u32 v3, v19, v17, v3
	v_sub_co_u32_e32 v8, vcc, v8, v18
	s_addc_u32 s37, s37, -1
	v_subb_co_u32_e32 v3, vcc, v9, v3, vcc
	s_add_u32 s34, s34, -1
	s_waitcnt lgkmcnt(0)
	v_mul_lo_u32 v3, s0, v3
	v_mul_lo_u32 v9, s1, v8
	v_mad_u64_u32 v[10:11], s[0:1], s0, v8, v[10:11]
	s_addc_u32 s35, s35, -1
	v_cmp_lt_i64_e64 s[0:1], s[34:35], 1
	v_add3_u32 v11, v9, v11, v3
	s_and_b64 vcc, exec, s[0:1]
	v_pk_mov_b32 v[8:9], v[12:13], v[12:13] op_sel:[0,1]
	s_cbranch_vccnz .LBB46_13
.LBB46_25:                              ;   Parent Loop BB46_3 Depth=1
                                        ; =>  This Inner Loop Header: Depth=2
	s_load_dwordx2 s[40:41], s[36:37], 0x0
                                        ; implicit-def: $vgpr12_vgpr13
	s_waitcnt lgkmcnt(0)
	v_or_b32_e32 v3, s41, v9
	v_cmp_ne_u64_e32 vcc, 0, v[2:3]
	s_and_saveexec_b64 s[0:1], vcc
	s_xor_b64 s[42:43], exec, s[0:1]
	s_cbranch_execz .LBB46_27
; %bb.26:                               ;   in Loop: Header=BB46_25 Depth=2
	s_ashr_i32 s44, s41, 31
	s_add_u32 s0, s40, s44
	s_mov_b32 s45, s44
	s_addc_u32 s1, s41, s44
	s_xor_b64 s[46:47], s[0:1], s[44:45]
	v_cvt_f32_u32_e32 v3, s46
	v_cvt_f32_u32_e32 v12, s47
	s_sub_u32 s0, 0, s46
	s_subb_u32 s1, 0, s47
	v_mac_f32_e32 v3, 0x4f800000, v12
	v_rcp_f32_e32 v3, v3
	v_mul_f32_e32 v3, 0x5f7ffffc, v3
	v_mul_f32_e32 v12, 0x2f800000, v3
	v_trunc_f32_e32 v12, v12
	v_mac_f32_e32 v3, 0xcf800000, v12
	v_cvt_u32_f32_e32 v12, v12
	v_cvt_u32_f32_e32 v3, v3
	v_mul_lo_u32 v13, s0, v12
	v_mul_hi_u32 v18, s0, v3
	v_mul_lo_u32 v17, s1, v3
	v_add_u32_e32 v13, v18, v13
	v_mul_lo_u32 v19, s0, v3
	v_add_u32_e32 v13, v13, v17
	v_mul_lo_u32 v18, v3, v13
	v_mul_hi_u32 v20, v3, v19
	v_mul_hi_u32 v17, v3, v13
	v_add_co_u32_e32 v18, vcc, v20, v18
	v_addc_co_u32_e32 v17, vcc, 0, v17, vcc
	v_mul_hi_u32 v21, v12, v19
	v_mul_lo_u32 v19, v12, v19
	v_add_co_u32_e32 v18, vcc, v18, v19
	v_mul_hi_u32 v20, v12, v13
	v_addc_co_u32_e32 v17, vcc, v17, v21, vcc
	v_addc_co_u32_e32 v18, vcc, 0, v20, vcc
	v_mul_lo_u32 v13, v12, v13
	v_add_co_u32_e32 v13, vcc, v17, v13
	v_addc_co_u32_e32 v17, vcc, 0, v18, vcc
	v_add_co_u32_e32 v3, vcc, v3, v13
	v_addc_co_u32_e32 v12, vcc, v12, v17, vcc
	v_mul_lo_u32 v13, s0, v12
	v_mul_hi_u32 v17, s0, v3
	v_add_u32_e32 v13, v17, v13
	v_mul_lo_u32 v17, s1, v3
	v_add_u32_e32 v13, v13, v17
	v_mul_lo_u32 v18, s0, v3
	v_mul_hi_u32 v19, v12, v18
	v_mul_lo_u32 v20, v12, v18
	v_mul_lo_u32 v22, v3, v13
	v_mul_hi_u32 v18, v3, v18
	v_mul_hi_u32 v21, v3, v13
	v_add_co_u32_e32 v18, vcc, v18, v22
	v_addc_co_u32_e32 v21, vcc, 0, v21, vcc
	v_add_co_u32_e32 v18, vcc, v18, v20
	v_mul_hi_u32 v17, v12, v13
	v_addc_co_u32_e32 v18, vcc, v21, v19, vcc
	v_addc_co_u32_e32 v17, vcc, 0, v17, vcc
	v_mul_lo_u32 v13, v12, v13
	v_add_co_u32_e32 v13, vcc, v18, v13
	v_addc_co_u32_e32 v17, vcc, 0, v17, vcc
	v_add_co_u32_e32 v3, vcc, v3, v13
	v_addc_co_u32_e32 v17, vcc, v12, v17, vcc
	v_ashrrev_i32_e32 v20, 31, v9
	v_add_co_u32_e32 v12, vcc, v8, v20
	v_addc_co_u32_e32 v13, vcc, v9, v20, vcc
	v_xor_b32_e32 v22, v12, v20
	v_xor_b32_e32 v21, v13, v20
	v_mad_u64_u32 v[12:13], s[0:1], v22, v17, 0
	v_mul_hi_u32 v18, v22, v3
	v_add_co_u32_e32 v23, vcc, v18, v12
	v_addc_co_u32_e32 v24, vcc, 0, v13, vcc
	v_mad_u64_u32 v[18:19], s[0:1], v21, v3, 0
	v_add_co_u32_e32 v3, vcc, v23, v18
	v_mad_u64_u32 v[12:13], s[0:1], v21, v17, 0
	v_addc_co_u32_e32 v3, vcc, v24, v19, vcc
	v_addc_co_u32_e32 v13, vcc, 0, v13, vcc
	v_add_co_u32_e32 v3, vcc, v3, v12
	v_addc_co_u32_e32 v17, vcc, 0, v13, vcc
	v_mul_lo_u32 v18, s47, v3
	v_mul_lo_u32 v19, s46, v17
	v_mad_u64_u32 v[12:13], s[0:1], s46, v3, 0
	v_add3_u32 v13, v13, v19, v18
	v_sub_u32_e32 v18, v21, v13
	v_mov_b32_e32 v19, s47
	v_sub_co_u32_e32 v12, vcc, v22, v12
	v_subb_co_u32_e64 v18, s[0:1], v18, v19, vcc
	v_subrev_co_u32_e64 v19, s[0:1], s46, v12
	v_subbrev_co_u32_e64 v18, s[0:1], 0, v18, s[0:1]
	v_cmp_le_u32_e64 s[0:1], s47, v18
	v_cndmask_b32_e64 v22, 0, -1, s[0:1]
	v_cmp_le_u32_e64 s[0:1], s46, v19
	v_cndmask_b32_e64 v19, 0, -1, s[0:1]
	v_cmp_eq_u32_e64 s[0:1], s47, v18
	v_cndmask_b32_e64 v18, v22, v19, s[0:1]
	v_add_co_u32_e64 v19, s[0:1], 2, v3
	v_subb_co_u32_e32 v13, vcc, v21, v13, vcc
	v_addc_co_u32_e64 v22, s[0:1], 0, v17, s[0:1]
	v_cmp_le_u32_e32 vcc, s47, v13
	v_add_co_u32_e64 v23, s[0:1], 1, v3
	v_cndmask_b32_e64 v21, 0, -1, vcc
	v_cmp_le_u32_e32 vcc, s46, v12
	v_addc_co_u32_e64 v24, s[0:1], 0, v17, s[0:1]
	v_cndmask_b32_e64 v12, 0, -1, vcc
	v_cmp_eq_u32_e32 vcc, s47, v13
	v_cmp_ne_u32_e64 s[0:1], 0, v18
	v_cndmask_b32_e32 v12, v21, v12, vcc
	v_cmp_ne_u32_e32 vcc, 0, v12
	v_cndmask_b32_e64 v13, v23, v19, s[0:1]
	v_cndmask_b32_e64 v18, v24, v22, s[0:1]
	v_cndmask_b32_e32 v3, v3, v13, vcc
	v_xor_b32_e32 v13, s44, v20
	v_cndmask_b32_e32 v12, v17, v18, vcc
	v_xor_b32_e32 v3, v3, v13
	v_xor_b32_e32 v17, v12, v13
	v_sub_co_u32_e32 v12, vcc, v3, v13
	v_subb_co_u32_e32 v13, vcc, v17, v13, vcc
.LBB46_27:                              ;   in Loop: Header=BB46_25 Depth=2
	s_andn2_saveexec_b64 s[0:1], s[42:43]
	s_cbranch_execz .LBB46_24
; %bb.28:                               ;   in Loop: Header=BB46_25 Depth=2
	v_cvt_f32_u32_e32 v3, s40
	s_sub_i32 s42, 0, s40
	v_rcp_iflag_f32_e32 v3, v3
	v_mul_f32_e32 v3, 0x4f7ffffe, v3
	v_cvt_u32_f32_e32 v3, v3
	v_mul_lo_u32 v12, s42, v3
	v_mul_hi_u32 v12, v3, v12
	v_add_u32_e32 v3, v3, v12
	v_mul_hi_u32 v3, v8, v3
	v_mul_lo_u32 v12, v3, s40
	v_sub_u32_e32 v12, v8, v12
	v_add_u32_e32 v13, 1, v3
	v_subrev_u32_e32 v17, s40, v12
	v_cmp_le_u32_e32 vcc, s40, v12
	v_cndmask_b32_e32 v12, v12, v17, vcc
	v_cndmask_b32_e32 v3, v3, v13, vcc
	v_add_u32_e32 v13, 1, v3
	v_cmp_le_u32_e32 vcc, s40, v12
	v_cndmask_b32_e32 v12, v3, v13, vcc
	v_mov_b32_e32 v13, v2
	s_branch .LBB46_24
.LBB46_29:
	s_endpgm
	.section	.rodata,"a",@progbits
	.p2align	6, 0x0
	.amdhsa_kernel _ZN2at6native16triu_tril_kernelIN3c108BFloat16ElLb0ELi4ELb1EEEvNS_4cuda6detail10TensorInfoIT_T0_EENS6_IKS7_S8_EEllS8_
		.amdhsa_group_segment_fixed_size 0
		.amdhsa_private_segment_fixed_size 0
		.amdhsa_kernarg_size 1112
		.amdhsa_user_sgpr_count 6
		.amdhsa_user_sgpr_private_segment_buffer 1
		.amdhsa_user_sgpr_dispatch_ptr 0
		.amdhsa_user_sgpr_queue_ptr 0
		.amdhsa_user_sgpr_kernarg_segment_ptr 1
		.amdhsa_user_sgpr_dispatch_id 0
		.amdhsa_user_sgpr_flat_scratch_init 0
		.amdhsa_user_sgpr_kernarg_preload_length 0
		.amdhsa_user_sgpr_kernarg_preload_offset 0
		.amdhsa_user_sgpr_private_segment_size 0
		.amdhsa_uses_dynamic_stack 0
		.amdhsa_system_sgpr_private_segment_wavefront_offset 0
		.amdhsa_system_sgpr_workgroup_id_x 1
		.amdhsa_system_sgpr_workgroup_id_y 0
		.amdhsa_system_sgpr_workgroup_id_z 0
		.amdhsa_system_sgpr_workgroup_info 0
		.amdhsa_system_vgpr_workitem_id 0
		.amdhsa_next_free_vgpr 25
		.amdhsa_next_free_sgpr 49
		.amdhsa_accum_offset 28
		.amdhsa_reserve_vcc 1
		.amdhsa_reserve_flat_scratch 0
		.amdhsa_float_round_mode_32 0
		.amdhsa_float_round_mode_16_64 0
		.amdhsa_float_denorm_mode_32 3
		.amdhsa_float_denorm_mode_16_64 3
		.amdhsa_dx10_clamp 1
		.amdhsa_ieee_mode 1
		.amdhsa_fp16_overflow 0
		.amdhsa_tg_split 0
		.amdhsa_exception_fp_ieee_invalid_op 0
		.amdhsa_exception_fp_denorm_src 0
		.amdhsa_exception_fp_ieee_div_zero 0
		.amdhsa_exception_fp_ieee_overflow 0
		.amdhsa_exception_fp_ieee_underflow 0
		.amdhsa_exception_fp_ieee_inexact 0
		.amdhsa_exception_int_div_zero 0
	.end_amdhsa_kernel
	.section	.text._ZN2at6native16triu_tril_kernelIN3c108BFloat16ElLb0ELi4ELb1EEEvNS_4cuda6detail10TensorInfoIT_T0_EENS6_IKS7_S8_EEllS8_,"axG",@progbits,_ZN2at6native16triu_tril_kernelIN3c108BFloat16ElLb0ELi4ELb1EEEvNS_4cuda6detail10TensorInfoIT_T0_EENS6_IKS7_S8_EEllS8_,comdat
.Lfunc_end46:
	.size	_ZN2at6native16triu_tril_kernelIN3c108BFloat16ElLb0ELi4ELb1EEEvNS_4cuda6detail10TensorInfoIT_T0_EENS6_IKS7_S8_EEllS8_, .Lfunc_end46-_ZN2at6native16triu_tril_kernelIN3c108BFloat16ElLb0ELi4ELb1EEEvNS_4cuda6detail10TensorInfoIT_T0_EENS6_IKS7_S8_EEllS8_
                                        ; -- End function
	.section	.AMDGPU.csdata,"",@progbits
; Kernel info:
; codeLenInByte = 3356
; NumSgprs: 53
; NumVgprs: 25
; NumAgprs: 0
; TotalNumVgprs: 25
; ScratchSize: 0
; MemoryBound: 0
; FloatMode: 240
; IeeeMode: 1
; LDSByteSize: 0 bytes/workgroup (compile time only)
; SGPRBlocks: 6
; VGPRBlocks: 3
; NumSGPRsForWavesPerEU: 53
; NumVGPRsForWavesPerEU: 25
; AccumOffset: 28
; Occupancy: 8
; WaveLimiterHint : 0
; COMPUTE_PGM_RSRC2:SCRATCH_EN: 0
; COMPUTE_PGM_RSRC2:USER_SGPR: 6
; COMPUTE_PGM_RSRC2:TRAP_HANDLER: 0
; COMPUTE_PGM_RSRC2:TGID_X_EN: 1
; COMPUTE_PGM_RSRC2:TGID_Y_EN: 0
; COMPUTE_PGM_RSRC2:TGID_Z_EN: 0
; COMPUTE_PGM_RSRC2:TIDIG_COMP_CNT: 0
; COMPUTE_PGM_RSRC3_GFX90A:ACCUM_OFFSET: 6
; COMPUTE_PGM_RSRC3_GFX90A:TG_SPLIT: 0
	.section	.text._ZN2at6native16triu_tril_kernelIN3c108BFloat16ElLb0ELi4ELb0EEEvNS_4cuda6detail10TensorInfoIT_T0_EENS6_IKS7_S8_EEllS8_,"axG",@progbits,_ZN2at6native16triu_tril_kernelIN3c108BFloat16ElLb0ELi4ELb0EEEvNS_4cuda6detail10TensorInfoIT_T0_EENS6_IKS7_S8_EEllS8_,comdat
	.protected	_ZN2at6native16triu_tril_kernelIN3c108BFloat16ElLb0ELi4ELb0EEEvNS_4cuda6detail10TensorInfoIT_T0_EENS6_IKS7_S8_EEllS8_ ; -- Begin function _ZN2at6native16triu_tril_kernelIN3c108BFloat16ElLb0ELi4ELb0EEEvNS_4cuda6detail10TensorInfoIT_T0_EENS6_IKS7_S8_EEllS8_
	.globl	_ZN2at6native16triu_tril_kernelIN3c108BFloat16ElLb0ELi4ELb0EEEvNS_4cuda6detail10TensorInfoIT_T0_EENS6_IKS7_S8_EEllS8_
	.p2align	8
	.type	_ZN2at6native16triu_tril_kernelIN3c108BFloat16ElLb0ELi4ELb0EEEvNS_4cuda6detail10TensorInfoIT_T0_EENS6_IKS7_S8_EEllS8_,@function
_ZN2at6native16triu_tril_kernelIN3c108BFloat16ElLb0ELi4ELb0EEEvNS_4cuda6detail10TensorInfoIT_T0_EENS6_IKS7_S8_EEllS8_: ; @_ZN2at6native16triu_tril_kernelIN3c108BFloat16ElLb0ELi4ELb0EEEvNS_4cuda6detail10TensorInfoIT_T0_EENS6_IKS7_S8_EEllS8_
; %bb.0:
	s_load_dword s2, s[4:5], 0x364
	s_load_dwordx4 s[8:11], s[4:5], 0x340
	s_add_u32 s0, s4, 0x358
	v_mov_b32_e32 v2, 0
	s_addc_u32 s1, s5, 0
	s_waitcnt lgkmcnt(0)
	s_and_b32 s7, s2, 0xffff
	v_mov_b32_e32 v1, v2
	v_mov_b32_e32 v3, s6
	v_mad_u64_u32 v[0:1], s[2:3], s7, v3, v[0:1]
	v_lshlrev_b64 v[0:1], 2, v[0:1]
	v_cmp_gt_i64_e32 vcc, s[10:11], v[0:1]
	s_and_saveexec_b64 s[2:3], vcc
	s_cbranch_execz .LBB47_32
; %bb.1:
	s_load_dword s6, s[0:1], 0x0
	s_load_dwordx2 s[2:3], s[4:5], 0x350
	s_load_dword s26, s[4:5], 0x338
	s_add_u32 s12, s4, 0x1a0
	s_addc_u32 s13, s5, 0
	s_waitcnt lgkmcnt(0)
	s_mul_i32 s28, s6, s7
	v_cvt_f32_u32_e32 v3, s2
	s_ashr_i32 s27, s26, 31
	s_add_u32 s36, s4, 0x1a8
	s_addc_u32 s37, s5, 0
	s_lshl_b64 s[0:1], s[26:27], 3
	s_add_u32 s22, s0, -16
	s_addc_u32 s23, s1, -1
	s_add_u32 s0, s36, s22
	s_addc_u32 s1, s37, s23
	s_add_u32 s20, s12, s22
	s_addc_u32 s21, s13, s23
	;; [unrolled: 2-line block ×3, first 2 shown]
	s_load_dwordx4 s[12:15], s[0:1], 0x0
	s_load_dwordx4 s[16:19], s[20:21], 0xd0
	s_add_u32 s0, s30, s22
	s_addc_u32 s1, s31, s23
	s_load_dwordx4 s[20:23], s[0:1], 0x0
	s_load_dwordx2 s[6:7], s[4:5], 0x1a0
	v_rcp_iflag_f32_e32 v3, v3
	s_load_dwordx2 s[4:5], s[4:5], 0x0
	s_add_i32 s0, s26, -3
	s_ashr_i32 s1, s0, 31
	s_lshl_b32 s33, s28, 2
	s_waitcnt lgkmcnt(0)
	s_mul_i32 s28, s19, 6
	s_mul_hi_u32 s29, s18, 6
	s_mul_i32 s34, s23, 6
	s_mul_hi_u32 s35, s22, 6
	v_cmp_gt_i64_e64 s[24:25], s[26:27], 2
	s_lshl_b64 s[26:27], s[18:19], 2
	s_add_i32 s55, s29, s28
	s_lshl_b64 s[28:29], s[22:23], 2
	s_add_i32 s57, s35, s34
	s_lshl_b64 s[34:35], s[0:1], 3
	s_add_u32 s30, s30, s34
	s_addc_u32 s31, s31, s35
	v_mul_f32_e32 v3, 0x4f7ffffe, v3
	s_add_u32 s34, s36, s34
	v_cvt_u32_f32_e32 v14, v3
	s_addc_u32 s35, s37, s35
	s_add_u32 s36, s0, 1
	s_mov_b32 s54, 0
	s_mul_i32 s56, s18, 6
	s_mul_i32 s58, s22, 6
	s_addc_u32 s37, s1, 0
	s_mov_b64 s[38:39], 0
	s_branch .LBB47_3
.LBB47_2:                               ;   in Loop: Header=BB47_3 Depth=1
	s_or_b64 exec, exec, s[0:1]
	v_mov_b32_e32 v3, s54
	v_add_co_u32_e32 v0, vcc, s33, v0
	v_addc_co_u32_e32 v1, vcc, v1, v3, vcc
	v_cmp_le_i64_e32 vcc, s[10:11], v[0:1]
	s_or_b64 s[38:39], vcc, s[38:39]
	s_andn2_b64 exec, exec, s[38:39]
	s_cbranch_execz .LBB47_32
.LBB47_3:                               ; =>This Loop Header: Depth=1
                                        ;     Child Loop BB47_28 Depth 2
	v_or_b32_e32 v3, s3, v1
	v_cmp_ne_u64_e32 vcc, 0, v[2:3]
                                        ; implicit-def: $vgpr6_vgpr7
	s_and_saveexec_b64 s[0:1], vcc
	s_xor_b64 s[40:41], exec, s[0:1]
	s_cbranch_execz .LBB47_5
; %bb.4:                                ;   in Loop: Header=BB47_3 Depth=1
	s_ashr_i32 s42, s3, 31
	s_add_u32 s0, s2, s42
	s_mov_b32 s43, s42
	s_addc_u32 s1, s3, s42
	s_xor_b64 s[44:45], s[0:1], s[42:43]
	v_cvt_f32_u32_e32 v3, s44
	v_cvt_f32_u32_e32 v4, s45
	s_sub_u32 s0, 0, s44
	s_subb_u32 s1, 0, s45
	v_mac_f32_e32 v3, 0x4f800000, v4
	v_rcp_f32_e32 v3, v3
	v_mul_f32_e32 v3, 0x5f7ffffc, v3
	v_mul_f32_e32 v4, 0x2f800000, v3
	v_trunc_f32_e32 v4, v4
	v_mac_f32_e32 v3, 0xcf800000, v4
	v_cvt_u32_f32_e32 v4, v4
	v_cvt_u32_f32_e32 v3, v3
	v_mul_lo_u32 v5, s0, v4
	v_mul_hi_u32 v7, s0, v3
	v_mul_lo_u32 v6, s1, v3
	v_add_u32_e32 v5, v7, v5
	v_mul_lo_u32 v8, s0, v3
	v_add_u32_e32 v5, v5, v6
	v_mul_lo_u32 v7, v3, v5
	v_mul_hi_u32 v9, v3, v8
	v_mul_hi_u32 v6, v3, v5
	v_add_co_u32_e32 v7, vcc, v9, v7
	v_addc_co_u32_e32 v6, vcc, 0, v6, vcc
	v_mul_hi_u32 v10, v4, v8
	v_mul_lo_u32 v8, v4, v8
	v_add_co_u32_e32 v7, vcc, v7, v8
	v_mul_hi_u32 v9, v4, v5
	v_addc_co_u32_e32 v6, vcc, v6, v10, vcc
	v_addc_co_u32_e32 v7, vcc, 0, v9, vcc
	v_mul_lo_u32 v5, v4, v5
	v_add_co_u32_e32 v5, vcc, v6, v5
	v_addc_co_u32_e32 v6, vcc, 0, v7, vcc
	v_add_co_u32_e32 v3, vcc, v3, v5
	v_addc_co_u32_e32 v4, vcc, v4, v6, vcc
	v_mul_lo_u32 v5, s0, v4
	v_mul_hi_u32 v6, s0, v3
	v_add_u32_e32 v5, v6, v5
	v_mul_lo_u32 v6, s1, v3
	v_add_u32_e32 v5, v5, v6
	v_mul_lo_u32 v7, s0, v3
	v_mul_hi_u32 v8, v4, v7
	v_mul_lo_u32 v9, v4, v7
	v_mul_lo_u32 v11, v3, v5
	v_mul_hi_u32 v7, v3, v7
	v_mul_hi_u32 v10, v3, v5
	v_add_co_u32_e32 v7, vcc, v7, v11
	v_addc_co_u32_e32 v10, vcc, 0, v10, vcc
	v_add_co_u32_e32 v7, vcc, v7, v9
	v_mul_hi_u32 v6, v4, v5
	v_addc_co_u32_e32 v7, vcc, v10, v8, vcc
	v_addc_co_u32_e32 v6, vcc, 0, v6, vcc
	v_mul_lo_u32 v5, v4, v5
	v_add_co_u32_e32 v5, vcc, v7, v5
	v_addc_co_u32_e32 v6, vcc, 0, v6, vcc
	v_add_co_u32_e32 v3, vcc, v3, v5
	v_addc_co_u32_e32 v6, vcc, v4, v6, vcc
	v_ashrrev_i32_e32 v8, 31, v1
	v_add_co_u32_e32 v4, vcc, v0, v8
	v_addc_co_u32_e32 v5, vcc, v1, v8, vcc
	v_xor_b32_e32 v10, v4, v8
	v_xor_b32_e32 v9, v5, v8
	v_mad_u64_u32 v[4:5], s[0:1], v10, v6, 0
	v_mul_hi_u32 v7, v10, v3
	v_add_co_u32_e32 v11, vcc, v7, v4
	v_addc_co_u32_e32 v12, vcc, 0, v5, vcc
	v_mad_u64_u32 v[4:5], s[0:1], v9, v6, 0
	v_mad_u64_u32 v[6:7], s[0:1], v9, v3, 0
	v_add_co_u32_e32 v3, vcc, v11, v6
	v_addc_co_u32_e32 v3, vcc, v12, v7, vcc
	v_addc_co_u32_e32 v5, vcc, 0, v5, vcc
	v_add_co_u32_e32 v3, vcc, v3, v4
	v_addc_co_u32_e32 v6, vcc, 0, v5, vcc
	v_mul_lo_u32 v7, s45, v3
	v_mul_lo_u32 v11, s44, v6
	v_mad_u64_u32 v[4:5], s[0:1], s44, v3, 0
	v_add3_u32 v5, v5, v11, v7
	v_sub_u32_e32 v7, v9, v5
	v_mov_b32_e32 v11, s45
	v_sub_co_u32_e32 v4, vcc, v10, v4
	v_subb_co_u32_e64 v7, s[0:1], v7, v11, vcc
	v_subrev_co_u32_e64 v10, s[0:1], s44, v4
	v_subbrev_co_u32_e64 v7, s[0:1], 0, v7, s[0:1]
	v_cmp_le_u32_e64 s[0:1], s45, v7
	v_cndmask_b32_e64 v11, 0, -1, s[0:1]
	v_cmp_le_u32_e64 s[0:1], s44, v10
	v_cndmask_b32_e64 v10, 0, -1, s[0:1]
	v_cmp_eq_u32_e64 s[0:1], s45, v7
	v_cndmask_b32_e64 v7, v11, v10, s[0:1]
	v_add_co_u32_e64 v10, s[0:1], 2, v3
	v_subb_co_u32_e32 v5, vcc, v9, v5, vcc
	v_addc_co_u32_e64 v11, s[0:1], 0, v6, s[0:1]
	v_cmp_le_u32_e32 vcc, s45, v5
	v_add_co_u32_e64 v12, s[0:1], 1, v3
	v_cndmask_b32_e64 v9, 0, -1, vcc
	v_cmp_le_u32_e32 vcc, s44, v4
	v_addc_co_u32_e64 v13, s[0:1], 0, v6, s[0:1]
	v_cndmask_b32_e64 v4, 0, -1, vcc
	v_cmp_eq_u32_e32 vcc, s45, v5
	v_cmp_ne_u32_e64 s[0:1], 0, v7
	v_cndmask_b32_e32 v4, v9, v4, vcc
	v_cmp_ne_u32_e32 vcc, 0, v4
	v_cndmask_b32_e64 v5, v12, v10, s[0:1]
	v_cndmask_b32_e64 v7, v13, v11, s[0:1]
	v_cndmask_b32_e32 v3, v3, v5, vcc
	v_xor_b32_e32 v5, s42, v8
	v_cndmask_b32_e32 v4, v6, v7, vcc
	v_xor_b32_e32 v3, v3, v5
	v_xor_b32_e32 v4, v4, v5
	v_sub_co_u32_e32 v6, vcc, v3, v5
	v_subb_co_u32_e32 v7, vcc, v4, v5, vcc
.LBB47_5:                               ;   in Loop: Header=BB47_3 Depth=1
	s_andn2_saveexec_b64 s[0:1], s[40:41]
	s_cbranch_execz .LBB47_7
; %bb.6:                                ;   in Loop: Header=BB47_3 Depth=1
	s_sub_i32 s40, 0, s2
	v_mul_lo_u32 v3, s40, v14
	v_mul_hi_u32 v3, v14, v3
	v_add_u32_e32 v3, v14, v3
	v_mul_hi_u32 v3, v0, v3
	v_mul_lo_u32 v4, v3, s2
	v_sub_u32_e32 v4, v0, v4
	v_subrev_u32_e32 v5, s2, v4
	v_cmp_le_u32_e32 vcc, s2, v4
	v_cndmask_b32_e32 v4, v4, v5, vcc
	v_add_u32_e32 v5, 1, v3
	v_cndmask_b32_e32 v3, v3, v5, vcc
	v_add_u32_e32 v5, 1, v3
	v_cmp_le_u32_e32 vcc, s2, v4
	v_cndmask_b32_e32 v6, v3, v5, vcc
	v_mov_b32_e32 v7, v2
.LBB47_7:                               ;   in Loop: Header=BB47_3 Depth=1
	s_or_b64 exec, exec, s[0:1]
	v_or_b32_e32 v3, s13, v7
	v_cmp_ne_u64_e32 vcc, 0, v[2:3]
                                        ; implicit-def: $vgpr10_vgpr11
	s_and_saveexec_b64 s[0:1], vcc
	s_xor_b64 s[40:41], exec, s[0:1]
	s_cbranch_execz .LBB47_9
; %bb.8:                                ;   in Loop: Header=BB47_3 Depth=1
	s_ashr_i32 s42, s13, 31
	s_add_u32 s0, s12, s42
	s_mov_b32 s43, s42
	s_addc_u32 s1, s13, s42
	s_xor_b64 s[44:45], s[0:1], s[42:43]
	v_cvt_f32_u32_e32 v3, s44
	v_cvt_f32_u32_e32 v4, s45
	s_sub_u32 s0, 0, s44
	s_subb_u32 s1, 0, s45
	v_mac_f32_e32 v3, 0x4f800000, v4
	v_rcp_f32_e32 v3, v3
	v_mul_f32_e32 v3, 0x5f7ffffc, v3
	v_mul_f32_e32 v4, 0x2f800000, v3
	v_trunc_f32_e32 v4, v4
	v_mac_f32_e32 v3, 0xcf800000, v4
	v_cvt_u32_f32_e32 v4, v4
	v_cvt_u32_f32_e32 v3, v3
	v_mul_lo_u32 v5, s0, v4
	v_mul_hi_u32 v9, s0, v3
	v_mul_lo_u32 v8, s1, v3
	v_add_u32_e32 v5, v9, v5
	v_mul_lo_u32 v10, s0, v3
	v_add_u32_e32 v5, v5, v8
	v_mul_lo_u32 v9, v3, v5
	v_mul_hi_u32 v11, v3, v10
	v_mul_hi_u32 v8, v3, v5
	v_add_co_u32_e32 v9, vcc, v11, v9
	v_addc_co_u32_e32 v8, vcc, 0, v8, vcc
	v_mul_hi_u32 v12, v4, v10
	v_mul_lo_u32 v10, v4, v10
	v_add_co_u32_e32 v9, vcc, v9, v10
	v_mul_hi_u32 v11, v4, v5
	v_addc_co_u32_e32 v8, vcc, v8, v12, vcc
	v_addc_co_u32_e32 v9, vcc, 0, v11, vcc
	v_mul_lo_u32 v5, v4, v5
	v_add_co_u32_e32 v5, vcc, v8, v5
	v_addc_co_u32_e32 v8, vcc, 0, v9, vcc
	v_add_co_u32_e32 v3, vcc, v3, v5
	v_addc_co_u32_e32 v4, vcc, v4, v8, vcc
	v_mul_lo_u32 v5, s0, v4
	v_mul_hi_u32 v8, s0, v3
	v_add_u32_e32 v5, v8, v5
	v_mul_lo_u32 v8, s1, v3
	v_add_u32_e32 v5, v5, v8
	v_mul_lo_u32 v9, s0, v3
	v_mul_hi_u32 v10, v4, v9
	v_mul_lo_u32 v11, v4, v9
	v_mul_lo_u32 v13, v3, v5
	v_mul_hi_u32 v9, v3, v9
	v_mul_hi_u32 v12, v3, v5
	v_add_co_u32_e32 v9, vcc, v9, v13
	v_addc_co_u32_e32 v12, vcc, 0, v12, vcc
	v_add_co_u32_e32 v9, vcc, v9, v11
	v_mul_hi_u32 v8, v4, v5
	v_addc_co_u32_e32 v9, vcc, v12, v10, vcc
	v_addc_co_u32_e32 v8, vcc, 0, v8, vcc
	v_mul_lo_u32 v5, v4, v5
	v_add_co_u32_e32 v5, vcc, v9, v5
	v_addc_co_u32_e32 v8, vcc, 0, v8, vcc
	v_add_co_u32_e32 v3, vcc, v3, v5
	v_addc_co_u32_e32 v8, vcc, v4, v8, vcc
	v_ashrrev_i32_e32 v10, 31, v7
	v_add_co_u32_e32 v4, vcc, v6, v10
	v_addc_co_u32_e32 v5, vcc, v7, v10, vcc
	v_xor_b32_e32 v12, v4, v10
	v_xor_b32_e32 v11, v5, v10
	v_mad_u64_u32 v[4:5], s[0:1], v12, v8, 0
	v_mul_hi_u32 v9, v12, v3
	v_add_co_u32_e32 v13, vcc, v9, v4
	v_addc_co_u32_e32 v15, vcc, 0, v5, vcc
	v_mad_u64_u32 v[4:5], s[0:1], v11, v8, 0
	v_mad_u64_u32 v[8:9], s[0:1], v11, v3, 0
	v_add_co_u32_e32 v3, vcc, v13, v8
	v_addc_co_u32_e32 v3, vcc, v15, v9, vcc
	v_addc_co_u32_e32 v5, vcc, 0, v5, vcc
	v_add_co_u32_e32 v3, vcc, v3, v4
	v_addc_co_u32_e32 v8, vcc, 0, v5, vcc
	v_mul_lo_u32 v9, s45, v3
	v_mul_lo_u32 v13, s44, v8
	v_mad_u64_u32 v[4:5], s[0:1], s44, v3, 0
	v_add3_u32 v5, v5, v13, v9
	v_sub_u32_e32 v9, v11, v5
	v_mov_b32_e32 v13, s45
	v_sub_co_u32_e32 v4, vcc, v12, v4
	v_subb_co_u32_e64 v9, s[0:1], v9, v13, vcc
	v_subrev_co_u32_e64 v12, s[0:1], s44, v4
	v_subbrev_co_u32_e64 v9, s[0:1], 0, v9, s[0:1]
	v_cmp_le_u32_e64 s[0:1], s45, v9
	v_cndmask_b32_e64 v13, 0, -1, s[0:1]
	v_cmp_le_u32_e64 s[0:1], s44, v12
	v_cndmask_b32_e64 v12, 0, -1, s[0:1]
	v_cmp_eq_u32_e64 s[0:1], s45, v9
	v_cndmask_b32_e64 v9, v13, v12, s[0:1]
	v_add_co_u32_e64 v12, s[0:1], 2, v3
	v_subb_co_u32_e32 v5, vcc, v11, v5, vcc
	v_addc_co_u32_e64 v13, s[0:1], 0, v8, s[0:1]
	v_cmp_le_u32_e32 vcc, s45, v5
	v_add_co_u32_e64 v15, s[0:1], 1, v3
	v_cndmask_b32_e64 v11, 0, -1, vcc
	v_cmp_le_u32_e32 vcc, s44, v4
	v_addc_co_u32_e64 v16, s[0:1], 0, v8, s[0:1]
	v_cndmask_b32_e64 v4, 0, -1, vcc
	v_cmp_eq_u32_e32 vcc, s45, v5
	v_cmp_ne_u32_e64 s[0:1], 0, v9
	v_cndmask_b32_e32 v4, v11, v4, vcc
	v_cmp_ne_u32_e32 vcc, 0, v4
	v_cndmask_b32_e64 v5, v15, v12, s[0:1]
	v_cndmask_b32_e64 v9, v16, v13, s[0:1]
	v_cndmask_b32_e32 v3, v3, v5, vcc
	v_xor_b32_e32 v5, s42, v10
	v_cndmask_b32_e32 v4, v8, v9, vcc
	v_xor_b32_e32 v3, v3, v5
	v_xor_b32_e32 v4, v4, v5
	v_sub_co_u32_e32 v10, vcc, v3, v5
	v_subb_co_u32_e32 v11, vcc, v4, v5, vcc
.LBB47_9:                               ;   in Loop: Header=BB47_3 Depth=1
	s_andn2_saveexec_b64 s[0:1], s[40:41]
	s_cbranch_execz .LBB47_11
; %bb.10:                               ;   in Loop: Header=BB47_3 Depth=1
	v_cvt_f32_u32_e32 v3, s12
	s_sub_i32 s40, 0, s12
	v_mov_b32_e32 v11, v2
	v_rcp_iflag_f32_e32 v3, v3
	v_mul_f32_e32 v3, 0x4f7ffffe, v3
	v_cvt_u32_f32_e32 v3, v3
	v_mul_lo_u32 v4, s40, v3
	v_mul_hi_u32 v4, v3, v4
	v_add_u32_e32 v3, v3, v4
	v_mul_hi_u32 v3, v6, v3
	v_mul_lo_u32 v4, v3, s12
	v_sub_u32_e32 v4, v6, v4
	v_add_u32_e32 v5, 1, v3
	v_subrev_u32_e32 v8, s12, v4
	v_cmp_le_u32_e32 vcc, s12, v4
	v_cndmask_b32_e32 v4, v4, v8, vcc
	v_cndmask_b32_e32 v3, v3, v5, vcc
	v_add_u32_e32 v5, 1, v3
	v_cmp_le_u32_e32 vcc, s12, v4
	v_cndmask_b32_e32 v10, v3, v5, vcc
.LBB47_11:                              ;   in Loop: Header=BB47_3 Depth=1
	s_or_b64 exec, exec, s[0:1]
	v_mul_lo_u32 v3, v7, s2
	v_mul_lo_u32 v8, v6, s3
	v_mad_u64_u32 v[4:5], s[0:1], v6, s2, 0
	v_add3_u32 v3, v5, v8, v3
	v_sub_co_u32_e32 v4, vcc, v0, v4
	v_subb_co_u32_e32 v5, vcc, v1, v3, vcc
	v_mul_lo_u32 v3, v11, s12
	v_mul_lo_u32 v12, v10, s13
	v_mad_u64_u32 v[8:9], s[0:1], v10, s12, 0
	v_add3_u32 v3, v9, v12, v3
	v_sub_co_u32_e32 v15, vcc, v6, v8
	v_subb_co_u32_e32 v16, vcc, v7, v3, vcc
	v_mul_lo_u32 v3, s19, v4
	v_mul_lo_u32 v8, s18, v5
	v_mad_u64_u32 v[6:7], s[0:1], s18, v4, 0
	v_add3_u32 v7, v7, v8, v3
	v_mul_lo_u32 v3, s23, v4
	v_mul_lo_u32 v8, s22, v5
	v_mad_u64_u32 v[12:13], s[0:1], s22, v4, 0
	v_add3_u32 v13, v13, v8, v3
	v_mad_u64_u32 v[8:9], s[0:1], s16, v15, v[6:7]
	v_mul_lo_u32 v3, s16, v16
	v_mul_lo_u32 v6, s17, v15
	v_add3_u32 v9, v6, v9, v3
	v_mad_u64_u32 v[6:7], s[0:1], s20, v15, v[12:13]
	v_mul_lo_u32 v3, s20, v16
	v_mul_lo_u32 v12, s21, v15
	v_add3_u32 v7, v12, v7, v3
	s_and_b64 vcc, exec, s[24:25]
	s_mov_b64 s[40:41], s[36:37]
	s_mov_b64 s[42:43], s[34:35]
	s_mov_b64 s[44:45], s[30:31]
	s_cbranch_vccnz .LBB47_28
.LBB47_12:                              ;   in Loop: Header=BB47_3 Depth=1
	v_sub_co_u32_e32 v10, vcc, v4, v15
	v_subb_co_u32_e32 v11, vcc, v5, v16, vcc
	v_cmp_ge_i64_e32 vcc, s[8:9], v[10:11]
	v_mov_b32_e32 v3, 0
	v_mov_b32_e32 v16, 0
	v_mov_b32_e32 v13, 0
	v_mov_b32_e32 v12, 0
	s_and_saveexec_b64 s[0:1], vcc
	s_cbranch_execz .LBB47_22
; %bb.13:                               ;   in Loop: Header=BB47_3 Depth=1
	v_cmp_gt_i64_e32 vcc, s[14:15], v[4:5]
	v_mov_b32_e32 v15, 0
	v_mov_b32_e32 v13, 0
	;; [unrolled: 1-line block ×4, first 2 shown]
	s_and_saveexec_b64 s[40:41], vcc
	s_cbranch_execz .LBB47_21
; %bb.14:                               ;   in Loop: Header=BB47_3 Depth=1
	v_lshlrev_b64 v[8:9], 1, v[8:9]
	v_mov_b32_e32 v3, s7
	v_add_co_u32_e32 v8, vcc, s6, v8
	v_addc_co_u32_e32 v9, vcc, v3, v9, vcc
	global_load_ushort v3, v[8:9], off
	v_add_co_u32_e32 v12, vcc, 1, v4
	v_addc_co_u32_e32 v13, vcc, 0, v5, vcc
	v_cmp_gt_i64_e32 vcc, s[14:15], v[12:13]
	v_mov_b32_e32 v12, 0
	v_mov_b32_e32 v13, 0
	;; [unrolled: 1-line block ×3, first 2 shown]
	s_and_saveexec_b64 s[42:43], vcc
	s_cbranch_execz .LBB47_20
; %bb.15:                               ;   in Loop: Header=BB47_3 Depth=1
	s_lshl_b64 s[44:45], s[18:19], 1
	v_mov_b32_e32 v13, s45
	v_add_co_u32_e32 v12, vcc, s44, v8
	v_addc_co_u32_e32 v13, vcc, v9, v13, vcc
	global_load_ushort v12, v[12:13], off
	v_add_co_u32_e32 v16, vcc, 2, v4
	v_addc_co_u32_e32 v17, vcc, 0, v5, vcc
	v_cmp_gt_i64_e32 vcc, s[14:15], v[16:17]
	v_mov_b32_e32 v13, 0
	v_mov_b32_e32 v15, 0
	s_and_saveexec_b64 s[44:45], vcc
	s_cbranch_execz .LBB47_19
; %bb.16:                               ;   in Loop: Header=BB47_3 Depth=1
	v_mov_b32_e32 v13, s27
	v_add_co_u32_e32 v16, vcc, s26, v8
	v_addc_co_u32_e32 v17, vcc, v9, v13, vcc
	global_load_ushort v13, v[16:17], off
	v_add_co_u32_e32 v16, vcc, 3, v4
	v_addc_co_u32_e32 v17, vcc, 0, v5, vcc
	v_cmp_gt_i64_e32 vcc, s[14:15], v[16:17]
	v_mov_b32_e32 v15, 0
	s_and_saveexec_b64 s[46:47], vcc
	s_cbranch_execz .LBB47_18
; %bb.17:                               ;   in Loop: Header=BB47_3 Depth=1
	v_mov_b32_e32 v15, s55
	v_add_co_u32_e32 v8, vcc, s56, v8
	v_addc_co_u32_e32 v9, vcc, v9, v15, vcc
	global_load_ushort v15, v[8:9], off
.LBB47_18:                              ;   in Loop: Header=BB47_3 Depth=1
	s_or_b64 exec, exec, s[46:47]
.LBB47_19:                              ;   in Loop: Header=BB47_3 Depth=1
	s_or_b64 exec, exec, s[44:45]
.LBB47_20:                              ;   in Loop: Header=BB47_3 Depth=1
	s_or_b64 exec, exec, s[42:43]
.LBB47_21:                              ;   in Loop: Header=BB47_3 Depth=1
	s_or_b64 exec, exec, s[40:41]
	v_add_co_u32_e32 v8, vcc, 1, v10
	v_addc_co_u32_e32 v9, vcc, 0, v11, vcc
	v_cmp_ge_i64_e32 vcc, s[8:9], v[8:9]
	s_waitcnt vmcnt(0)
	v_cndmask_b32_e32 v16, 0, v12, vcc
	v_add_co_u32_e32 v8, vcc, 2, v10
	v_addc_co_u32_e32 v9, vcc, 0, v11, vcc
	v_cmp_ge_i64_e32 vcc, s[8:9], v[8:9]
	v_cndmask_b32_e32 v13, 0, v13, vcc
	v_add_co_u32_e32 v8, vcc, 3, v10
	v_addc_co_u32_e32 v9, vcc, 0, v11, vcc
	v_cmp_ge_i64_e32 vcc, s[8:9], v[8:9]
	v_cndmask_b32_e32 v12, 0, v15, vcc
.LBB47_22:                              ;   in Loop: Header=BB47_3 Depth=1
	s_or_b64 exec, exec, s[0:1]
	v_cmp_gt_i64_e32 vcc, s[14:15], v[4:5]
	s_and_saveexec_b64 s[0:1], vcc
	s_cbranch_execz .LBB47_2
; %bb.23:                               ;   in Loop: Header=BB47_3 Depth=1
	v_lshlrev_b64 v[6:7], 1, v[6:7]
	v_mov_b32_e32 v8, s5
	v_add_co_u32_e32 v6, vcc, s4, v6
	v_addc_co_u32_e32 v7, vcc, v8, v7, vcc
	v_add_co_u32_e32 v8, vcc, 1, v4
	v_addc_co_u32_e32 v9, vcc, 0, v5, vcc
	v_cmp_gt_i64_e32 vcc, s[14:15], v[8:9]
	global_store_short v[6:7], v3, off
	s_and_saveexec_b64 s[40:41], vcc
	s_xor_b64 s[40:41], exec, s[40:41]
	s_cbranch_execz .LBB47_2
; %bb.24:                               ;   in Loop: Header=BB47_3 Depth=1
	s_lshl_b64 s[40:41], s[22:23], 1
	v_mov_b32_e32 v3, s41
	v_add_co_u32_e32 v8, vcc, s40, v6
	v_addc_co_u32_e32 v9, vcc, v7, v3, vcc
	global_store_short v[8:9], v16, off
	v_add_co_u32_e32 v8, vcc, 2, v4
	v_addc_co_u32_e32 v9, vcc, 0, v5, vcc
	v_cmp_gt_i64_e32 vcc, s[14:15], v[8:9]
	s_and_saveexec_b64 s[40:41], vcc
	s_xor_b64 s[40:41], exec, s[40:41]
	s_cbranch_execz .LBB47_2
; %bb.25:                               ;   in Loop: Header=BB47_3 Depth=1
	v_mov_b32_e32 v3, s29
	v_add_co_u32_e32 v8, vcc, s28, v6
	v_addc_co_u32_e32 v9, vcc, v7, v3, vcc
	v_add_co_u32_e32 v4, vcc, 3, v4
	v_addc_co_u32_e32 v5, vcc, 0, v5, vcc
	v_cmp_gt_i64_e32 vcc, s[14:15], v[4:5]
	global_store_short v[8:9], v13, off
	s_and_saveexec_b64 s[40:41], vcc
	s_xor_b64 s[40:41], exec, s[40:41]
	s_cbranch_execz .LBB47_2
; %bb.26:                               ;   in Loop: Header=BB47_3 Depth=1
	v_mov_b32_e32 v3, s57
	v_add_co_u32_e32 v4, vcc, s58, v6
	v_addc_co_u32_e32 v5, vcc, v7, v3, vcc
	global_store_short v[4:5], v12, off
	s_branch .LBB47_2
.LBB47_27:                              ;   in Loop: Header=BB47_28 Depth=2
	s_or_b64 exec, exec, s[0:1]
	v_mad_u64_u32 v[18:19], s[0:1], v12, s46, 0
	v_mul_lo_u32 v3, v13, s46
	v_mul_lo_u32 v17, v12, s47
	s_load_dwordx2 s[0:1], s[42:43], 0xc8
	s_load_dwordx2 s[46:47], s[44:45], 0x0
	s_add_u32 s44, s44, -8
	s_addc_u32 s45, s45, -1
	s_add_u32 s42, s42, -8
	v_add3_u32 v3, v19, v17, v3
	v_sub_co_u32_e32 v10, vcc, v10, v18
	s_addc_u32 s43, s43, -1
	v_subb_co_u32_e32 v3, vcc, v11, v3, vcc
	s_add_u32 s40, s40, -1
	s_waitcnt lgkmcnt(0)
	v_mul_lo_u32 v11, s0, v3
	v_mul_lo_u32 v17, s1, v10
	v_mad_u64_u32 v[8:9], s[0:1], s0, v10, v[8:9]
	v_mad_u64_u32 v[6:7], s[0:1], s46, v10, v[6:7]
	s_addc_u32 s41, s41, -1
	v_add3_u32 v9, v17, v9, v11
	v_mul_lo_u32 v3, s46, v3
	v_mul_lo_u32 v11, s47, v10
	v_cmp_lt_i64_e64 s[0:1], s[40:41], 1
	v_add3_u32 v7, v11, v7, v3
	s_and_b64 vcc, exec, s[0:1]
	v_pk_mov_b32 v[10:11], v[12:13], v[12:13] op_sel:[0,1]
	s_cbranch_vccnz .LBB47_12
.LBB47_28:                              ;   Parent Loop BB47_3 Depth=1
                                        ; =>  This Inner Loop Header: Depth=2
	s_load_dwordx2 s[46:47], s[42:43], 0x0
                                        ; implicit-def: $vgpr12_vgpr13
	s_waitcnt lgkmcnt(0)
	v_or_b32_e32 v3, s47, v11
	v_cmp_ne_u64_e32 vcc, 0, v[2:3]
	s_and_saveexec_b64 s[0:1], vcc
	s_xor_b64 s[48:49], exec, s[0:1]
	s_cbranch_execz .LBB47_30
; %bb.29:                               ;   in Loop: Header=BB47_28 Depth=2
	s_ashr_i32 s50, s47, 31
	s_add_u32 s0, s46, s50
	s_mov_b32 s51, s50
	s_addc_u32 s1, s47, s50
	s_xor_b64 s[52:53], s[0:1], s[50:51]
	v_cvt_f32_u32_e32 v3, s52
	v_cvt_f32_u32_e32 v12, s53
	s_sub_u32 s0, 0, s52
	s_subb_u32 s1, 0, s53
	v_mac_f32_e32 v3, 0x4f800000, v12
	v_rcp_f32_e32 v3, v3
	v_mul_f32_e32 v3, 0x5f7ffffc, v3
	v_mul_f32_e32 v12, 0x2f800000, v3
	v_trunc_f32_e32 v12, v12
	v_mac_f32_e32 v3, 0xcf800000, v12
	v_cvt_u32_f32_e32 v12, v12
	v_cvt_u32_f32_e32 v3, v3
	v_mul_lo_u32 v13, s0, v12
	v_mul_hi_u32 v18, s0, v3
	v_mul_lo_u32 v17, s1, v3
	v_add_u32_e32 v13, v18, v13
	v_mul_lo_u32 v19, s0, v3
	v_add_u32_e32 v13, v13, v17
	v_mul_lo_u32 v18, v3, v13
	v_mul_hi_u32 v20, v3, v19
	v_mul_hi_u32 v17, v3, v13
	v_add_co_u32_e32 v18, vcc, v20, v18
	v_addc_co_u32_e32 v17, vcc, 0, v17, vcc
	v_mul_hi_u32 v21, v12, v19
	v_mul_lo_u32 v19, v12, v19
	v_add_co_u32_e32 v18, vcc, v18, v19
	v_mul_hi_u32 v20, v12, v13
	v_addc_co_u32_e32 v17, vcc, v17, v21, vcc
	v_addc_co_u32_e32 v18, vcc, 0, v20, vcc
	v_mul_lo_u32 v13, v12, v13
	v_add_co_u32_e32 v13, vcc, v17, v13
	v_addc_co_u32_e32 v17, vcc, 0, v18, vcc
	v_add_co_u32_e32 v3, vcc, v3, v13
	v_addc_co_u32_e32 v12, vcc, v12, v17, vcc
	v_mul_lo_u32 v13, s0, v12
	v_mul_hi_u32 v17, s0, v3
	v_add_u32_e32 v13, v17, v13
	v_mul_lo_u32 v17, s1, v3
	v_add_u32_e32 v13, v13, v17
	v_mul_lo_u32 v18, s0, v3
	v_mul_hi_u32 v19, v12, v18
	v_mul_lo_u32 v20, v12, v18
	v_mul_lo_u32 v22, v3, v13
	v_mul_hi_u32 v18, v3, v18
	v_mul_hi_u32 v21, v3, v13
	v_add_co_u32_e32 v18, vcc, v18, v22
	v_addc_co_u32_e32 v21, vcc, 0, v21, vcc
	v_add_co_u32_e32 v18, vcc, v18, v20
	v_mul_hi_u32 v17, v12, v13
	v_addc_co_u32_e32 v18, vcc, v21, v19, vcc
	v_addc_co_u32_e32 v17, vcc, 0, v17, vcc
	v_mul_lo_u32 v13, v12, v13
	v_add_co_u32_e32 v13, vcc, v18, v13
	v_addc_co_u32_e32 v17, vcc, 0, v17, vcc
	v_add_co_u32_e32 v3, vcc, v3, v13
	v_addc_co_u32_e32 v17, vcc, v12, v17, vcc
	v_ashrrev_i32_e32 v20, 31, v11
	v_add_co_u32_e32 v12, vcc, v10, v20
	v_addc_co_u32_e32 v13, vcc, v11, v20, vcc
	v_xor_b32_e32 v22, v12, v20
	v_xor_b32_e32 v21, v13, v20
	v_mad_u64_u32 v[12:13], s[0:1], v22, v17, 0
	v_mul_hi_u32 v18, v22, v3
	v_add_co_u32_e32 v23, vcc, v18, v12
	v_addc_co_u32_e32 v24, vcc, 0, v13, vcc
	v_mad_u64_u32 v[18:19], s[0:1], v21, v3, 0
	v_add_co_u32_e32 v3, vcc, v23, v18
	v_mad_u64_u32 v[12:13], s[0:1], v21, v17, 0
	v_addc_co_u32_e32 v3, vcc, v24, v19, vcc
	v_addc_co_u32_e32 v13, vcc, 0, v13, vcc
	v_add_co_u32_e32 v3, vcc, v3, v12
	v_addc_co_u32_e32 v17, vcc, 0, v13, vcc
	v_mul_lo_u32 v18, s53, v3
	v_mul_lo_u32 v19, s52, v17
	v_mad_u64_u32 v[12:13], s[0:1], s52, v3, 0
	v_add3_u32 v13, v13, v19, v18
	v_sub_u32_e32 v18, v21, v13
	v_mov_b32_e32 v19, s53
	v_sub_co_u32_e32 v12, vcc, v22, v12
	v_subb_co_u32_e64 v18, s[0:1], v18, v19, vcc
	v_subrev_co_u32_e64 v19, s[0:1], s52, v12
	v_subbrev_co_u32_e64 v18, s[0:1], 0, v18, s[0:1]
	v_cmp_le_u32_e64 s[0:1], s53, v18
	v_cndmask_b32_e64 v22, 0, -1, s[0:1]
	v_cmp_le_u32_e64 s[0:1], s52, v19
	v_cndmask_b32_e64 v19, 0, -1, s[0:1]
	v_cmp_eq_u32_e64 s[0:1], s53, v18
	v_cndmask_b32_e64 v18, v22, v19, s[0:1]
	v_add_co_u32_e64 v19, s[0:1], 2, v3
	v_subb_co_u32_e32 v13, vcc, v21, v13, vcc
	v_addc_co_u32_e64 v22, s[0:1], 0, v17, s[0:1]
	v_cmp_le_u32_e32 vcc, s53, v13
	v_add_co_u32_e64 v23, s[0:1], 1, v3
	v_cndmask_b32_e64 v21, 0, -1, vcc
	v_cmp_le_u32_e32 vcc, s52, v12
	v_addc_co_u32_e64 v24, s[0:1], 0, v17, s[0:1]
	v_cndmask_b32_e64 v12, 0, -1, vcc
	v_cmp_eq_u32_e32 vcc, s53, v13
	v_cmp_ne_u32_e64 s[0:1], 0, v18
	v_cndmask_b32_e32 v12, v21, v12, vcc
	v_cmp_ne_u32_e32 vcc, 0, v12
	v_cndmask_b32_e64 v13, v23, v19, s[0:1]
	v_cndmask_b32_e64 v18, v24, v22, s[0:1]
	v_cndmask_b32_e32 v3, v3, v13, vcc
	v_xor_b32_e32 v13, s50, v20
	v_cndmask_b32_e32 v12, v17, v18, vcc
	v_xor_b32_e32 v3, v3, v13
	v_xor_b32_e32 v17, v12, v13
	v_sub_co_u32_e32 v12, vcc, v3, v13
	v_subb_co_u32_e32 v13, vcc, v17, v13, vcc
.LBB47_30:                              ;   in Loop: Header=BB47_28 Depth=2
	s_andn2_saveexec_b64 s[0:1], s[48:49]
	s_cbranch_execz .LBB47_27
; %bb.31:                               ;   in Loop: Header=BB47_28 Depth=2
	v_cvt_f32_u32_e32 v3, s46
	s_sub_i32 s48, 0, s46
	v_rcp_iflag_f32_e32 v3, v3
	v_mul_f32_e32 v3, 0x4f7ffffe, v3
	v_cvt_u32_f32_e32 v3, v3
	v_mul_lo_u32 v12, s48, v3
	v_mul_hi_u32 v12, v3, v12
	v_add_u32_e32 v3, v3, v12
	v_mul_hi_u32 v3, v10, v3
	v_mul_lo_u32 v12, v3, s46
	v_sub_u32_e32 v12, v10, v12
	v_add_u32_e32 v13, 1, v3
	v_subrev_u32_e32 v17, s46, v12
	v_cmp_le_u32_e32 vcc, s46, v12
	v_cndmask_b32_e32 v12, v12, v17, vcc
	v_cndmask_b32_e32 v3, v3, v13, vcc
	v_add_u32_e32 v13, 1, v3
	v_cmp_le_u32_e32 vcc, s46, v12
	v_cndmask_b32_e32 v12, v3, v13, vcc
	v_mov_b32_e32 v13, v2
	s_branch .LBB47_27
.LBB47_32:
	s_endpgm
	.section	.rodata,"a",@progbits
	.p2align	6, 0x0
	.amdhsa_kernel _ZN2at6native16triu_tril_kernelIN3c108BFloat16ElLb0ELi4ELb0EEEvNS_4cuda6detail10TensorInfoIT_T0_EENS6_IKS7_S8_EEllS8_
		.amdhsa_group_segment_fixed_size 0
		.amdhsa_private_segment_fixed_size 0
		.amdhsa_kernarg_size 1112
		.amdhsa_user_sgpr_count 6
		.amdhsa_user_sgpr_private_segment_buffer 1
		.amdhsa_user_sgpr_dispatch_ptr 0
		.amdhsa_user_sgpr_queue_ptr 0
		.amdhsa_user_sgpr_kernarg_segment_ptr 1
		.amdhsa_user_sgpr_dispatch_id 0
		.amdhsa_user_sgpr_flat_scratch_init 0
		.amdhsa_user_sgpr_kernarg_preload_length 0
		.amdhsa_user_sgpr_kernarg_preload_offset 0
		.amdhsa_user_sgpr_private_segment_size 0
		.amdhsa_uses_dynamic_stack 0
		.amdhsa_system_sgpr_private_segment_wavefront_offset 0
		.amdhsa_system_sgpr_workgroup_id_x 1
		.amdhsa_system_sgpr_workgroup_id_y 0
		.amdhsa_system_sgpr_workgroup_id_z 0
		.amdhsa_system_sgpr_workgroup_info 0
		.amdhsa_system_vgpr_workitem_id 0
		.amdhsa_next_free_vgpr 25
		.amdhsa_next_free_sgpr 59
		.amdhsa_accum_offset 28
		.amdhsa_reserve_vcc 1
		.amdhsa_reserve_flat_scratch 0
		.amdhsa_float_round_mode_32 0
		.amdhsa_float_round_mode_16_64 0
		.amdhsa_float_denorm_mode_32 3
		.amdhsa_float_denorm_mode_16_64 3
		.amdhsa_dx10_clamp 1
		.amdhsa_ieee_mode 1
		.amdhsa_fp16_overflow 0
		.amdhsa_tg_split 0
		.amdhsa_exception_fp_ieee_invalid_op 0
		.amdhsa_exception_fp_denorm_src 0
		.amdhsa_exception_fp_ieee_div_zero 0
		.amdhsa_exception_fp_ieee_overflow 0
		.amdhsa_exception_fp_ieee_underflow 0
		.amdhsa_exception_fp_ieee_inexact 0
		.amdhsa_exception_int_div_zero 0
	.end_amdhsa_kernel
	.section	.text._ZN2at6native16triu_tril_kernelIN3c108BFloat16ElLb0ELi4ELb0EEEvNS_4cuda6detail10TensorInfoIT_T0_EENS6_IKS7_S8_EEllS8_,"axG",@progbits,_ZN2at6native16triu_tril_kernelIN3c108BFloat16ElLb0ELi4ELb0EEEvNS_4cuda6detail10TensorInfoIT_T0_EENS6_IKS7_S8_EEllS8_,comdat
.Lfunc_end47:
	.size	_ZN2at6native16triu_tril_kernelIN3c108BFloat16ElLb0ELi4ELb0EEEvNS_4cuda6detail10TensorInfoIT_T0_EENS6_IKS7_S8_EEllS8_, .Lfunc_end47-_ZN2at6native16triu_tril_kernelIN3c108BFloat16ElLb0ELi4ELb0EEEvNS_4cuda6detail10TensorInfoIT_T0_EENS6_IKS7_S8_EEllS8_
                                        ; -- End function
	.section	.AMDGPU.csdata,"",@progbits
; Kernel info:
; codeLenInByte = 3676
; NumSgprs: 63
; NumVgprs: 25
; NumAgprs: 0
; TotalNumVgprs: 25
; ScratchSize: 0
; MemoryBound: 0
; FloatMode: 240
; IeeeMode: 1
; LDSByteSize: 0 bytes/workgroup (compile time only)
; SGPRBlocks: 7
; VGPRBlocks: 3
; NumSGPRsForWavesPerEU: 63
; NumVGPRsForWavesPerEU: 25
; AccumOffset: 28
; Occupancy: 8
; WaveLimiterHint : 0
; COMPUTE_PGM_RSRC2:SCRATCH_EN: 0
; COMPUTE_PGM_RSRC2:USER_SGPR: 6
; COMPUTE_PGM_RSRC2:TRAP_HANDLER: 0
; COMPUTE_PGM_RSRC2:TGID_X_EN: 1
; COMPUTE_PGM_RSRC2:TGID_Y_EN: 0
; COMPUTE_PGM_RSRC2:TGID_Z_EN: 0
; COMPUTE_PGM_RSRC2:TIDIG_COMP_CNT: 0
; COMPUTE_PGM_RSRC3_GFX90A:ACCUM_OFFSET: 6
; COMPUTE_PGM_RSRC3_GFX90A:TG_SPLIT: 0
	.section	.text._ZN2at6native16triu_tril_kernelIbiLb0ELi4ELb1EEEvNS_4cuda6detail10TensorInfoIT_T0_EENS4_IKS5_S6_EEllS6_,"axG",@progbits,_ZN2at6native16triu_tril_kernelIbiLb0ELi4ELb1EEEvNS_4cuda6detail10TensorInfoIT_T0_EENS4_IKS5_S6_EEllS6_,comdat
	.protected	_ZN2at6native16triu_tril_kernelIbiLb0ELi4ELb1EEEvNS_4cuda6detail10TensorInfoIT_T0_EENS4_IKS5_S6_EEllS6_ ; -- Begin function _ZN2at6native16triu_tril_kernelIbiLb0ELi4ELb1EEEvNS_4cuda6detail10TensorInfoIT_T0_EENS4_IKS5_S6_EEllS6_
	.globl	_ZN2at6native16triu_tril_kernelIbiLb0ELi4ELb1EEEvNS_4cuda6detail10TensorInfoIT_T0_EENS4_IKS5_S6_EEllS6_
	.p2align	8
	.type	_ZN2at6native16triu_tril_kernelIbiLb0ELi4ELb1EEEvNS_4cuda6detail10TensorInfoIT_T0_EENS4_IKS5_S6_EEllS6_,@function
_ZN2at6native16triu_tril_kernelIbiLb0ELi4ELb1EEEvNS_4cuda6detail10TensorInfoIT_T0_EENS4_IKS5_S6_EEllS6_: ; @_ZN2at6native16triu_tril_kernelIbiLb0ELi4ELb1EEEvNS_4cuda6detail10TensorInfoIT_T0_EENS4_IKS5_S6_EEllS6_
; %bb.0:
	s_load_dword s2, s[4:5], 0x1d4
	s_load_dwordx4 s[8:11], s[4:5], 0x1b0
	s_add_u32 s0, s4, 0x1c8
	v_mov_b32_e32 v2, 0
	s_addc_u32 s1, s5, 0
	s_waitcnt lgkmcnt(0)
	s_and_b32 s7, s2, 0xffff
	v_mov_b32_e32 v1, v2
	v_mov_b32_e32 v3, s6
	v_mad_u64_u32 v[0:1], s[2:3], s7, v3, v[0:1]
	v_lshlrev_b64 v[0:1], 2, v[0:1]
	v_cmp_gt_i64_e32 vcc, s[10:11], v[0:1]
	s_and_saveexec_b64 s[2:3], vcc
	s_cbranch_execz .LBB48_69
; %bb.1:
	s_load_dword s33, s[4:5], 0x1c0
	s_load_dword s14, s[4:5], 0x1a8
	;; [unrolled: 1-line block ×3, first 2 shown]
	s_load_dwordx2 s[2:3], s[4:5], 0x0
	s_mov_b64 s[22:23], 0
	s_waitcnt lgkmcnt(0)
	s_ashr_i32 s38, s33, 31
	s_ashr_i32 s15, s14, 31
	s_add_u32 s39, s4, 0xe0
	s_addc_u32 s40, s5, 0
	s_add_i32 s0, s14, -2
	s_ashr_i32 s1, s0, 31
	s_lshl_b64 s[12:13], s[0:1], 2
	s_add_u32 s16, s39, s12
	s_addc_u32 s17, s40, s13
	s_load_dword s41, s[16:17], 0x0
	s_lshl_b64 s[16:17], s[14:15], 2
	s_mul_i32 s1, s6, s7
	v_cmp_gt_i64_e64 s[6:7], s[14:15], 2
	v_cvt_f32_u32_e32 v3, s33
	s_waitcnt lgkmcnt(0)
	s_ashr_i32 s42, s41, 31
	s_add_u32 s15, s16, -4
	s_addc_u32 s16, s17, -1
	s_add_u32 s43, s4, 0x6c
	s_addc_u32 s44, s5, 0
	s_add_u32 s4, s43, s15
	v_rcp_iflag_f32_e32 v3, v3
	s_addc_u32 s5, s44, s16
	s_add_u32 s12, s43, s12
	s_addc_u32 s13, s44, s13
	s_add_i32 s45, s14, -3
	s_add_u32 s14, s39, s15
	v_mul_f32_e32 v3, 0x4f7ffffe, v3
	s_addc_u32 s15, s40, s16
	s_lshl_b32 s46, s1, 2
	s_and_b32 s48, s0, 7
	v_cvt_u32_f32_e32 v26, v3
	s_cmp_lg_u32 s48, 0
	s_mov_b32 s17, 0
	s_cselect_b64 s[18:19], -1, 0
	s_cmp_gt_u32 s45, 6
	s_mov_b32 s47, s17
	s_cselect_b64 s[20:21], -1, 0
	s_branch .LBB48_3
.LBB48_2:                               ;   in Loop: Header=BB48_3 Depth=1
	s_or_b64 exec, exec, s[24:25]
	v_mov_b32_e32 v3, s47
	v_add_co_u32_e32 v0, vcc, s46, v0
	v_addc_co_u32_e32 v1, vcc, v1, v3, vcc
	v_cmp_le_i64_e32 vcc, s[10:11], v[0:1]
	s_or_b64 s[22:23], vcc, s[22:23]
	s_andn2_b64 exec, exec, s[22:23]
	s_cbranch_execz .LBB48_69
.LBB48_3:                               ; =>This Loop Header: Depth=1
                                        ;     Child Loop BB48_16 Depth 2
                                        ;     Child Loop BB48_23 Depth 2
	v_or_b32_e32 v3, s38, v1
	v_cmp_ne_u64_e32 vcc, 0, v[2:3]
                                        ; implicit-def: $vgpr4_vgpr5
	s_and_saveexec_b64 s[0:1], vcc
	s_xor_b64 s[24:25], exec, s[0:1]
	s_cbranch_execz .LBB48_5
; %bb.4:                                ;   in Loop: Header=BB48_3 Depth=1
	s_add_u32 s0, s33, s38
	s_mov_b32 s26, s38
	s_mov_b32 s27, s38
	s_addc_u32 s1, s38, s38
	s_xor_b64 s[28:29], s[0:1], s[26:27]
	v_cvt_f32_u32_e32 v3, s28
	v_cvt_f32_u32_e32 v4, s29
	s_sub_u32 s0, 0, s28
	s_subb_u32 s1, 0, s29
	v_mac_f32_e32 v3, 0x4f800000, v4
	v_rcp_f32_e32 v3, v3
	v_mul_f32_e32 v3, 0x5f7ffffc, v3
	v_mul_f32_e32 v4, 0x2f800000, v3
	v_trunc_f32_e32 v4, v4
	v_mac_f32_e32 v3, 0xcf800000, v4
	v_cvt_u32_f32_e32 v4, v4
	v_cvt_u32_f32_e32 v3, v3
	v_mul_lo_u32 v5, s0, v4
	v_mul_hi_u32 v7, s0, v3
	v_mul_lo_u32 v6, s1, v3
	v_add_u32_e32 v5, v7, v5
	v_mul_lo_u32 v8, s0, v3
	v_add_u32_e32 v5, v5, v6
	v_mul_lo_u32 v7, v3, v5
	v_mul_hi_u32 v9, v3, v8
	v_mul_hi_u32 v6, v3, v5
	v_add_co_u32_e32 v7, vcc, v9, v7
	v_addc_co_u32_e32 v6, vcc, 0, v6, vcc
	v_mul_hi_u32 v10, v4, v8
	v_mul_lo_u32 v8, v4, v8
	v_add_co_u32_e32 v7, vcc, v7, v8
	v_mul_hi_u32 v9, v4, v5
	v_addc_co_u32_e32 v6, vcc, v6, v10, vcc
	v_addc_co_u32_e32 v7, vcc, 0, v9, vcc
	v_mul_lo_u32 v5, v4, v5
	v_add_co_u32_e32 v5, vcc, v6, v5
	v_addc_co_u32_e32 v6, vcc, 0, v7, vcc
	v_add_co_u32_e32 v3, vcc, v3, v5
	v_addc_co_u32_e32 v4, vcc, v4, v6, vcc
	v_mul_lo_u32 v5, s0, v4
	v_mul_hi_u32 v6, s0, v3
	v_add_u32_e32 v5, v6, v5
	v_mul_lo_u32 v6, s1, v3
	v_add_u32_e32 v5, v5, v6
	v_mul_lo_u32 v7, s0, v3
	v_mul_hi_u32 v8, v4, v7
	v_mul_lo_u32 v9, v4, v7
	v_mul_lo_u32 v11, v3, v5
	v_mul_hi_u32 v7, v3, v7
	v_mul_hi_u32 v10, v3, v5
	v_add_co_u32_e32 v7, vcc, v7, v11
	v_addc_co_u32_e32 v10, vcc, 0, v10, vcc
	v_add_co_u32_e32 v7, vcc, v7, v9
	v_mul_hi_u32 v6, v4, v5
	v_addc_co_u32_e32 v7, vcc, v10, v8, vcc
	v_addc_co_u32_e32 v6, vcc, 0, v6, vcc
	v_mul_lo_u32 v5, v4, v5
	v_add_co_u32_e32 v5, vcc, v7, v5
	v_addc_co_u32_e32 v6, vcc, 0, v6, vcc
	v_add_co_u32_e32 v3, vcc, v3, v5
	v_addc_co_u32_e32 v6, vcc, v4, v6, vcc
	v_ashrrev_i32_e32 v8, 31, v1
	v_add_co_u32_e32 v4, vcc, v0, v8
	v_addc_co_u32_e32 v5, vcc, v1, v8, vcc
	v_xor_b32_e32 v10, v4, v8
	v_xor_b32_e32 v9, v5, v8
	v_mad_u64_u32 v[4:5], s[0:1], v10, v6, 0
	v_mul_hi_u32 v7, v10, v3
	v_add_co_u32_e32 v11, vcc, v7, v4
	v_addc_co_u32_e32 v12, vcc, 0, v5, vcc
	v_mad_u64_u32 v[4:5], s[0:1], v9, v6, 0
	v_mad_u64_u32 v[6:7], s[0:1], v9, v3, 0
	v_add_co_u32_e32 v3, vcc, v11, v6
	v_addc_co_u32_e32 v3, vcc, v12, v7, vcc
	v_addc_co_u32_e32 v5, vcc, 0, v5, vcc
	v_add_co_u32_e32 v3, vcc, v3, v4
	v_addc_co_u32_e32 v6, vcc, 0, v5, vcc
	v_mul_lo_u32 v7, s29, v3
	v_mul_lo_u32 v11, s28, v6
	v_mad_u64_u32 v[4:5], s[0:1], s28, v3, 0
	v_add3_u32 v5, v5, v11, v7
	v_sub_u32_e32 v7, v9, v5
	v_mov_b32_e32 v11, s29
	v_sub_co_u32_e32 v4, vcc, v10, v4
	v_subb_co_u32_e64 v7, s[0:1], v7, v11, vcc
	v_subrev_co_u32_e64 v10, s[0:1], s28, v4
	v_subbrev_co_u32_e64 v7, s[0:1], 0, v7, s[0:1]
	v_cmp_le_u32_e64 s[0:1], s29, v7
	v_cndmask_b32_e64 v11, 0, -1, s[0:1]
	v_cmp_le_u32_e64 s[0:1], s28, v10
	v_cndmask_b32_e64 v10, 0, -1, s[0:1]
	v_cmp_eq_u32_e64 s[0:1], s29, v7
	v_cndmask_b32_e64 v7, v11, v10, s[0:1]
	v_add_co_u32_e64 v10, s[0:1], 2, v3
	v_subb_co_u32_e32 v5, vcc, v9, v5, vcc
	v_addc_co_u32_e64 v11, s[0:1], 0, v6, s[0:1]
	v_cmp_le_u32_e32 vcc, s29, v5
	v_add_co_u32_e64 v12, s[0:1], 1, v3
	v_cndmask_b32_e64 v9, 0, -1, vcc
	v_cmp_le_u32_e32 vcc, s28, v4
	v_addc_co_u32_e64 v13, s[0:1], 0, v6, s[0:1]
	v_cndmask_b32_e64 v4, 0, -1, vcc
	v_cmp_eq_u32_e32 vcc, s29, v5
	v_cmp_ne_u32_e64 s[0:1], 0, v7
	v_cndmask_b32_e32 v4, v9, v4, vcc
	v_cndmask_b32_e64 v7, v13, v11, s[0:1]
	v_cmp_ne_u32_e32 vcc, 0, v4
	v_cndmask_b32_e64 v5, v12, v10, s[0:1]
	v_cndmask_b32_e32 v4, v6, v7, vcc
	v_cndmask_b32_e32 v3, v3, v5, vcc
	v_xor_b32_e32 v6, s26, v8
	v_xor_b32_e32 v5, s27, v8
	;; [unrolled: 1-line block ×4, first 2 shown]
	v_sub_co_u32_e32 v4, vcc, v3, v6
	v_subb_co_u32_e32 v5, vcc, v7, v5, vcc
.LBB48_5:                               ;   in Loop: Header=BB48_3 Depth=1
	s_andn2_saveexec_b64 s[0:1], s[24:25]
	s_cbranch_execz .LBB48_7
; %bb.6:                                ;   in Loop: Header=BB48_3 Depth=1
	s_sub_i32 s16, 0, s33
	v_mul_lo_u32 v3, s16, v26
	v_mul_hi_u32 v3, v26, v3
	v_add_u32_e32 v3, v26, v3
	v_mul_hi_u32 v3, v0, v3
	v_mul_lo_u32 v4, v3, s33
	v_sub_u32_e32 v4, v0, v4
	v_subrev_u32_e32 v5, s33, v4
	v_cmp_le_u32_e32 vcc, s33, v4
	v_cndmask_b32_e32 v4, v4, v5, vcc
	v_add_u32_e32 v5, 1, v3
	v_cndmask_b32_e32 v3, v3, v5, vcc
	v_add_u32_e32 v5, 1, v3
	v_cmp_le_u32_e32 vcc, s33, v4
	v_cndmask_b32_e32 v4, v3, v5, vcc
	v_mov_b32_e32 v5, v2
.LBB48_7:                               ;   in Loop: Header=BB48_3 Depth=1
	s_or_b64 exec, exec, s[0:1]
	v_or_b32_e32 v3, s42, v5
	v_cmp_ne_u64_e32 vcc, 0, v[2:3]
                                        ; implicit-def: $vgpr8_vgpr9
	s_and_saveexec_b64 s[0:1], vcc
	s_xor_b64 s[24:25], exec, s[0:1]
	s_cbranch_execz .LBB48_9
; %bb.8:                                ;   in Loop: Header=BB48_3 Depth=1
	s_add_u32 s0, s41, s42
	s_mov_b32 s26, s42
	s_mov_b32 s27, s42
	s_addc_u32 s1, s42, s42
	s_xor_b64 s[28:29], s[0:1], s[26:27]
	v_cvt_f32_u32_e32 v3, s28
	v_cvt_f32_u32_e32 v6, s29
	s_sub_u32 s0, 0, s28
	s_subb_u32 s1, 0, s29
	v_mac_f32_e32 v3, 0x4f800000, v6
	v_rcp_f32_e32 v3, v3
	v_mul_f32_e32 v3, 0x5f7ffffc, v3
	v_mul_f32_e32 v6, 0x2f800000, v3
	v_trunc_f32_e32 v6, v6
	v_mac_f32_e32 v3, 0xcf800000, v6
	v_cvt_u32_f32_e32 v6, v6
	v_cvt_u32_f32_e32 v3, v3
	v_mul_lo_u32 v7, s0, v6
	v_mul_hi_u32 v9, s0, v3
	v_mul_lo_u32 v8, s1, v3
	v_add_u32_e32 v7, v9, v7
	v_mul_lo_u32 v10, s0, v3
	v_add_u32_e32 v7, v7, v8
	v_mul_lo_u32 v9, v3, v7
	v_mul_hi_u32 v11, v3, v10
	v_mul_hi_u32 v8, v3, v7
	v_add_co_u32_e32 v9, vcc, v11, v9
	v_addc_co_u32_e32 v8, vcc, 0, v8, vcc
	v_mul_hi_u32 v12, v6, v10
	v_mul_lo_u32 v10, v6, v10
	v_add_co_u32_e32 v9, vcc, v9, v10
	v_mul_hi_u32 v11, v6, v7
	v_addc_co_u32_e32 v8, vcc, v8, v12, vcc
	v_addc_co_u32_e32 v9, vcc, 0, v11, vcc
	v_mul_lo_u32 v7, v6, v7
	v_add_co_u32_e32 v7, vcc, v8, v7
	v_addc_co_u32_e32 v8, vcc, 0, v9, vcc
	v_add_co_u32_e32 v3, vcc, v3, v7
	v_addc_co_u32_e32 v6, vcc, v6, v8, vcc
	v_mul_lo_u32 v7, s0, v6
	v_mul_hi_u32 v8, s0, v3
	v_add_u32_e32 v7, v8, v7
	v_mul_lo_u32 v8, s1, v3
	v_add_u32_e32 v7, v7, v8
	v_mul_lo_u32 v9, s0, v3
	v_mul_hi_u32 v10, v6, v9
	v_mul_lo_u32 v11, v6, v9
	v_mul_lo_u32 v13, v3, v7
	v_mul_hi_u32 v9, v3, v9
	v_mul_hi_u32 v12, v3, v7
	v_add_co_u32_e32 v9, vcc, v9, v13
	v_addc_co_u32_e32 v12, vcc, 0, v12, vcc
	v_add_co_u32_e32 v9, vcc, v9, v11
	v_mul_hi_u32 v8, v6, v7
	v_addc_co_u32_e32 v9, vcc, v12, v10, vcc
	v_addc_co_u32_e32 v8, vcc, 0, v8, vcc
	v_mul_lo_u32 v7, v6, v7
	v_add_co_u32_e32 v7, vcc, v9, v7
	v_addc_co_u32_e32 v8, vcc, 0, v8, vcc
	v_add_co_u32_e32 v3, vcc, v3, v7
	v_addc_co_u32_e32 v8, vcc, v6, v8, vcc
	v_ashrrev_i32_e32 v10, 31, v5
	v_add_co_u32_e32 v6, vcc, v4, v10
	v_xor_b32_e32 v11, v6, v10
	v_addc_co_u32_e32 v5, vcc, v5, v10, vcc
	v_mad_u64_u32 v[6:7], s[0:1], v11, v8, 0
	v_mul_hi_u32 v9, v11, v3
	v_xor_b32_e32 v5, v5, v10
	v_add_co_u32_e32 v12, vcc, v9, v6
	v_addc_co_u32_e32 v13, vcc, 0, v7, vcc
	v_mad_u64_u32 v[6:7], s[0:1], v5, v8, 0
	v_mad_u64_u32 v[8:9], s[0:1], v5, v3, 0
	v_add_co_u32_e32 v3, vcc, v12, v8
	v_addc_co_u32_e32 v3, vcc, v13, v9, vcc
	v_addc_co_u32_e32 v7, vcc, 0, v7, vcc
	v_add_co_u32_e32 v3, vcc, v3, v6
	v_addc_co_u32_e32 v8, vcc, 0, v7, vcc
	v_mul_lo_u32 v9, s29, v3
	v_mul_lo_u32 v12, s28, v8
	v_mad_u64_u32 v[6:7], s[0:1], s28, v3, 0
	v_add3_u32 v7, v7, v12, v9
	v_sub_u32_e32 v9, v5, v7
	v_mov_b32_e32 v12, s29
	v_sub_co_u32_e32 v6, vcc, v11, v6
	v_subb_co_u32_e64 v9, s[0:1], v9, v12, vcc
	v_subrev_co_u32_e64 v11, s[0:1], s28, v6
	v_subbrev_co_u32_e64 v9, s[0:1], 0, v9, s[0:1]
	v_cmp_le_u32_e64 s[0:1], s29, v9
	v_cndmask_b32_e64 v12, 0, -1, s[0:1]
	v_cmp_le_u32_e64 s[0:1], s28, v11
	v_cndmask_b32_e64 v11, 0, -1, s[0:1]
	v_cmp_eq_u32_e64 s[0:1], s29, v9
	v_cndmask_b32_e64 v9, v12, v11, s[0:1]
	v_add_co_u32_e64 v11, s[0:1], 2, v3
	v_subb_co_u32_e32 v5, vcc, v5, v7, vcc
	v_addc_co_u32_e64 v12, s[0:1], 0, v8, s[0:1]
	v_cmp_le_u32_e32 vcc, s29, v5
	v_add_co_u32_e64 v13, s[0:1], 1, v3
	v_cndmask_b32_e64 v7, 0, -1, vcc
	v_cmp_le_u32_e32 vcc, s28, v6
	v_addc_co_u32_e64 v14, s[0:1], 0, v8, s[0:1]
	v_cndmask_b32_e64 v6, 0, -1, vcc
	v_cmp_eq_u32_e32 vcc, s29, v5
	v_cmp_ne_u32_e64 s[0:1], 0, v9
	v_cndmask_b32_e32 v5, v7, v6, vcc
	v_cmp_ne_u32_e32 vcc, 0, v5
	v_cndmask_b32_e64 v6, v13, v11, s[0:1]
	v_cndmask_b32_e64 v9, v14, v12, s[0:1]
	v_cndmask_b32_e32 v3, v3, v6, vcc
	v_xor_b32_e32 v7, s26, v10
	v_cndmask_b32_e32 v5, v8, v9, vcc
	v_xor_b32_e32 v6, s27, v10
	v_xor_b32_e32 v3, v3, v7
	;; [unrolled: 1-line block ×3, first 2 shown]
	v_sub_co_u32_e32 v8, vcc, v3, v7
	v_subb_co_u32_e32 v9, vcc, v5, v6, vcc
.LBB48_9:                               ;   in Loop: Header=BB48_3 Depth=1
	s_andn2_saveexec_b64 s[0:1], s[24:25]
	s_cbranch_execz .LBB48_11
; %bb.10:                               ;   in Loop: Header=BB48_3 Depth=1
	v_cvt_f32_u32_e32 v3, s41
	s_sub_i32 s16, 0, s41
	v_mov_b32_e32 v9, v2
	v_rcp_iflag_f32_e32 v3, v3
	v_mul_f32_e32 v3, 0x4f7ffffe, v3
	v_cvt_u32_f32_e32 v3, v3
	v_mul_lo_u32 v5, s16, v3
	v_mul_hi_u32 v5, v3, v5
	v_add_u32_e32 v3, v3, v5
	v_mul_hi_u32 v3, v4, v3
	v_mul_lo_u32 v5, v3, s41
	v_sub_u32_e32 v5, v4, v5
	v_add_u32_e32 v6, 1, v3
	v_subrev_u32_e32 v7, s41, v5
	v_cmp_le_u32_e32 vcc, s41, v5
	v_cndmask_b32_e32 v5, v5, v7, vcc
	v_cndmask_b32_e32 v3, v3, v6, vcc
	v_add_u32_e32 v6, 1, v3
	v_cmp_le_u32_e32 vcc, s41, v5
	v_cndmask_b32_e32 v8, v3, v6, vcc
.LBB48_11:                              ;   in Loop: Header=BB48_3 Depth=1
	s_or_b64 exec, exec, s[0:1]
	v_mad_u64_u32 v[6:7], s[0:1], v4, s33, 0
	v_sub_co_u32_e32 v28, vcc, v0, v6
	v_mad_u64_u32 v[6:7], s[0:1], v8, s41, 0
	v_sub_co_u32_e32 v27, vcc, v4, v6
	v_sub_u32_e32 v6, v28, v27
	v_add_u32_e32 v4, 4, v6
	v_ashrrev_i32_e32 v5, 31, v4
	v_cmp_lt_i64_e32 vcc, s[8:9], v[4:5]
	s_and_saveexec_b64 s[24:25], vcc
	s_cbranch_execz .LBB48_2
; %bb.12:                               ;   in Loop: Header=BB48_3 Depth=1
	s_load_dword s49, s[4:5], 0x0
	s_load_dword s0, s[12:13], 0x0
	s_andn2_b64 vcc, exec, s[6:7]
	s_waitcnt lgkmcnt(0)
	v_mul_lo_u32 v4, s49, v28
	v_mad_u64_u32 v[4:5], s[0:1], s0, v27, v[4:5]
	s_cbranch_vccnz .LBB48_57
; %bb.13:                               ;   in Loop: Header=BB48_3 Depth=1
	s_andn2_b64 vcc, exec, s[18:19]
	s_cbranch_vccnz .LBB48_20
; %bb.14:                               ;   in Loop: Header=BB48_3 Depth=1
	s_mov_b32 s36, s48
	s_mov_b32 s16, s45
	s_branch .LBB48_16
.LBB48_15:                              ;   in Loop: Header=BB48_16 Depth=2
	s_or_b64 exec, exec, s[0:1]
	s_add_u32 s0, s43, s26
	s_addc_u32 s1, s44, s27
	s_load_dword s0, s[0:1], 0x0
	v_mul_lo_u32 v3, v8, s37
	v_sub_u32_e32 v3, v10, v3
	s_add_i32 s16, s16, -1
	s_add_i32 s36, s36, -1
	s_cmp_lg_u32 s36, 0
	s_waitcnt lgkmcnt(0)
	v_mad_u64_u32 v[4:5], s[0:1], s0, v3, v[4:5]
	s_cbranch_scc0 .LBB48_21
.LBB48_16:                              ;   Parent Loop BB48_3 Depth=1
                                        ; =>  This Inner Loop Header: Depth=2
	s_lshl_b64 s[26:27], s[16:17], 2
	s_add_u32 s0, s39, s26
	s_addc_u32 s1, s40, s27
	s_load_dword s37, s[0:1], 0x0
	v_pk_mov_b32 v[10:11], v[8:9], v[8:9] op_sel:[0,1]
                                        ; implicit-def: $vgpr8_vgpr9
	s_waitcnt lgkmcnt(0)
	s_ashr_i32 s0, s37, 31
	v_or_b32_e32 v3, s0, v11
	v_cmp_ne_u64_e32 vcc, 0, v[2:3]
	s_and_saveexec_b64 s[28:29], vcc
	s_xor_b64 s[28:29], exec, s[28:29]
	s_cbranch_execz .LBB48_18
; %bb.17:                               ;   in Loop: Header=BB48_16 Depth=2
	s_add_u32 s34, s37, s0
	s_mov_b32 s30, s0
	s_mov_b32 s31, s0
	s_addc_u32 s35, s0, s0
	s_xor_b64 s[34:35], s[34:35], s[30:31]
	v_cvt_f32_u32_e32 v3, s34
	v_cvt_f32_u32_e32 v5, s35
	s_sub_u32 s0, 0, s34
	s_subb_u32 s1, 0, s35
	v_mac_f32_e32 v3, 0x4f800000, v5
	v_rcp_f32_e32 v3, v3
	v_mul_f32_e32 v3, 0x5f7ffffc, v3
	v_mul_f32_e32 v5, 0x2f800000, v3
	v_trunc_f32_e32 v5, v5
	v_mac_f32_e32 v3, 0xcf800000, v5
	v_cvt_u32_f32_e32 v5, v5
	v_cvt_u32_f32_e32 v3, v3
	v_mul_lo_u32 v7, s0, v5
	v_mul_hi_u32 v9, s0, v3
	v_mul_lo_u32 v8, s1, v3
	v_add_u32_e32 v7, v9, v7
	v_mul_lo_u32 v12, s0, v3
	v_add_u32_e32 v7, v7, v8
	v_mul_lo_u32 v9, v3, v7
	v_mul_hi_u32 v13, v3, v12
	v_mul_hi_u32 v8, v3, v7
	v_add_co_u32_e32 v9, vcc, v13, v9
	v_addc_co_u32_e32 v8, vcc, 0, v8, vcc
	v_mul_hi_u32 v14, v5, v12
	v_mul_lo_u32 v12, v5, v12
	v_add_co_u32_e32 v9, vcc, v9, v12
	v_mul_hi_u32 v13, v5, v7
	v_addc_co_u32_e32 v8, vcc, v8, v14, vcc
	v_addc_co_u32_e32 v9, vcc, 0, v13, vcc
	v_mul_lo_u32 v7, v5, v7
	v_add_co_u32_e32 v7, vcc, v8, v7
	v_addc_co_u32_e32 v8, vcc, 0, v9, vcc
	v_add_co_u32_e32 v3, vcc, v3, v7
	v_addc_co_u32_e32 v5, vcc, v5, v8, vcc
	v_mul_lo_u32 v7, s0, v5
	v_mul_hi_u32 v8, s0, v3
	v_add_u32_e32 v7, v8, v7
	v_mul_lo_u32 v8, s1, v3
	v_add_u32_e32 v7, v7, v8
	v_mul_lo_u32 v9, s0, v3
	v_mul_hi_u32 v12, v5, v9
	v_mul_lo_u32 v13, v5, v9
	v_mul_lo_u32 v15, v3, v7
	v_mul_hi_u32 v9, v3, v9
	v_mul_hi_u32 v14, v3, v7
	v_add_co_u32_e32 v9, vcc, v9, v15
	v_addc_co_u32_e32 v14, vcc, 0, v14, vcc
	v_add_co_u32_e32 v9, vcc, v9, v13
	v_mul_hi_u32 v8, v5, v7
	v_addc_co_u32_e32 v9, vcc, v14, v12, vcc
	v_addc_co_u32_e32 v8, vcc, 0, v8, vcc
	v_mul_lo_u32 v7, v5, v7
	v_add_co_u32_e32 v7, vcc, v9, v7
	v_addc_co_u32_e32 v8, vcc, 0, v8, vcc
	v_add_co_u32_e32 v3, vcc, v3, v7
	v_addc_co_u32_e32 v5, vcc, v5, v8, vcc
	v_ashrrev_i32_e32 v7, 31, v11
	v_add_co_u32_e32 v8, vcc, v10, v7
	v_addc_co_u32_e32 v9, vcc, v11, v7, vcc
	v_xor_b32_e32 v14, v8, v7
	v_xor_b32_e32 v11, v9, v7
	v_mad_u64_u32 v[8:9], s[0:1], v14, v5, 0
	v_mul_hi_u32 v12, v14, v3
	v_add_co_u32_e32 v15, vcc, v12, v8
	v_addc_co_u32_e32 v16, vcc, 0, v9, vcc
	v_mad_u64_u32 v[12:13], s[0:1], v11, v3, 0
	v_add_co_u32_e32 v3, vcc, v15, v12
	v_mad_u64_u32 v[8:9], s[0:1], v11, v5, 0
	v_addc_co_u32_e32 v3, vcc, v16, v13, vcc
	v_addc_co_u32_e32 v5, vcc, 0, v9, vcc
	v_add_co_u32_e32 v3, vcc, v3, v8
	v_addc_co_u32_e32 v5, vcc, 0, v5, vcc
	v_mul_lo_u32 v12, s35, v3
	v_mul_lo_u32 v13, s34, v5
	v_mad_u64_u32 v[8:9], s[0:1], s34, v3, 0
	v_add3_u32 v9, v9, v13, v12
	v_sub_u32_e32 v12, v11, v9
	v_mov_b32_e32 v13, s35
	v_sub_co_u32_e32 v8, vcc, v14, v8
	v_subb_co_u32_e64 v12, s[0:1], v12, v13, vcc
	v_subrev_co_u32_e64 v13, s[0:1], s34, v8
	v_subbrev_co_u32_e64 v12, s[0:1], 0, v12, s[0:1]
	v_cmp_le_u32_e64 s[0:1], s35, v12
	v_cndmask_b32_e64 v14, 0, -1, s[0:1]
	v_cmp_le_u32_e64 s[0:1], s34, v13
	v_cndmask_b32_e64 v13, 0, -1, s[0:1]
	v_cmp_eq_u32_e64 s[0:1], s35, v12
	v_cndmask_b32_e64 v12, v14, v13, s[0:1]
	v_add_co_u32_e64 v13, s[0:1], 2, v3
	v_subb_co_u32_e32 v9, vcc, v11, v9, vcc
	v_addc_co_u32_e64 v14, s[0:1], 0, v5, s[0:1]
	v_cmp_le_u32_e32 vcc, s35, v9
	v_add_co_u32_e64 v15, s[0:1], 1, v3
	v_cndmask_b32_e64 v11, 0, -1, vcc
	v_cmp_le_u32_e32 vcc, s34, v8
	v_addc_co_u32_e64 v16, s[0:1], 0, v5, s[0:1]
	v_cndmask_b32_e64 v8, 0, -1, vcc
	v_cmp_eq_u32_e32 vcc, s35, v9
	v_cmp_ne_u32_e64 s[0:1], 0, v12
	v_cndmask_b32_e32 v8, v11, v8, vcc
	v_cmp_ne_u32_e32 vcc, 0, v8
	v_cndmask_b32_e64 v8, v15, v13, s[0:1]
	v_cndmask_b32_e64 v12, v16, v14, s[0:1]
	v_cndmask_b32_e32 v3, v3, v8, vcc
	v_xor_b32_e32 v9, s31, v7
	v_xor_b32_e32 v7, s30, v7
	v_cndmask_b32_e32 v5, v5, v12, vcc
	v_xor_b32_e32 v3, v3, v7
	v_xor_b32_e32 v5, v5, v9
	v_sub_co_u32_e32 v8, vcc, v3, v7
	v_subb_co_u32_e32 v9, vcc, v5, v9, vcc
.LBB48_18:                              ;   in Loop: Header=BB48_16 Depth=2
	s_andn2_saveexec_b64 s[0:1], s[28:29]
	s_cbranch_execz .LBB48_15
; %bb.19:                               ;   in Loop: Header=BB48_16 Depth=2
	v_cvt_f32_u32_e32 v3, s37
	s_sub_i32 s28, 0, s37
	v_mov_b32_e32 v9, v2
	v_rcp_iflag_f32_e32 v3, v3
	v_mul_f32_e32 v3, 0x4f7ffffe, v3
	v_cvt_u32_f32_e32 v3, v3
	v_mul_lo_u32 v5, s28, v3
	v_mul_hi_u32 v5, v3, v5
	v_add_u32_e32 v3, v3, v5
	v_mul_hi_u32 v3, v10, v3
	v_mul_lo_u32 v5, v3, s37
	v_sub_u32_e32 v5, v10, v5
	v_add_u32_e32 v7, 1, v3
	v_subrev_u32_e32 v8, s37, v5
	v_cmp_le_u32_e32 vcc, s37, v5
	v_cndmask_b32_e32 v5, v5, v8, vcc
	v_cndmask_b32_e32 v3, v3, v7, vcc
	v_add_u32_e32 v7, 1, v3
	v_cmp_le_u32_e32 vcc, s37, v5
	v_cndmask_b32_e32 v8, v3, v7, vcc
	s_branch .LBB48_15
.LBB48_20:                              ;   in Loop: Header=BB48_3 Depth=1
	s_mov_b32 s16, s45
.LBB48_21:                              ;   in Loop: Header=BB48_3 Depth=1
	s_andn2_b64 vcc, exec, s[20:21]
	s_cbranch_vccnz .LBB48_57
; %bb.22:                               ;   in Loop: Header=BB48_3 Depth=1
	s_add_i32 s26, s16, -7
.LBB48_23:                              ;   Parent Loop BB48_3 Depth=1
                                        ; =>  This Inner Loop Header: Depth=2
	s_add_i32 s16, s26, 7
	s_lshl_b64 s[28:29], s[16:17], 2
	s_add_u32 s0, s39, s28
	s_addc_u32 s1, s40, s29
	s_load_dword s50, s[0:1], 0x0
                                        ; implicit-def: $vgpr10_vgpr11
	s_waitcnt lgkmcnt(0)
	s_ashr_i32 s0, s50, 31
	v_or_b32_e32 v3, s0, v9
	v_cmp_ne_u64_e32 vcc, 0, v[2:3]
	s_and_saveexec_b64 s[30:31], vcc
	s_xor_b64 s[30:31], exec, s[30:31]
	s_cbranch_execz .LBB48_25
; %bb.24:                               ;   in Loop: Header=BB48_23 Depth=2
	s_add_u32 s36, s50, s0
	s_mov_b32 s34, s0
	s_mov_b32 s35, s0
	s_addc_u32 s37, s0, s0
	s_xor_b64 s[36:37], s[36:37], s[34:35]
	v_cvt_f32_u32_e32 v3, s36
	v_cvt_f32_u32_e32 v5, s37
	s_sub_u32 s0, 0, s36
	s_subb_u32 s1, 0, s37
	v_mac_f32_e32 v3, 0x4f800000, v5
	v_rcp_f32_e32 v3, v3
	v_mul_f32_e32 v3, 0x5f7ffffc, v3
	v_mul_f32_e32 v5, 0x2f800000, v3
	v_trunc_f32_e32 v5, v5
	v_mac_f32_e32 v3, 0xcf800000, v5
	v_cvt_u32_f32_e32 v5, v5
	v_cvt_u32_f32_e32 v3, v3
	v_mul_lo_u32 v7, s0, v5
	v_mul_hi_u32 v11, s0, v3
	v_mul_lo_u32 v10, s1, v3
	v_add_u32_e32 v7, v11, v7
	v_mul_lo_u32 v12, s0, v3
	v_add_u32_e32 v7, v7, v10
	v_mul_lo_u32 v11, v3, v7
	v_mul_hi_u32 v13, v3, v12
	v_mul_hi_u32 v10, v3, v7
	v_add_co_u32_e32 v11, vcc, v13, v11
	v_addc_co_u32_e32 v10, vcc, 0, v10, vcc
	v_mul_hi_u32 v14, v5, v12
	v_mul_lo_u32 v12, v5, v12
	v_add_co_u32_e32 v11, vcc, v11, v12
	v_mul_hi_u32 v13, v5, v7
	v_addc_co_u32_e32 v10, vcc, v10, v14, vcc
	v_addc_co_u32_e32 v11, vcc, 0, v13, vcc
	v_mul_lo_u32 v7, v5, v7
	v_add_co_u32_e32 v7, vcc, v10, v7
	v_addc_co_u32_e32 v10, vcc, 0, v11, vcc
	v_add_co_u32_e32 v3, vcc, v3, v7
	v_addc_co_u32_e32 v5, vcc, v5, v10, vcc
	v_mul_lo_u32 v7, s0, v5
	v_mul_hi_u32 v10, s0, v3
	v_add_u32_e32 v7, v10, v7
	v_mul_lo_u32 v10, s1, v3
	v_add_u32_e32 v7, v7, v10
	v_mul_lo_u32 v11, s0, v3
	v_mul_hi_u32 v12, v5, v11
	v_mul_lo_u32 v13, v5, v11
	v_mul_lo_u32 v15, v3, v7
	v_mul_hi_u32 v11, v3, v11
	v_mul_hi_u32 v14, v3, v7
	v_add_co_u32_e32 v11, vcc, v11, v15
	v_addc_co_u32_e32 v14, vcc, 0, v14, vcc
	v_add_co_u32_e32 v11, vcc, v11, v13
	v_mul_hi_u32 v10, v5, v7
	v_addc_co_u32_e32 v11, vcc, v14, v12, vcc
	v_addc_co_u32_e32 v10, vcc, 0, v10, vcc
	v_mul_lo_u32 v7, v5, v7
	v_add_co_u32_e32 v7, vcc, v11, v7
	v_addc_co_u32_e32 v10, vcc, 0, v10, vcc
	v_add_co_u32_e32 v3, vcc, v3, v7
	v_addc_co_u32_e32 v5, vcc, v5, v10, vcc
	v_ashrrev_i32_e32 v7, 31, v9
	v_add_co_u32_e32 v10, vcc, v8, v7
	v_xor_b32_e32 v14, v10, v7
	v_addc_co_u32_e32 v9, vcc, v9, v7, vcc
	v_mad_u64_u32 v[10:11], s[0:1], v14, v5, 0
	v_mul_hi_u32 v12, v14, v3
	v_xor_b32_e32 v9, v9, v7
	v_add_co_u32_e32 v15, vcc, v12, v10
	v_addc_co_u32_e32 v16, vcc, 0, v11, vcc
	v_mad_u64_u32 v[12:13], s[0:1], v9, v3, 0
	v_add_co_u32_e32 v3, vcc, v15, v12
	v_mad_u64_u32 v[10:11], s[0:1], v9, v5, 0
	v_addc_co_u32_e32 v3, vcc, v16, v13, vcc
	v_addc_co_u32_e32 v5, vcc, 0, v11, vcc
	v_add_co_u32_e32 v3, vcc, v3, v10
	v_addc_co_u32_e32 v5, vcc, 0, v5, vcc
	v_mul_lo_u32 v12, s37, v3
	v_mul_lo_u32 v13, s36, v5
	v_mad_u64_u32 v[10:11], s[0:1], s36, v3, 0
	v_add3_u32 v11, v11, v13, v12
	v_sub_u32_e32 v12, v9, v11
	v_mov_b32_e32 v13, s37
	v_sub_co_u32_e32 v10, vcc, v14, v10
	v_subb_co_u32_e64 v12, s[0:1], v12, v13, vcc
	v_subrev_co_u32_e64 v13, s[0:1], s36, v10
	v_subbrev_co_u32_e64 v12, s[0:1], 0, v12, s[0:1]
	v_cmp_le_u32_e64 s[0:1], s37, v12
	v_cndmask_b32_e64 v14, 0, -1, s[0:1]
	v_cmp_le_u32_e64 s[0:1], s36, v13
	v_cndmask_b32_e64 v13, 0, -1, s[0:1]
	v_cmp_eq_u32_e64 s[0:1], s37, v12
	v_cndmask_b32_e64 v12, v14, v13, s[0:1]
	v_add_co_u32_e64 v13, s[0:1], 2, v3
	v_subb_co_u32_e32 v9, vcc, v9, v11, vcc
	v_addc_co_u32_e64 v14, s[0:1], 0, v5, s[0:1]
	v_cmp_le_u32_e32 vcc, s37, v9
	v_add_co_u32_e64 v15, s[0:1], 1, v3
	v_cndmask_b32_e64 v11, 0, -1, vcc
	v_cmp_le_u32_e32 vcc, s36, v10
	v_addc_co_u32_e64 v16, s[0:1], 0, v5, s[0:1]
	v_cndmask_b32_e64 v10, 0, -1, vcc
	v_cmp_eq_u32_e32 vcc, s37, v9
	v_cmp_ne_u32_e64 s[0:1], 0, v12
	v_cndmask_b32_e32 v9, v11, v10, vcc
	v_cmp_ne_u32_e32 vcc, 0, v9
	v_cndmask_b32_e64 v9, v15, v13, s[0:1]
	v_cndmask_b32_e64 v12, v16, v14, s[0:1]
	v_cndmask_b32_e32 v3, v3, v9, vcc
	v_xor_b32_e32 v9, s35, v7
	v_xor_b32_e32 v7, s34, v7
	v_cndmask_b32_e32 v5, v5, v12, vcc
	v_xor_b32_e32 v3, v3, v7
	v_xor_b32_e32 v5, v5, v9
	v_sub_co_u32_e32 v10, vcc, v3, v7
	v_subb_co_u32_e32 v11, vcc, v5, v9, vcc
.LBB48_25:                              ;   in Loop: Header=BB48_23 Depth=2
	s_andn2_saveexec_b64 s[0:1], s[30:31]
	s_cbranch_execz .LBB48_27
; %bb.26:                               ;   in Loop: Header=BB48_23 Depth=2
	v_cvt_f32_u32_e32 v3, s50
	s_sub_i32 s16, 0, s50
	v_mov_b32_e32 v11, v2
	v_rcp_iflag_f32_e32 v3, v3
	v_mul_f32_e32 v3, 0x4f7ffffe, v3
	v_cvt_u32_f32_e32 v3, v3
	v_mul_lo_u32 v5, s16, v3
	v_mul_hi_u32 v5, v3, v5
	v_add_u32_e32 v3, v3, v5
	v_mul_hi_u32 v3, v8, v3
	v_mul_lo_u32 v5, v3, s50
	v_sub_u32_e32 v5, v8, v5
	v_add_u32_e32 v7, 1, v3
	v_subrev_u32_e32 v9, s50, v5
	v_cmp_le_u32_e32 vcc, s50, v5
	v_cndmask_b32_e32 v5, v5, v9, vcc
	v_cndmask_b32_e32 v3, v3, v7, vcc
	v_add_u32_e32 v7, 1, v3
	v_cmp_le_u32_e32 vcc, s50, v5
	v_cndmask_b32_e32 v10, v3, v7, vcc
.LBB48_27:                              ;   in Loop: Header=BB48_23 Depth=2
	s_or_b64 exec, exec, s[0:1]
	s_add_u32 s0, s43, s28
	s_addc_u32 s1, s44, s29
	s_add_i32 s16, s26, 6
	s_lshl_b64 s[28:29], s[16:17], 2
	s_add_u32 s30, s39, s28
	s_addc_u32 s31, s40, s29
	s_load_dword s51, s[30:31], 0x0
	s_load_dword s52, s[0:1], 0x0
                                        ; implicit-def: $vgpr12_vgpr13
	s_waitcnt lgkmcnt(0)
	s_ashr_i32 s0, s51, 31
	v_or_b32_e32 v3, s0, v11
	v_cmp_ne_u64_e32 vcc, 0, v[2:3]
	s_and_saveexec_b64 s[30:31], vcc
	s_xor_b64 s[30:31], exec, s[30:31]
	s_cbranch_execz .LBB48_29
; %bb.28:                               ;   in Loop: Header=BB48_23 Depth=2
	s_add_u32 s36, s51, s0
	s_mov_b32 s34, s0
	s_mov_b32 s35, s0
	s_addc_u32 s37, s0, s0
	s_xor_b64 s[36:37], s[36:37], s[34:35]
	v_cvt_f32_u32_e32 v3, s36
	v_cvt_f32_u32_e32 v5, s37
	s_sub_u32 s0, 0, s36
	s_subb_u32 s1, 0, s37
	v_mac_f32_e32 v3, 0x4f800000, v5
	v_rcp_f32_e32 v3, v3
	v_mul_f32_e32 v3, 0x5f7ffffc, v3
	v_mul_f32_e32 v5, 0x2f800000, v3
	v_trunc_f32_e32 v5, v5
	v_mac_f32_e32 v3, 0xcf800000, v5
	v_cvt_u32_f32_e32 v5, v5
	v_cvt_u32_f32_e32 v3, v3
	v_mul_lo_u32 v7, s0, v5
	v_mul_hi_u32 v12, s0, v3
	v_mul_lo_u32 v9, s1, v3
	v_add_u32_e32 v7, v12, v7
	v_mul_lo_u32 v13, s0, v3
	v_add_u32_e32 v7, v7, v9
	v_mul_lo_u32 v12, v3, v7
	v_mul_hi_u32 v14, v3, v13
	v_mul_hi_u32 v9, v3, v7
	v_add_co_u32_e32 v12, vcc, v14, v12
	v_addc_co_u32_e32 v9, vcc, 0, v9, vcc
	v_mul_hi_u32 v15, v5, v13
	v_mul_lo_u32 v13, v5, v13
	v_add_co_u32_e32 v12, vcc, v12, v13
	v_mul_hi_u32 v14, v5, v7
	v_addc_co_u32_e32 v9, vcc, v9, v15, vcc
	v_addc_co_u32_e32 v12, vcc, 0, v14, vcc
	v_mul_lo_u32 v7, v5, v7
	v_add_co_u32_e32 v7, vcc, v9, v7
	v_addc_co_u32_e32 v9, vcc, 0, v12, vcc
	v_add_co_u32_e32 v3, vcc, v3, v7
	v_addc_co_u32_e32 v5, vcc, v5, v9, vcc
	v_mul_lo_u32 v7, s0, v5
	v_mul_hi_u32 v9, s0, v3
	v_add_u32_e32 v7, v9, v7
	v_mul_lo_u32 v9, s1, v3
	v_add_u32_e32 v7, v7, v9
	v_mul_lo_u32 v12, s0, v3
	v_mul_hi_u32 v13, v5, v12
	v_mul_lo_u32 v14, v5, v12
	v_mul_lo_u32 v16, v3, v7
	v_mul_hi_u32 v12, v3, v12
	v_mul_hi_u32 v15, v3, v7
	v_add_co_u32_e32 v12, vcc, v12, v16
	v_addc_co_u32_e32 v15, vcc, 0, v15, vcc
	v_add_co_u32_e32 v12, vcc, v12, v14
	v_mul_hi_u32 v9, v5, v7
	v_addc_co_u32_e32 v12, vcc, v15, v13, vcc
	v_addc_co_u32_e32 v9, vcc, 0, v9, vcc
	v_mul_lo_u32 v7, v5, v7
	v_add_co_u32_e32 v7, vcc, v12, v7
	v_addc_co_u32_e32 v9, vcc, 0, v9, vcc
	v_add_co_u32_e32 v3, vcc, v3, v7
	v_addc_co_u32_e32 v5, vcc, v5, v9, vcc
	v_ashrrev_i32_e32 v7, 31, v11
	v_add_co_u32_e32 v9, vcc, v10, v7
	v_xor_b32_e32 v9, v9, v7
	v_addc_co_u32_e32 v11, vcc, v11, v7, vcc
	v_mad_u64_u32 v[12:13], s[0:1], v9, v5, 0
	v_mul_hi_u32 v14, v9, v3
	v_xor_b32_e32 v11, v11, v7
	v_add_co_u32_e32 v16, vcc, v14, v12
	v_addc_co_u32_e32 v17, vcc, 0, v13, vcc
	v_mad_u64_u32 v[14:15], s[0:1], v11, v3, 0
	v_add_co_u32_e32 v3, vcc, v16, v14
	v_mad_u64_u32 v[12:13], s[0:1], v11, v5, 0
	v_addc_co_u32_e32 v3, vcc, v17, v15, vcc
	v_addc_co_u32_e32 v5, vcc, 0, v13, vcc
	v_add_co_u32_e32 v3, vcc, v3, v12
	v_addc_co_u32_e32 v5, vcc, 0, v5, vcc
	v_mul_lo_u32 v14, s37, v3
	v_mul_lo_u32 v15, s36, v5
	v_mad_u64_u32 v[12:13], s[0:1], s36, v3, 0
	v_add3_u32 v13, v13, v15, v14
	v_sub_u32_e32 v14, v11, v13
	v_mov_b32_e32 v15, s37
	v_sub_co_u32_e32 v9, vcc, v9, v12
	v_subb_co_u32_e64 v12, s[0:1], v14, v15, vcc
	v_subrev_co_u32_e64 v14, s[0:1], s36, v9
	v_subbrev_co_u32_e64 v12, s[0:1], 0, v12, s[0:1]
	v_cmp_le_u32_e64 s[0:1], s37, v12
	v_cndmask_b32_e64 v15, 0, -1, s[0:1]
	v_cmp_le_u32_e64 s[0:1], s36, v14
	v_cndmask_b32_e64 v14, 0, -1, s[0:1]
	v_cmp_eq_u32_e64 s[0:1], s37, v12
	v_cndmask_b32_e64 v12, v15, v14, s[0:1]
	v_add_co_u32_e64 v14, s[0:1], 2, v3
	v_subb_co_u32_e32 v11, vcc, v11, v13, vcc
	v_addc_co_u32_e64 v15, s[0:1], 0, v5, s[0:1]
	v_cmp_le_u32_e32 vcc, s37, v11
	v_add_co_u32_e64 v16, s[0:1], 1, v3
	v_cndmask_b32_e64 v13, 0, -1, vcc
	v_cmp_le_u32_e32 vcc, s36, v9
	v_addc_co_u32_e64 v17, s[0:1], 0, v5, s[0:1]
	v_cndmask_b32_e64 v9, 0, -1, vcc
	v_cmp_eq_u32_e32 vcc, s37, v11
	v_cmp_ne_u32_e64 s[0:1], 0, v12
	v_cndmask_b32_e32 v9, v13, v9, vcc
	v_cmp_ne_u32_e32 vcc, 0, v9
	v_cndmask_b32_e64 v9, v16, v14, s[0:1]
	v_cndmask_b32_e64 v12, v17, v15, s[0:1]
	v_cndmask_b32_e32 v3, v3, v9, vcc
	v_xor_b32_e32 v9, s35, v7
	v_xor_b32_e32 v7, s34, v7
	v_cndmask_b32_e32 v5, v5, v12, vcc
	v_xor_b32_e32 v3, v3, v7
	v_xor_b32_e32 v5, v5, v9
	v_sub_co_u32_e32 v12, vcc, v3, v7
	v_subb_co_u32_e32 v13, vcc, v5, v9, vcc
.LBB48_29:                              ;   in Loop: Header=BB48_23 Depth=2
	s_andn2_saveexec_b64 s[0:1], s[30:31]
	s_cbranch_execz .LBB48_31
; %bb.30:                               ;   in Loop: Header=BB48_23 Depth=2
	v_cvt_f32_u32_e32 v3, s51
	s_sub_i32 s16, 0, s51
	v_mov_b32_e32 v13, v2
	v_rcp_iflag_f32_e32 v3, v3
	v_mul_f32_e32 v3, 0x4f7ffffe, v3
	v_cvt_u32_f32_e32 v3, v3
	v_mul_lo_u32 v5, s16, v3
	v_mul_hi_u32 v5, v3, v5
	v_add_u32_e32 v3, v3, v5
	v_mul_hi_u32 v3, v10, v3
	v_mul_lo_u32 v5, v3, s51
	v_sub_u32_e32 v5, v10, v5
	v_add_u32_e32 v7, 1, v3
	v_subrev_u32_e32 v9, s51, v5
	v_cmp_le_u32_e32 vcc, s51, v5
	v_cndmask_b32_e32 v5, v5, v9, vcc
	v_cndmask_b32_e32 v3, v3, v7, vcc
	v_add_u32_e32 v7, 1, v3
	v_cmp_le_u32_e32 vcc, s51, v5
	v_cndmask_b32_e32 v12, v3, v7, vcc
.LBB48_31:                              ;   in Loop: Header=BB48_23 Depth=2
	s_or_b64 exec, exec, s[0:1]
	s_add_u32 s0, s43, s28
	s_addc_u32 s1, s44, s29
	s_add_i32 s16, s26, 5
	s_lshl_b64 s[28:29], s[16:17], 2
	s_add_u32 s30, s39, s28
	s_addc_u32 s31, s40, s29
	s_load_dword s53, s[30:31], 0x0
	s_load_dword s54, s[0:1], 0x0
                                        ; implicit-def: $vgpr14_vgpr15
	s_waitcnt lgkmcnt(0)
	s_ashr_i32 s0, s53, 31
	v_or_b32_e32 v3, s0, v13
	v_cmp_ne_u64_e32 vcc, 0, v[2:3]
	s_and_saveexec_b64 s[30:31], vcc
	s_xor_b64 s[30:31], exec, s[30:31]
	s_cbranch_execz .LBB48_33
; %bb.32:                               ;   in Loop: Header=BB48_23 Depth=2
	s_add_u32 s36, s53, s0
	s_mov_b32 s34, s0
	s_mov_b32 s35, s0
	s_addc_u32 s37, s0, s0
	s_xor_b64 s[36:37], s[36:37], s[34:35]
	v_cvt_f32_u32_e32 v3, s36
	v_cvt_f32_u32_e32 v5, s37
	s_sub_u32 s0, 0, s36
	s_subb_u32 s1, 0, s37
	v_mac_f32_e32 v3, 0x4f800000, v5
	v_rcp_f32_e32 v3, v3
	v_mul_f32_e32 v3, 0x5f7ffffc, v3
	v_mul_f32_e32 v5, 0x2f800000, v3
	v_trunc_f32_e32 v5, v5
	v_mac_f32_e32 v3, 0xcf800000, v5
	v_cvt_u32_f32_e32 v5, v5
	v_cvt_u32_f32_e32 v3, v3
	v_mul_lo_u32 v7, s0, v5
	v_mul_hi_u32 v11, s0, v3
	v_mul_lo_u32 v9, s1, v3
	v_add_u32_e32 v7, v11, v7
	v_mul_lo_u32 v14, s0, v3
	v_add_u32_e32 v7, v7, v9
	v_mul_lo_u32 v11, v3, v7
	v_mul_hi_u32 v15, v3, v14
	v_mul_hi_u32 v9, v3, v7
	v_add_co_u32_e32 v11, vcc, v15, v11
	v_addc_co_u32_e32 v9, vcc, 0, v9, vcc
	v_mul_hi_u32 v16, v5, v14
	v_mul_lo_u32 v14, v5, v14
	v_add_co_u32_e32 v11, vcc, v11, v14
	v_mul_hi_u32 v15, v5, v7
	v_addc_co_u32_e32 v9, vcc, v9, v16, vcc
	v_addc_co_u32_e32 v11, vcc, 0, v15, vcc
	v_mul_lo_u32 v7, v5, v7
	v_add_co_u32_e32 v7, vcc, v9, v7
	v_addc_co_u32_e32 v9, vcc, 0, v11, vcc
	v_add_co_u32_e32 v3, vcc, v3, v7
	v_addc_co_u32_e32 v5, vcc, v5, v9, vcc
	v_mul_lo_u32 v7, s0, v5
	v_mul_hi_u32 v9, s0, v3
	v_add_u32_e32 v7, v9, v7
	v_mul_lo_u32 v9, s1, v3
	v_add_u32_e32 v7, v7, v9
	v_mul_lo_u32 v11, s0, v3
	v_mul_hi_u32 v14, v5, v11
	v_mul_lo_u32 v15, v5, v11
	v_mul_lo_u32 v17, v3, v7
	v_mul_hi_u32 v11, v3, v11
	v_mul_hi_u32 v16, v3, v7
	v_add_co_u32_e32 v11, vcc, v11, v17
	v_addc_co_u32_e32 v16, vcc, 0, v16, vcc
	v_add_co_u32_e32 v11, vcc, v11, v15
	v_mul_hi_u32 v9, v5, v7
	v_addc_co_u32_e32 v11, vcc, v16, v14, vcc
	v_addc_co_u32_e32 v9, vcc, 0, v9, vcc
	v_mul_lo_u32 v7, v5, v7
	v_add_co_u32_e32 v7, vcc, v11, v7
	v_addc_co_u32_e32 v9, vcc, 0, v9, vcc
	v_add_co_u32_e32 v3, vcc, v3, v7
	v_addc_co_u32_e32 v5, vcc, v5, v9, vcc
	v_ashrrev_i32_e32 v7, 31, v13
	v_add_co_u32_e32 v9, vcc, v12, v7
	v_xor_b32_e32 v9, v9, v7
	v_addc_co_u32_e32 v11, vcc, v13, v7, vcc
	v_mad_u64_u32 v[14:15], s[0:1], v9, v5, 0
	v_mul_hi_u32 v13, v9, v3
	v_xor_b32_e32 v11, v11, v7
	v_add_co_u32_e32 v13, vcc, v13, v14
	v_addc_co_u32_e32 v18, vcc, 0, v15, vcc
	v_mad_u64_u32 v[16:17], s[0:1], v11, v3, 0
	v_add_co_u32_e32 v3, vcc, v13, v16
	v_mad_u64_u32 v[14:15], s[0:1], v11, v5, 0
	v_addc_co_u32_e32 v3, vcc, v18, v17, vcc
	v_addc_co_u32_e32 v5, vcc, 0, v15, vcc
	v_add_co_u32_e32 v3, vcc, v3, v14
	v_addc_co_u32_e32 v5, vcc, 0, v5, vcc
	v_mul_lo_u32 v13, s37, v3
	v_mul_lo_u32 v16, s36, v5
	v_mad_u64_u32 v[14:15], s[0:1], s36, v3, 0
	v_add3_u32 v13, v15, v16, v13
	v_sub_u32_e32 v15, v11, v13
	v_mov_b32_e32 v16, s37
	v_sub_co_u32_e32 v9, vcc, v9, v14
	v_subb_co_u32_e64 v14, s[0:1], v15, v16, vcc
	v_subrev_co_u32_e64 v15, s[0:1], s36, v9
	v_subbrev_co_u32_e64 v14, s[0:1], 0, v14, s[0:1]
	v_cmp_le_u32_e64 s[0:1], s37, v14
	v_cndmask_b32_e64 v16, 0, -1, s[0:1]
	v_cmp_le_u32_e64 s[0:1], s36, v15
	v_cndmask_b32_e64 v15, 0, -1, s[0:1]
	v_cmp_eq_u32_e64 s[0:1], s37, v14
	v_cndmask_b32_e64 v14, v16, v15, s[0:1]
	v_add_co_u32_e64 v15, s[0:1], 2, v3
	v_subb_co_u32_e32 v11, vcc, v11, v13, vcc
	v_addc_co_u32_e64 v16, s[0:1], 0, v5, s[0:1]
	v_cmp_le_u32_e32 vcc, s37, v11
	v_add_co_u32_e64 v17, s[0:1], 1, v3
	v_cndmask_b32_e64 v13, 0, -1, vcc
	v_cmp_le_u32_e32 vcc, s36, v9
	v_addc_co_u32_e64 v18, s[0:1], 0, v5, s[0:1]
	v_cndmask_b32_e64 v9, 0, -1, vcc
	v_cmp_eq_u32_e32 vcc, s37, v11
	v_cmp_ne_u32_e64 s[0:1], 0, v14
	v_cndmask_b32_e32 v9, v13, v9, vcc
	v_cmp_ne_u32_e32 vcc, 0, v9
	v_cndmask_b32_e64 v9, v17, v15, s[0:1]
	v_cndmask_b32_e64 v14, v18, v16, s[0:1]
	v_cndmask_b32_e32 v3, v3, v9, vcc
	v_xor_b32_e32 v9, s35, v7
	v_xor_b32_e32 v7, s34, v7
	v_cndmask_b32_e32 v5, v5, v14, vcc
	v_xor_b32_e32 v3, v3, v7
	v_xor_b32_e32 v5, v5, v9
	v_sub_co_u32_e32 v14, vcc, v3, v7
	v_subb_co_u32_e32 v15, vcc, v5, v9, vcc
.LBB48_33:                              ;   in Loop: Header=BB48_23 Depth=2
	s_andn2_saveexec_b64 s[0:1], s[30:31]
	s_cbranch_execz .LBB48_35
; %bb.34:                               ;   in Loop: Header=BB48_23 Depth=2
	v_cvt_f32_u32_e32 v3, s53
	s_sub_i32 s16, 0, s53
	v_mov_b32_e32 v15, v2
	v_rcp_iflag_f32_e32 v3, v3
	v_mul_f32_e32 v3, 0x4f7ffffe, v3
	v_cvt_u32_f32_e32 v3, v3
	v_mul_lo_u32 v5, s16, v3
	v_mul_hi_u32 v5, v3, v5
	v_add_u32_e32 v3, v3, v5
	v_mul_hi_u32 v3, v12, v3
	v_mul_lo_u32 v5, v3, s53
	v_sub_u32_e32 v5, v12, v5
	v_add_u32_e32 v7, 1, v3
	v_subrev_u32_e32 v9, s53, v5
	v_cmp_le_u32_e32 vcc, s53, v5
	v_cndmask_b32_e32 v5, v5, v9, vcc
	v_cndmask_b32_e32 v3, v3, v7, vcc
	v_add_u32_e32 v7, 1, v3
	v_cmp_le_u32_e32 vcc, s53, v5
	v_cndmask_b32_e32 v14, v3, v7, vcc
.LBB48_35:                              ;   in Loop: Header=BB48_23 Depth=2
	s_or_b64 exec, exec, s[0:1]
	s_add_u32 s0, s43, s28
	s_addc_u32 s1, s44, s29
	s_add_i32 s16, s26, 4
	s_lshl_b64 s[28:29], s[16:17], 2
	s_add_u32 s30, s39, s28
	s_addc_u32 s31, s40, s29
	s_load_dword s55, s[30:31], 0x0
	s_load_dword s56, s[0:1], 0x0
                                        ; implicit-def: $vgpr16_vgpr17
	s_waitcnt lgkmcnt(0)
	s_ashr_i32 s0, s55, 31
	v_or_b32_e32 v3, s0, v15
	v_cmp_ne_u64_e32 vcc, 0, v[2:3]
	s_and_saveexec_b64 s[30:31], vcc
	s_xor_b64 s[30:31], exec, s[30:31]
	s_cbranch_execz .LBB48_37
; %bb.36:                               ;   in Loop: Header=BB48_23 Depth=2
	s_add_u32 s36, s55, s0
	s_mov_b32 s34, s0
	s_mov_b32 s35, s0
	s_addc_u32 s37, s0, s0
	s_xor_b64 s[36:37], s[36:37], s[34:35]
	v_cvt_f32_u32_e32 v3, s36
	v_cvt_f32_u32_e32 v5, s37
	s_sub_u32 s0, 0, s36
	s_subb_u32 s1, 0, s37
	v_mac_f32_e32 v3, 0x4f800000, v5
	v_rcp_f32_e32 v3, v3
	v_mul_f32_e32 v3, 0x5f7ffffc, v3
	v_mul_f32_e32 v5, 0x2f800000, v3
	v_trunc_f32_e32 v5, v5
	v_mac_f32_e32 v3, 0xcf800000, v5
	v_cvt_u32_f32_e32 v5, v5
	v_cvt_u32_f32_e32 v3, v3
	v_mul_lo_u32 v7, s0, v5
	v_mul_hi_u32 v11, s0, v3
	v_mul_lo_u32 v9, s1, v3
	v_add_u32_e32 v7, v11, v7
	v_mul_lo_u32 v13, s0, v3
	v_add_u32_e32 v7, v7, v9
	v_mul_lo_u32 v11, v3, v7
	v_mul_hi_u32 v16, v3, v13
	v_mul_hi_u32 v9, v3, v7
	v_add_co_u32_e32 v11, vcc, v16, v11
	v_addc_co_u32_e32 v9, vcc, 0, v9, vcc
	v_mul_hi_u32 v17, v5, v13
	v_mul_lo_u32 v13, v5, v13
	v_add_co_u32_e32 v11, vcc, v11, v13
	v_mul_hi_u32 v16, v5, v7
	v_addc_co_u32_e32 v9, vcc, v9, v17, vcc
	v_addc_co_u32_e32 v11, vcc, 0, v16, vcc
	v_mul_lo_u32 v7, v5, v7
	v_add_co_u32_e32 v7, vcc, v9, v7
	v_addc_co_u32_e32 v9, vcc, 0, v11, vcc
	v_add_co_u32_e32 v3, vcc, v3, v7
	v_addc_co_u32_e32 v5, vcc, v5, v9, vcc
	v_mul_lo_u32 v7, s0, v5
	v_mul_hi_u32 v9, s0, v3
	v_add_u32_e32 v7, v9, v7
	v_mul_lo_u32 v9, s1, v3
	v_add_u32_e32 v7, v7, v9
	v_mul_lo_u32 v11, s0, v3
	v_mul_hi_u32 v13, v5, v11
	v_mul_lo_u32 v16, v5, v11
	v_mul_lo_u32 v18, v3, v7
	v_mul_hi_u32 v11, v3, v11
	v_mul_hi_u32 v17, v3, v7
	v_add_co_u32_e32 v11, vcc, v11, v18
	v_addc_co_u32_e32 v17, vcc, 0, v17, vcc
	v_add_co_u32_e32 v11, vcc, v11, v16
	v_mul_hi_u32 v9, v5, v7
	v_addc_co_u32_e32 v11, vcc, v17, v13, vcc
	v_addc_co_u32_e32 v9, vcc, 0, v9, vcc
	v_mul_lo_u32 v7, v5, v7
	v_add_co_u32_e32 v7, vcc, v11, v7
	v_addc_co_u32_e32 v9, vcc, 0, v9, vcc
	v_add_co_u32_e32 v3, vcc, v3, v7
	v_addc_co_u32_e32 v5, vcc, v5, v9, vcc
	v_ashrrev_i32_e32 v7, 31, v15
	v_add_co_u32_e32 v9, vcc, v14, v7
	v_xor_b32_e32 v9, v9, v7
	v_addc_co_u32_e32 v11, vcc, v15, v7, vcc
	v_mad_u64_u32 v[16:17], s[0:1], v9, v5, 0
	v_mul_hi_u32 v13, v9, v3
	v_xor_b32_e32 v11, v11, v7
	v_add_co_u32_e32 v13, vcc, v13, v16
	v_addc_co_u32_e32 v15, vcc, 0, v17, vcc
	v_mad_u64_u32 v[18:19], s[0:1], v11, v3, 0
	v_add_co_u32_e32 v3, vcc, v13, v18
	v_mad_u64_u32 v[16:17], s[0:1], v11, v5, 0
	v_addc_co_u32_e32 v3, vcc, v15, v19, vcc
	v_addc_co_u32_e32 v5, vcc, 0, v17, vcc
	v_add_co_u32_e32 v3, vcc, v3, v16
	v_addc_co_u32_e32 v5, vcc, 0, v5, vcc
	v_mul_lo_u32 v13, s37, v3
	v_mul_lo_u32 v15, s36, v5
	v_mad_u64_u32 v[16:17], s[0:1], s36, v3, 0
	v_add3_u32 v13, v17, v15, v13
	v_sub_u32_e32 v15, v11, v13
	v_mov_b32_e32 v17, s37
	v_sub_co_u32_e32 v9, vcc, v9, v16
	v_subb_co_u32_e64 v15, s[0:1], v15, v17, vcc
	v_subrev_co_u32_e64 v16, s[0:1], s36, v9
	v_subbrev_co_u32_e64 v15, s[0:1], 0, v15, s[0:1]
	v_cmp_le_u32_e64 s[0:1], s37, v15
	v_cndmask_b32_e64 v17, 0, -1, s[0:1]
	v_cmp_le_u32_e64 s[0:1], s36, v16
	v_cndmask_b32_e64 v16, 0, -1, s[0:1]
	v_cmp_eq_u32_e64 s[0:1], s37, v15
	v_cndmask_b32_e64 v15, v17, v16, s[0:1]
	v_add_co_u32_e64 v16, s[0:1], 2, v3
	v_subb_co_u32_e32 v11, vcc, v11, v13, vcc
	v_addc_co_u32_e64 v17, s[0:1], 0, v5, s[0:1]
	v_cmp_le_u32_e32 vcc, s37, v11
	v_add_co_u32_e64 v18, s[0:1], 1, v3
	v_cndmask_b32_e64 v13, 0, -1, vcc
	v_cmp_le_u32_e32 vcc, s36, v9
	v_addc_co_u32_e64 v19, s[0:1], 0, v5, s[0:1]
	v_cndmask_b32_e64 v9, 0, -1, vcc
	v_cmp_eq_u32_e32 vcc, s37, v11
	v_cmp_ne_u32_e64 s[0:1], 0, v15
	v_cndmask_b32_e32 v9, v13, v9, vcc
	v_cmp_ne_u32_e32 vcc, 0, v9
	v_cndmask_b32_e64 v9, v18, v16, s[0:1]
	v_cndmask_b32_e64 v15, v19, v17, s[0:1]
	v_cndmask_b32_e32 v3, v3, v9, vcc
	v_xor_b32_e32 v9, s35, v7
	v_xor_b32_e32 v7, s34, v7
	v_cndmask_b32_e32 v5, v5, v15, vcc
	v_xor_b32_e32 v3, v3, v7
	v_xor_b32_e32 v5, v5, v9
	v_sub_co_u32_e32 v16, vcc, v3, v7
	v_subb_co_u32_e32 v17, vcc, v5, v9, vcc
.LBB48_37:                              ;   in Loop: Header=BB48_23 Depth=2
	s_andn2_saveexec_b64 s[0:1], s[30:31]
	s_cbranch_execz .LBB48_39
; %bb.38:                               ;   in Loop: Header=BB48_23 Depth=2
	v_cvt_f32_u32_e32 v3, s55
	s_sub_i32 s16, 0, s55
	v_mov_b32_e32 v17, v2
	v_rcp_iflag_f32_e32 v3, v3
	v_mul_f32_e32 v3, 0x4f7ffffe, v3
	v_cvt_u32_f32_e32 v3, v3
	v_mul_lo_u32 v5, s16, v3
	v_mul_hi_u32 v5, v3, v5
	v_add_u32_e32 v3, v3, v5
	v_mul_hi_u32 v3, v14, v3
	v_mul_lo_u32 v5, v3, s55
	v_sub_u32_e32 v5, v14, v5
	v_add_u32_e32 v7, 1, v3
	v_subrev_u32_e32 v9, s55, v5
	v_cmp_le_u32_e32 vcc, s55, v5
	v_cndmask_b32_e32 v5, v5, v9, vcc
	v_cndmask_b32_e32 v3, v3, v7, vcc
	v_add_u32_e32 v7, 1, v3
	v_cmp_le_u32_e32 vcc, s55, v5
	v_cndmask_b32_e32 v16, v3, v7, vcc
.LBB48_39:                              ;   in Loop: Header=BB48_23 Depth=2
	s_or_b64 exec, exec, s[0:1]
	s_add_u32 s0, s43, s28
	s_addc_u32 s1, s44, s29
	s_add_i32 s16, s26, 3
	s_lshl_b64 s[28:29], s[16:17], 2
	s_add_u32 s30, s39, s28
	s_addc_u32 s31, s40, s29
	s_load_dword s57, s[30:31], 0x0
	s_load_dword s58, s[0:1], 0x0
                                        ; implicit-def: $vgpr18_vgpr19
	s_waitcnt lgkmcnt(0)
	s_ashr_i32 s0, s57, 31
	v_or_b32_e32 v3, s0, v17
	v_cmp_ne_u64_e32 vcc, 0, v[2:3]
	s_and_saveexec_b64 s[30:31], vcc
	s_xor_b64 s[30:31], exec, s[30:31]
	s_cbranch_execz .LBB48_41
; %bb.40:                               ;   in Loop: Header=BB48_23 Depth=2
	s_add_u32 s36, s57, s0
	s_mov_b32 s34, s0
	s_mov_b32 s35, s0
	s_addc_u32 s37, s0, s0
	s_xor_b64 s[36:37], s[36:37], s[34:35]
	v_cvt_f32_u32_e32 v3, s36
	v_cvt_f32_u32_e32 v5, s37
	s_sub_u32 s0, 0, s36
	s_subb_u32 s1, 0, s37
	v_mac_f32_e32 v3, 0x4f800000, v5
	v_rcp_f32_e32 v3, v3
	v_mul_f32_e32 v3, 0x5f7ffffc, v3
	v_mul_f32_e32 v5, 0x2f800000, v3
	v_trunc_f32_e32 v5, v5
	v_mac_f32_e32 v3, 0xcf800000, v5
	v_cvt_u32_f32_e32 v5, v5
	v_cvt_u32_f32_e32 v3, v3
	v_mul_lo_u32 v7, s0, v5
	v_mul_hi_u32 v11, s0, v3
	v_mul_lo_u32 v9, s1, v3
	v_add_u32_e32 v7, v11, v7
	v_mul_lo_u32 v13, s0, v3
	v_add_u32_e32 v7, v7, v9
	v_mul_lo_u32 v11, v3, v7
	v_mul_hi_u32 v15, v3, v13
	v_mul_hi_u32 v9, v3, v7
	v_add_co_u32_e32 v11, vcc, v15, v11
	v_addc_co_u32_e32 v9, vcc, 0, v9, vcc
	v_mul_hi_u32 v18, v5, v13
	v_mul_lo_u32 v13, v5, v13
	v_add_co_u32_e32 v11, vcc, v11, v13
	v_mul_hi_u32 v15, v5, v7
	v_addc_co_u32_e32 v9, vcc, v9, v18, vcc
	v_addc_co_u32_e32 v11, vcc, 0, v15, vcc
	v_mul_lo_u32 v7, v5, v7
	v_add_co_u32_e32 v7, vcc, v9, v7
	v_addc_co_u32_e32 v9, vcc, 0, v11, vcc
	v_add_co_u32_e32 v3, vcc, v3, v7
	v_addc_co_u32_e32 v5, vcc, v5, v9, vcc
	v_mul_lo_u32 v7, s0, v5
	v_mul_hi_u32 v9, s0, v3
	v_add_u32_e32 v7, v9, v7
	v_mul_lo_u32 v9, s1, v3
	v_add_u32_e32 v7, v7, v9
	v_mul_lo_u32 v11, s0, v3
	v_mul_hi_u32 v13, v5, v11
	v_mul_lo_u32 v15, v5, v11
	v_mul_lo_u32 v19, v3, v7
	v_mul_hi_u32 v11, v3, v11
	v_mul_hi_u32 v18, v3, v7
	v_add_co_u32_e32 v11, vcc, v11, v19
	v_addc_co_u32_e32 v18, vcc, 0, v18, vcc
	v_add_co_u32_e32 v11, vcc, v11, v15
	v_mul_hi_u32 v9, v5, v7
	v_addc_co_u32_e32 v11, vcc, v18, v13, vcc
	v_addc_co_u32_e32 v9, vcc, 0, v9, vcc
	v_mul_lo_u32 v7, v5, v7
	v_add_co_u32_e32 v7, vcc, v11, v7
	v_addc_co_u32_e32 v9, vcc, 0, v9, vcc
	v_add_co_u32_e32 v3, vcc, v3, v7
	v_addc_co_u32_e32 v5, vcc, v5, v9, vcc
	v_ashrrev_i32_e32 v7, 31, v17
	v_add_co_u32_e32 v9, vcc, v16, v7
	v_xor_b32_e32 v9, v9, v7
	v_addc_co_u32_e32 v11, vcc, v17, v7, vcc
	v_mad_u64_u32 v[18:19], s[0:1], v9, v5, 0
	v_mul_hi_u32 v13, v9, v3
	v_xor_b32_e32 v11, v11, v7
	v_add_co_u32_e32 v13, vcc, v13, v18
	v_addc_co_u32_e32 v15, vcc, 0, v19, vcc
	v_mad_u64_u32 v[20:21], s[0:1], v11, v3, 0
	v_add_co_u32_e32 v3, vcc, v13, v20
	v_mad_u64_u32 v[18:19], s[0:1], v11, v5, 0
	v_addc_co_u32_e32 v3, vcc, v15, v21, vcc
	v_addc_co_u32_e32 v5, vcc, 0, v19, vcc
	v_add_co_u32_e32 v3, vcc, v3, v18
	v_addc_co_u32_e32 v5, vcc, 0, v5, vcc
	v_mul_lo_u32 v13, s37, v3
	v_mul_lo_u32 v15, s36, v5
	v_mad_u64_u32 v[18:19], s[0:1], s36, v3, 0
	v_add3_u32 v13, v19, v15, v13
	v_sub_u32_e32 v15, v11, v13
	v_mov_b32_e32 v17, s37
	v_sub_co_u32_e32 v9, vcc, v9, v18
	v_subb_co_u32_e64 v15, s[0:1], v15, v17, vcc
	v_subrev_co_u32_e64 v17, s[0:1], s36, v9
	v_subbrev_co_u32_e64 v15, s[0:1], 0, v15, s[0:1]
	v_cmp_le_u32_e64 s[0:1], s37, v15
	v_cndmask_b32_e64 v18, 0, -1, s[0:1]
	v_cmp_le_u32_e64 s[0:1], s36, v17
	v_cndmask_b32_e64 v17, 0, -1, s[0:1]
	v_cmp_eq_u32_e64 s[0:1], s37, v15
	v_cndmask_b32_e64 v15, v18, v17, s[0:1]
	v_add_co_u32_e64 v17, s[0:1], 2, v3
	v_subb_co_u32_e32 v11, vcc, v11, v13, vcc
	v_addc_co_u32_e64 v18, s[0:1], 0, v5, s[0:1]
	v_cmp_le_u32_e32 vcc, s37, v11
	v_add_co_u32_e64 v19, s[0:1], 1, v3
	v_cndmask_b32_e64 v13, 0, -1, vcc
	v_cmp_le_u32_e32 vcc, s36, v9
	v_addc_co_u32_e64 v20, s[0:1], 0, v5, s[0:1]
	v_cndmask_b32_e64 v9, 0, -1, vcc
	v_cmp_eq_u32_e32 vcc, s37, v11
	v_cmp_ne_u32_e64 s[0:1], 0, v15
	v_cndmask_b32_e32 v9, v13, v9, vcc
	v_cmp_ne_u32_e32 vcc, 0, v9
	v_cndmask_b32_e64 v9, v19, v17, s[0:1]
	v_cndmask_b32_e64 v15, v20, v18, s[0:1]
	v_cndmask_b32_e32 v3, v3, v9, vcc
	v_xor_b32_e32 v9, s35, v7
	v_xor_b32_e32 v7, s34, v7
	v_cndmask_b32_e32 v5, v5, v15, vcc
	v_xor_b32_e32 v3, v3, v7
	v_xor_b32_e32 v5, v5, v9
	v_sub_co_u32_e32 v18, vcc, v3, v7
	v_subb_co_u32_e32 v19, vcc, v5, v9, vcc
.LBB48_41:                              ;   in Loop: Header=BB48_23 Depth=2
	s_andn2_saveexec_b64 s[0:1], s[30:31]
	s_cbranch_execz .LBB48_43
; %bb.42:                               ;   in Loop: Header=BB48_23 Depth=2
	v_cvt_f32_u32_e32 v3, s57
	s_sub_i32 s16, 0, s57
	v_mov_b32_e32 v19, v2
	v_rcp_iflag_f32_e32 v3, v3
	v_mul_f32_e32 v3, 0x4f7ffffe, v3
	v_cvt_u32_f32_e32 v3, v3
	v_mul_lo_u32 v5, s16, v3
	v_mul_hi_u32 v5, v3, v5
	v_add_u32_e32 v3, v3, v5
	v_mul_hi_u32 v3, v16, v3
	v_mul_lo_u32 v5, v3, s57
	v_sub_u32_e32 v5, v16, v5
	v_add_u32_e32 v7, 1, v3
	v_subrev_u32_e32 v9, s57, v5
	v_cmp_le_u32_e32 vcc, s57, v5
	v_cndmask_b32_e32 v5, v5, v9, vcc
	v_cndmask_b32_e32 v3, v3, v7, vcc
	v_add_u32_e32 v7, 1, v3
	v_cmp_le_u32_e32 vcc, s57, v5
	v_cndmask_b32_e32 v18, v3, v7, vcc
.LBB48_43:                              ;   in Loop: Header=BB48_23 Depth=2
	s_or_b64 exec, exec, s[0:1]
	s_add_u32 s0, s43, s28
	s_addc_u32 s1, s44, s29
	s_add_i32 s16, s26, 2
	s_lshl_b64 s[28:29], s[16:17], 2
	s_add_u32 s30, s39, s28
	s_addc_u32 s31, s40, s29
	s_load_dword s59, s[30:31], 0x0
	s_load_dword s60, s[0:1], 0x0
                                        ; implicit-def: $vgpr20_vgpr21
	s_waitcnt lgkmcnt(0)
	s_ashr_i32 s0, s59, 31
	v_or_b32_e32 v3, s0, v19
	v_cmp_ne_u64_e32 vcc, 0, v[2:3]
	s_and_saveexec_b64 s[30:31], vcc
	s_xor_b64 s[30:31], exec, s[30:31]
	s_cbranch_execz .LBB48_45
; %bb.44:                               ;   in Loop: Header=BB48_23 Depth=2
	s_add_u32 s36, s59, s0
	s_mov_b32 s34, s0
	s_mov_b32 s35, s0
	s_addc_u32 s37, s0, s0
	s_xor_b64 s[36:37], s[36:37], s[34:35]
	v_cvt_f32_u32_e32 v3, s36
	v_cvt_f32_u32_e32 v5, s37
	s_sub_u32 s0, 0, s36
	s_subb_u32 s1, 0, s37
	v_mac_f32_e32 v3, 0x4f800000, v5
	v_rcp_f32_e32 v3, v3
	v_mul_f32_e32 v3, 0x5f7ffffc, v3
	v_mul_f32_e32 v5, 0x2f800000, v3
	v_trunc_f32_e32 v5, v5
	v_mac_f32_e32 v3, 0xcf800000, v5
	v_cvt_u32_f32_e32 v5, v5
	v_cvt_u32_f32_e32 v3, v3
	v_mul_lo_u32 v7, s0, v5
	v_mul_hi_u32 v11, s0, v3
	v_mul_lo_u32 v9, s1, v3
	v_add_u32_e32 v7, v11, v7
	v_mul_lo_u32 v13, s0, v3
	v_add_u32_e32 v7, v7, v9
	v_mul_lo_u32 v11, v3, v7
	v_mul_hi_u32 v15, v3, v13
	v_mul_hi_u32 v9, v3, v7
	v_add_co_u32_e32 v11, vcc, v15, v11
	v_addc_co_u32_e32 v9, vcc, 0, v9, vcc
	v_mul_hi_u32 v17, v5, v13
	v_mul_lo_u32 v13, v5, v13
	v_add_co_u32_e32 v11, vcc, v11, v13
	v_mul_hi_u32 v15, v5, v7
	v_addc_co_u32_e32 v9, vcc, v9, v17, vcc
	v_addc_co_u32_e32 v11, vcc, 0, v15, vcc
	v_mul_lo_u32 v7, v5, v7
	v_add_co_u32_e32 v7, vcc, v9, v7
	v_addc_co_u32_e32 v9, vcc, 0, v11, vcc
	v_add_co_u32_e32 v3, vcc, v3, v7
	v_addc_co_u32_e32 v5, vcc, v5, v9, vcc
	v_mul_lo_u32 v7, s0, v5
	v_mul_hi_u32 v9, s0, v3
	v_add_u32_e32 v7, v9, v7
	v_mul_lo_u32 v9, s1, v3
	v_add_u32_e32 v7, v7, v9
	v_mul_lo_u32 v11, s0, v3
	v_mul_hi_u32 v13, v5, v11
	v_mul_lo_u32 v15, v5, v11
	v_mul_lo_u32 v20, v3, v7
	v_mul_hi_u32 v11, v3, v11
	v_mul_hi_u32 v17, v3, v7
	v_add_co_u32_e32 v11, vcc, v11, v20
	v_addc_co_u32_e32 v17, vcc, 0, v17, vcc
	v_add_co_u32_e32 v11, vcc, v11, v15
	v_mul_hi_u32 v9, v5, v7
	v_addc_co_u32_e32 v11, vcc, v17, v13, vcc
	v_addc_co_u32_e32 v9, vcc, 0, v9, vcc
	v_mul_lo_u32 v7, v5, v7
	v_add_co_u32_e32 v7, vcc, v11, v7
	v_addc_co_u32_e32 v9, vcc, 0, v9, vcc
	v_add_co_u32_e32 v3, vcc, v3, v7
	v_addc_co_u32_e32 v5, vcc, v5, v9, vcc
	v_ashrrev_i32_e32 v7, 31, v19
	v_add_co_u32_e32 v9, vcc, v18, v7
	v_xor_b32_e32 v9, v9, v7
	v_addc_co_u32_e32 v11, vcc, v19, v7, vcc
	v_mad_u64_u32 v[20:21], s[0:1], v9, v5, 0
	v_mul_hi_u32 v13, v9, v3
	v_xor_b32_e32 v11, v11, v7
	v_add_co_u32_e32 v13, vcc, v13, v20
	v_addc_co_u32_e32 v15, vcc, 0, v21, vcc
	v_mad_u64_u32 v[22:23], s[0:1], v11, v3, 0
	v_add_co_u32_e32 v3, vcc, v13, v22
	v_mad_u64_u32 v[20:21], s[0:1], v11, v5, 0
	v_addc_co_u32_e32 v3, vcc, v15, v23, vcc
	v_addc_co_u32_e32 v5, vcc, 0, v21, vcc
	v_add_co_u32_e32 v3, vcc, v3, v20
	v_addc_co_u32_e32 v5, vcc, 0, v5, vcc
	v_mul_lo_u32 v13, s37, v3
	v_mul_lo_u32 v15, s36, v5
	v_mad_u64_u32 v[20:21], s[0:1], s36, v3, 0
	v_add3_u32 v13, v21, v15, v13
	v_sub_u32_e32 v15, v11, v13
	v_mov_b32_e32 v17, s37
	v_sub_co_u32_e32 v9, vcc, v9, v20
	v_subb_co_u32_e64 v15, s[0:1], v15, v17, vcc
	v_subrev_co_u32_e64 v17, s[0:1], s36, v9
	v_subbrev_co_u32_e64 v15, s[0:1], 0, v15, s[0:1]
	v_cmp_le_u32_e64 s[0:1], s37, v15
	v_cndmask_b32_e64 v19, 0, -1, s[0:1]
	v_cmp_le_u32_e64 s[0:1], s36, v17
	v_cndmask_b32_e64 v17, 0, -1, s[0:1]
	v_cmp_eq_u32_e64 s[0:1], s37, v15
	v_cndmask_b32_e64 v15, v19, v17, s[0:1]
	v_add_co_u32_e64 v17, s[0:1], 2, v3
	v_subb_co_u32_e32 v11, vcc, v11, v13, vcc
	v_addc_co_u32_e64 v19, s[0:1], 0, v5, s[0:1]
	v_cmp_le_u32_e32 vcc, s37, v11
	v_add_co_u32_e64 v20, s[0:1], 1, v3
	v_cndmask_b32_e64 v13, 0, -1, vcc
	v_cmp_le_u32_e32 vcc, s36, v9
	v_addc_co_u32_e64 v21, s[0:1], 0, v5, s[0:1]
	v_cndmask_b32_e64 v9, 0, -1, vcc
	v_cmp_eq_u32_e32 vcc, s37, v11
	v_cmp_ne_u32_e64 s[0:1], 0, v15
	v_cndmask_b32_e32 v9, v13, v9, vcc
	v_cmp_ne_u32_e32 vcc, 0, v9
	v_cndmask_b32_e64 v9, v20, v17, s[0:1]
	v_cndmask_b32_e64 v15, v21, v19, s[0:1]
	v_cndmask_b32_e32 v3, v3, v9, vcc
	v_xor_b32_e32 v9, s35, v7
	v_xor_b32_e32 v7, s34, v7
	v_cndmask_b32_e32 v5, v5, v15, vcc
	v_xor_b32_e32 v3, v3, v7
	v_xor_b32_e32 v5, v5, v9
	v_sub_co_u32_e32 v20, vcc, v3, v7
	v_subb_co_u32_e32 v21, vcc, v5, v9, vcc
.LBB48_45:                              ;   in Loop: Header=BB48_23 Depth=2
	s_andn2_saveexec_b64 s[0:1], s[30:31]
	s_cbranch_execz .LBB48_47
; %bb.46:                               ;   in Loop: Header=BB48_23 Depth=2
	v_cvt_f32_u32_e32 v3, s59
	s_sub_i32 s16, 0, s59
	v_mov_b32_e32 v21, v2
	v_rcp_iflag_f32_e32 v3, v3
	v_mul_f32_e32 v3, 0x4f7ffffe, v3
	v_cvt_u32_f32_e32 v3, v3
	v_mul_lo_u32 v5, s16, v3
	v_mul_hi_u32 v5, v3, v5
	v_add_u32_e32 v3, v3, v5
	v_mul_hi_u32 v3, v18, v3
	v_mul_lo_u32 v5, v3, s59
	v_sub_u32_e32 v5, v18, v5
	v_add_u32_e32 v7, 1, v3
	v_subrev_u32_e32 v9, s59, v5
	v_cmp_le_u32_e32 vcc, s59, v5
	v_cndmask_b32_e32 v5, v5, v9, vcc
	v_cndmask_b32_e32 v3, v3, v7, vcc
	v_add_u32_e32 v7, 1, v3
	v_cmp_le_u32_e32 vcc, s59, v5
	v_cndmask_b32_e32 v20, v3, v7, vcc
.LBB48_47:                              ;   in Loop: Header=BB48_23 Depth=2
	s_or_b64 exec, exec, s[0:1]
	s_add_u32 s0, s43, s28
	s_addc_u32 s1, s44, s29
	s_add_i32 s16, s26, 1
	s_lshl_b64 s[28:29], s[16:17], 2
	s_add_u32 s30, s39, s28
	s_addc_u32 s31, s40, s29
	s_load_dword s16, s[30:31], 0x0
	s_load_dword s61, s[0:1], 0x0
                                        ; implicit-def: $vgpr22_vgpr23
	s_waitcnt lgkmcnt(0)
	s_ashr_i32 s0, s16, 31
	v_or_b32_e32 v3, s0, v21
	v_cmp_ne_u64_e32 vcc, 0, v[2:3]
	s_and_saveexec_b64 s[30:31], vcc
	s_xor_b64 s[30:31], exec, s[30:31]
	s_cbranch_execz .LBB48_49
; %bb.48:                               ;   in Loop: Header=BB48_23 Depth=2
	s_add_u32 s36, s16, s0
	s_mov_b32 s34, s0
	s_mov_b32 s35, s0
	s_addc_u32 s37, s0, s0
	s_xor_b64 s[36:37], s[36:37], s[34:35]
	v_cvt_f32_u32_e32 v3, s36
	v_cvt_f32_u32_e32 v5, s37
	s_sub_u32 s0, 0, s36
	s_subb_u32 s1, 0, s37
	v_mac_f32_e32 v3, 0x4f800000, v5
	v_rcp_f32_e32 v3, v3
	v_mul_f32_e32 v3, 0x5f7ffffc, v3
	v_mul_f32_e32 v5, 0x2f800000, v3
	v_trunc_f32_e32 v5, v5
	v_mac_f32_e32 v3, 0xcf800000, v5
	v_cvt_u32_f32_e32 v5, v5
	v_cvt_u32_f32_e32 v3, v3
	v_mul_lo_u32 v7, s0, v5
	v_mul_hi_u32 v11, s0, v3
	v_mul_lo_u32 v9, s1, v3
	v_add_u32_e32 v7, v11, v7
	v_mul_lo_u32 v13, s0, v3
	v_add_u32_e32 v7, v7, v9
	v_mul_lo_u32 v11, v3, v7
	v_mul_hi_u32 v15, v3, v13
	v_mul_hi_u32 v9, v3, v7
	v_add_co_u32_e32 v11, vcc, v15, v11
	v_addc_co_u32_e32 v9, vcc, 0, v9, vcc
	v_mul_hi_u32 v17, v5, v13
	v_mul_lo_u32 v13, v5, v13
	v_add_co_u32_e32 v11, vcc, v11, v13
	v_mul_hi_u32 v15, v5, v7
	v_addc_co_u32_e32 v9, vcc, v9, v17, vcc
	v_addc_co_u32_e32 v11, vcc, 0, v15, vcc
	v_mul_lo_u32 v7, v5, v7
	v_add_co_u32_e32 v7, vcc, v9, v7
	v_addc_co_u32_e32 v9, vcc, 0, v11, vcc
	v_add_co_u32_e32 v3, vcc, v3, v7
	v_addc_co_u32_e32 v5, vcc, v5, v9, vcc
	v_mul_lo_u32 v7, s0, v5
	v_mul_hi_u32 v9, s0, v3
	v_add_u32_e32 v7, v9, v7
	v_mul_lo_u32 v9, s1, v3
	v_add_u32_e32 v7, v7, v9
	v_mul_lo_u32 v11, s0, v3
	v_mul_hi_u32 v13, v5, v11
	v_mul_lo_u32 v15, v5, v11
	v_mul_lo_u32 v19, v3, v7
	v_mul_hi_u32 v11, v3, v11
	v_mul_hi_u32 v17, v3, v7
	v_add_co_u32_e32 v11, vcc, v11, v19
	v_addc_co_u32_e32 v17, vcc, 0, v17, vcc
	v_add_co_u32_e32 v11, vcc, v11, v15
	v_mul_hi_u32 v9, v5, v7
	v_addc_co_u32_e32 v11, vcc, v17, v13, vcc
	v_addc_co_u32_e32 v9, vcc, 0, v9, vcc
	v_mul_lo_u32 v7, v5, v7
	v_add_co_u32_e32 v7, vcc, v11, v7
	v_addc_co_u32_e32 v9, vcc, 0, v9, vcc
	v_add_co_u32_e32 v3, vcc, v3, v7
	v_addc_co_u32_e32 v5, vcc, v5, v9, vcc
	v_ashrrev_i32_e32 v7, 31, v21
	v_add_co_u32_e32 v9, vcc, v20, v7
	v_xor_b32_e32 v9, v9, v7
	v_addc_co_u32_e32 v11, vcc, v21, v7, vcc
	v_mad_u64_u32 v[22:23], s[0:1], v9, v5, 0
	v_mul_hi_u32 v13, v9, v3
	v_xor_b32_e32 v11, v11, v7
	v_add_co_u32_e32 v13, vcc, v13, v22
	v_addc_co_u32_e32 v15, vcc, 0, v23, vcc
	v_mad_u64_u32 v[24:25], s[0:1], v11, v3, 0
	v_add_co_u32_e32 v3, vcc, v13, v24
	v_mad_u64_u32 v[22:23], s[0:1], v11, v5, 0
	v_addc_co_u32_e32 v3, vcc, v15, v25, vcc
	v_addc_co_u32_e32 v5, vcc, 0, v23, vcc
	v_add_co_u32_e32 v3, vcc, v3, v22
	v_addc_co_u32_e32 v5, vcc, 0, v5, vcc
	v_mul_lo_u32 v13, s37, v3
	v_mul_lo_u32 v15, s36, v5
	v_mad_u64_u32 v[22:23], s[0:1], s36, v3, 0
	v_add3_u32 v13, v23, v15, v13
	v_sub_u32_e32 v15, v11, v13
	v_mov_b32_e32 v17, s37
	v_sub_co_u32_e32 v9, vcc, v9, v22
	v_subb_co_u32_e64 v15, s[0:1], v15, v17, vcc
	v_subrev_co_u32_e64 v17, s[0:1], s36, v9
	v_subbrev_co_u32_e64 v15, s[0:1], 0, v15, s[0:1]
	v_cmp_le_u32_e64 s[0:1], s37, v15
	v_cndmask_b32_e64 v19, 0, -1, s[0:1]
	v_cmp_le_u32_e64 s[0:1], s36, v17
	v_cndmask_b32_e64 v17, 0, -1, s[0:1]
	v_cmp_eq_u32_e64 s[0:1], s37, v15
	v_cndmask_b32_e64 v15, v19, v17, s[0:1]
	v_add_co_u32_e64 v17, s[0:1], 2, v3
	v_subb_co_u32_e32 v11, vcc, v11, v13, vcc
	v_addc_co_u32_e64 v19, s[0:1], 0, v5, s[0:1]
	v_cmp_le_u32_e32 vcc, s37, v11
	v_add_co_u32_e64 v21, s[0:1], 1, v3
	v_cndmask_b32_e64 v13, 0, -1, vcc
	v_cmp_le_u32_e32 vcc, s36, v9
	v_addc_co_u32_e64 v22, s[0:1], 0, v5, s[0:1]
	v_cndmask_b32_e64 v9, 0, -1, vcc
	v_cmp_eq_u32_e32 vcc, s37, v11
	v_cmp_ne_u32_e64 s[0:1], 0, v15
	v_cndmask_b32_e32 v9, v13, v9, vcc
	v_cmp_ne_u32_e32 vcc, 0, v9
	v_cndmask_b32_e64 v9, v21, v17, s[0:1]
	v_cndmask_b32_e64 v15, v22, v19, s[0:1]
	v_cndmask_b32_e32 v3, v3, v9, vcc
	v_xor_b32_e32 v9, s35, v7
	v_xor_b32_e32 v7, s34, v7
	v_cndmask_b32_e32 v5, v5, v15, vcc
	v_xor_b32_e32 v3, v3, v7
	v_xor_b32_e32 v5, v5, v9
	v_sub_co_u32_e32 v22, vcc, v3, v7
	v_subb_co_u32_e32 v23, vcc, v5, v9, vcc
.LBB48_49:                              ;   in Loop: Header=BB48_23 Depth=2
	s_andn2_saveexec_b64 s[0:1], s[30:31]
	s_cbranch_execz .LBB48_51
; %bb.50:                               ;   in Loop: Header=BB48_23 Depth=2
	v_cvt_f32_u32_e32 v3, s16
	s_sub_i32 s27, 0, s16
	v_mov_b32_e32 v23, v2
	v_rcp_iflag_f32_e32 v3, v3
	v_mul_f32_e32 v3, 0x4f7ffffe, v3
	v_cvt_u32_f32_e32 v3, v3
	v_mul_lo_u32 v5, s27, v3
	v_mul_hi_u32 v5, v3, v5
	v_add_u32_e32 v3, v3, v5
	v_mul_hi_u32 v3, v20, v3
	v_mul_lo_u32 v5, v3, s16
	v_sub_u32_e32 v5, v20, v5
	v_add_u32_e32 v7, 1, v3
	v_subrev_u32_e32 v9, s16, v5
	v_cmp_le_u32_e32 vcc, s16, v5
	v_cndmask_b32_e32 v5, v5, v9, vcc
	v_cndmask_b32_e32 v3, v3, v7, vcc
	v_add_u32_e32 v7, 1, v3
	v_cmp_le_u32_e32 vcc, s16, v5
	v_cndmask_b32_e32 v22, v3, v7, vcc
.LBB48_51:                              ;   in Loop: Header=BB48_23 Depth=2
	s_or_b64 exec, exec, s[0:1]
	s_add_u32 s0, s43, s28
	s_mov_b32 s27, s17
	s_addc_u32 s1, s44, s29
	s_lshl_b64 s[28:29], s[26:27], 2
	s_add_u32 s30, s39, s28
	s_addc_u32 s31, s40, s29
	s_load_dword s27, s[30:31], 0x0
	s_load_dword s62, s[0:1], 0x0
                                        ; implicit-def: $vgpr24_vgpr25
	s_waitcnt lgkmcnt(0)
	s_ashr_i32 s0, s27, 31
	v_or_b32_e32 v3, s0, v23
	v_cmp_ne_u64_e32 vcc, 0, v[2:3]
	s_and_saveexec_b64 s[30:31], vcc
	s_xor_b64 s[30:31], exec, s[30:31]
	s_cbranch_execz .LBB48_53
; %bb.52:                               ;   in Loop: Header=BB48_23 Depth=2
	s_add_u32 s36, s27, s0
	s_mov_b32 s34, s0
	s_mov_b32 s35, s0
	s_addc_u32 s37, s0, s0
	s_xor_b64 s[36:37], s[36:37], s[34:35]
	v_cvt_f32_u32_e32 v3, s36
	v_cvt_f32_u32_e32 v5, s37
	s_sub_u32 s0, 0, s36
	s_subb_u32 s1, 0, s37
	v_mac_f32_e32 v3, 0x4f800000, v5
	v_rcp_f32_e32 v3, v3
	v_mul_f32_e32 v3, 0x5f7ffffc, v3
	v_mul_f32_e32 v5, 0x2f800000, v3
	v_trunc_f32_e32 v5, v5
	v_mac_f32_e32 v3, 0xcf800000, v5
	v_cvt_u32_f32_e32 v5, v5
	v_cvt_u32_f32_e32 v3, v3
	v_mul_lo_u32 v7, s0, v5
	v_mul_hi_u32 v11, s0, v3
	v_mul_lo_u32 v9, s1, v3
	v_add_u32_e32 v7, v11, v7
	v_mul_lo_u32 v13, s0, v3
	v_add_u32_e32 v7, v7, v9
	v_mul_lo_u32 v11, v3, v7
	v_mul_hi_u32 v15, v3, v13
	v_mul_hi_u32 v9, v3, v7
	v_add_co_u32_e32 v11, vcc, v15, v11
	v_addc_co_u32_e32 v9, vcc, 0, v9, vcc
	v_mul_hi_u32 v17, v5, v13
	v_mul_lo_u32 v13, v5, v13
	v_add_co_u32_e32 v11, vcc, v11, v13
	v_mul_hi_u32 v15, v5, v7
	v_addc_co_u32_e32 v9, vcc, v9, v17, vcc
	v_addc_co_u32_e32 v11, vcc, 0, v15, vcc
	v_mul_lo_u32 v7, v5, v7
	v_add_co_u32_e32 v7, vcc, v9, v7
	v_addc_co_u32_e32 v9, vcc, 0, v11, vcc
	v_add_co_u32_e32 v3, vcc, v3, v7
	v_addc_co_u32_e32 v5, vcc, v5, v9, vcc
	v_mul_lo_u32 v7, s0, v5
	v_mul_hi_u32 v9, s0, v3
	v_add_u32_e32 v7, v9, v7
	v_mul_lo_u32 v9, s1, v3
	v_add_u32_e32 v7, v7, v9
	v_mul_lo_u32 v11, s0, v3
	v_mul_hi_u32 v13, v5, v11
	v_mul_lo_u32 v15, v5, v11
	v_mul_lo_u32 v19, v3, v7
	v_mul_hi_u32 v11, v3, v11
	v_mul_hi_u32 v17, v3, v7
	v_add_co_u32_e32 v11, vcc, v11, v19
	v_addc_co_u32_e32 v17, vcc, 0, v17, vcc
	v_add_co_u32_e32 v11, vcc, v11, v15
	v_mul_hi_u32 v9, v5, v7
	v_addc_co_u32_e32 v11, vcc, v17, v13, vcc
	v_addc_co_u32_e32 v9, vcc, 0, v9, vcc
	v_mul_lo_u32 v7, v5, v7
	v_add_co_u32_e32 v7, vcc, v11, v7
	v_addc_co_u32_e32 v9, vcc, 0, v9, vcc
	v_add_co_u32_e32 v3, vcc, v3, v7
	v_addc_co_u32_e32 v5, vcc, v5, v9, vcc
	v_ashrrev_i32_e32 v7, 31, v23
	v_add_co_u32_e32 v9, vcc, v22, v7
	v_xor_b32_e32 v9, v9, v7
	v_addc_co_u32_e32 v11, vcc, v23, v7, vcc
	v_mad_u64_u32 v[24:25], s[0:1], v9, v5, 0
	v_mul_hi_u32 v13, v9, v3
	v_xor_b32_e32 v11, v11, v7
	v_add_co_u32_e32 v13, vcc, v13, v24
	v_addc_co_u32_e32 v15, vcc, 0, v25, vcc
	v_mad_u64_u32 v[30:31], s[0:1], v11, v3, 0
	v_add_co_u32_e32 v3, vcc, v13, v30
	v_mad_u64_u32 v[24:25], s[0:1], v11, v5, 0
	v_addc_co_u32_e32 v3, vcc, v15, v31, vcc
	v_addc_co_u32_e32 v5, vcc, 0, v25, vcc
	v_add_co_u32_e32 v3, vcc, v3, v24
	v_addc_co_u32_e32 v5, vcc, 0, v5, vcc
	v_mul_lo_u32 v13, s37, v3
	v_mul_lo_u32 v15, s36, v5
	v_mad_u64_u32 v[24:25], s[0:1], s36, v3, 0
	v_add3_u32 v13, v25, v15, v13
	v_sub_u32_e32 v15, v11, v13
	v_mov_b32_e32 v17, s37
	v_sub_co_u32_e32 v9, vcc, v9, v24
	v_subb_co_u32_e64 v15, s[0:1], v15, v17, vcc
	v_subrev_co_u32_e64 v17, s[0:1], s36, v9
	v_subbrev_co_u32_e64 v15, s[0:1], 0, v15, s[0:1]
	v_cmp_le_u32_e64 s[0:1], s37, v15
	v_cndmask_b32_e64 v19, 0, -1, s[0:1]
	v_cmp_le_u32_e64 s[0:1], s36, v17
	v_cndmask_b32_e64 v17, 0, -1, s[0:1]
	v_cmp_eq_u32_e64 s[0:1], s37, v15
	v_cndmask_b32_e64 v15, v19, v17, s[0:1]
	v_add_co_u32_e64 v17, s[0:1], 2, v3
	v_subb_co_u32_e32 v11, vcc, v11, v13, vcc
	v_addc_co_u32_e64 v19, s[0:1], 0, v5, s[0:1]
	v_cmp_le_u32_e32 vcc, s37, v11
	v_add_co_u32_e64 v21, s[0:1], 1, v3
	v_cndmask_b32_e64 v13, 0, -1, vcc
	v_cmp_le_u32_e32 vcc, s36, v9
	v_addc_co_u32_e64 v23, s[0:1], 0, v5, s[0:1]
	v_cndmask_b32_e64 v9, 0, -1, vcc
	v_cmp_eq_u32_e32 vcc, s37, v11
	v_cmp_ne_u32_e64 s[0:1], 0, v15
	v_cndmask_b32_e32 v9, v13, v9, vcc
	v_cmp_ne_u32_e32 vcc, 0, v9
	v_cndmask_b32_e64 v9, v21, v17, s[0:1]
	v_cndmask_b32_e64 v15, v23, v19, s[0:1]
	v_cndmask_b32_e32 v3, v3, v9, vcc
	v_xor_b32_e32 v9, s35, v7
	v_xor_b32_e32 v7, s34, v7
	v_cndmask_b32_e32 v5, v5, v15, vcc
	v_xor_b32_e32 v3, v3, v7
	v_xor_b32_e32 v5, v5, v9
	v_sub_co_u32_e32 v24, vcc, v3, v7
	v_subb_co_u32_e32 v25, vcc, v5, v9, vcc
.LBB48_53:                              ;   in Loop: Header=BB48_23 Depth=2
	s_andn2_saveexec_b64 s[0:1], s[30:31]
	s_cbranch_execz .LBB48_55
; %bb.54:                               ;   in Loop: Header=BB48_23 Depth=2
	v_cvt_f32_u32_e32 v3, s27
	s_sub_i32 s30, 0, s27
	v_mov_b32_e32 v25, v2
	v_rcp_iflag_f32_e32 v3, v3
	v_mul_f32_e32 v3, 0x4f7ffffe, v3
	v_cvt_u32_f32_e32 v3, v3
	v_mul_lo_u32 v5, s30, v3
	v_mul_hi_u32 v5, v3, v5
	v_add_u32_e32 v3, v3, v5
	v_mul_hi_u32 v3, v22, v3
	v_mul_lo_u32 v5, v3, s27
	v_sub_u32_e32 v5, v22, v5
	v_add_u32_e32 v7, 1, v3
	v_subrev_u32_e32 v9, s27, v5
	v_cmp_le_u32_e32 vcc, s27, v5
	v_cndmask_b32_e32 v5, v5, v9, vcc
	v_cndmask_b32_e32 v3, v3, v7, vcc
	v_add_u32_e32 v7, 1, v3
	v_cmp_le_u32_e32 vcc, s27, v5
	v_cndmask_b32_e32 v24, v3, v7, vcc
.LBB48_55:                              ;   in Loop: Header=BB48_23 Depth=2
	s_or_b64 exec, exec, s[0:1]
	v_mul_lo_u32 v3, v10, s50
	v_mul_lo_u32 v5, v12, s51
	v_sub_u32_e32 v3, v8, v3
	v_sub_u32_e32 v5, v10, v5
	v_mul_lo_u32 v3, s52, v3
	v_mul_lo_u32 v5, s54, v5
	v_add3_u32 v3, v3, v4, v5
	v_mul_lo_u32 v4, v14, s53
	v_mul_lo_u32 v5, v16, s55
	v_sub_u32_e32 v4, v12, v4
	v_sub_u32_e32 v5, v14, v5
	s_add_u32 s0, s43, s28
	v_mul_lo_u32 v4, s56, v4
	v_mul_lo_u32 v5, s58, v5
	s_addc_u32 s1, s44, s29
	v_add3_u32 v3, v4, v3, v5
	v_mul_lo_u32 v4, v18, s57
	v_mul_lo_u32 v5, v20, s59
	s_load_dword s0, s[0:1], 0x0
	v_sub_u32_e32 v4, v16, v4
	v_sub_u32_e32 v5, v18, v5
	v_mul_lo_u32 v4, s60, v4
	v_mul_lo_u32 v5, s61, v5
	v_add3_u32 v3, v4, v3, v5
	v_mul_lo_u32 v4, v22, s16
	v_mul_lo_u32 v5, v24, s27
	v_sub_u32_e32 v4, v20, v4
	v_sub_u32_e32 v5, v22, v5
	v_mul_lo_u32 v4, s62, v4
	s_waitcnt lgkmcnt(0)
	v_mul_lo_u32 v5, s0, v5
	s_add_i32 s26, s26, -8
	s_cmp_eq_u32 s26, -8
	v_add3_u32 v4, v4, v3, v5
	s_cbranch_scc1 .LBB48_57
; %bb.56:                               ;   in Loop: Header=BB48_23 Depth=2
	v_pk_mov_b32 v[8:9], v[24:25], v[24:25] op_sel:[0,1]
	s_branch .LBB48_23
.LBB48_57:                              ;   in Loop: Header=BB48_3 Depth=1
	s_load_dword s16, s[14:15], 0x0
	s_waitcnt lgkmcnt(0)
	v_cmp_gt_i32_e32 vcc, s16, v28
	s_and_b64 exec, exec, vcc
	s_cbranch_execz .LBB48_2
; %bb.58:                               ;   in Loop: Header=BB48_3 Depth=1
	v_ashrrev_i32_e32 v7, 31, v6
	v_cmp_lt_i64_e32 vcc, s[8:9], v[6:7]
	s_and_saveexec_b64 s[0:1], vcc
	s_cbranch_execz .LBB48_60
; %bb.59:                               ;   in Loop: Header=BB48_3 Depth=1
	v_ashrrev_i32_e32 v3, 31, v4
	v_mov_b32_e32 v5, s3
	v_add_co_u32_e32 v6, vcc, s2, v4
	v_addc_co_u32_e32 v7, vcc, v5, v3, vcc
	global_store_byte v[6:7], v2, off
.LBB48_60:                              ;   in Loop: Header=BB48_3 Depth=1
	s_or_b64 exec, exec, s[0:1]
	v_add_u32_e32 v3, 1, v28
	v_cmp_gt_i32_e32 vcc, s16, v3
	s_and_b64 exec, exec, vcc
	s_cbranch_execz .LBB48_2
; %bb.61:                               ;   in Loop: Header=BB48_3 Depth=1
	v_sub_u32_e32 v6, v3, v27
	v_ashrrev_i32_e32 v7, 31, v6
	v_cmp_lt_i64_e32 vcc, s[8:9], v[6:7]
	s_and_saveexec_b64 s[0:1], vcc
	s_cbranch_execz .LBB48_63
; %bb.62:                               ;   in Loop: Header=BB48_3 Depth=1
	v_add_u32_e32 v3, s49, v4
	v_ashrrev_i32_e32 v5, 31, v3
	v_mov_b32_e32 v7, s3
	v_add_co_u32_e32 v6, vcc, s2, v3
	v_addc_co_u32_e32 v7, vcc, v7, v5, vcc
	global_store_byte v[6:7], v2, off
.LBB48_63:                              ;   in Loop: Header=BB48_3 Depth=1
	s_or_b64 exec, exec, s[0:1]
	v_add_u32_e32 v3, 2, v28
	v_cmp_gt_i32_e32 vcc, s16, v3
	s_and_b64 exec, exec, vcc
	s_cbranch_execz .LBB48_2
; %bb.64:                               ;   in Loop: Header=BB48_3 Depth=1
	v_sub_u32_e32 v6, v3, v27
	v_ashrrev_i32_e32 v7, 31, v6
	v_cmp_lt_i64_e32 vcc, s[8:9], v[6:7]
	s_and_saveexec_b64 s[0:1], vcc
	s_cbranch_execz .LBB48_66
; %bb.65:                               ;   in Loop: Header=BB48_3 Depth=1
	v_lshl_add_u32 v3, s49, 1, v4
	v_ashrrev_i32_e32 v5, 31, v3
	v_mov_b32_e32 v7, s3
	v_add_co_u32_e32 v6, vcc, s2, v3
	v_addc_co_u32_e32 v7, vcc, v7, v5, vcc
	global_store_byte v[6:7], v2, off
.LBB48_66:                              ;   in Loop: Header=BB48_3 Depth=1
	s_or_b64 exec, exec, s[0:1]
	v_add_u32_e32 v3, 3, v28
	v_cmp_gt_i32_e32 vcc, s16, v3
	s_and_b64 exec, exec, vcc
	s_cbranch_execz .LBB48_2
; %bb.67:                               ;   in Loop: Header=BB48_3 Depth=1
	v_sub_u32_e32 v6, v3, v27
	v_ashrrev_i32_e32 v7, 31, v6
	v_cmp_lt_i64_e32 vcc, s[8:9], v[6:7]
	s_and_b64 exec, exec, vcc
	s_cbranch_execz .LBB48_2
; %bb.68:                               ;   in Loop: Header=BB48_3 Depth=1
	v_mad_u64_u32 v[4:5], s[0:1], s49, 3, v[4:5]
	v_ashrrev_i32_e32 v3, 31, v4
	v_mov_b32_e32 v5, s3
	v_add_co_u32_e32 v4, vcc, s2, v4
	v_addc_co_u32_e32 v5, vcc, v5, v3, vcc
	global_store_byte v[4:5], v2, off
	s_branch .LBB48_2
.LBB48_69:
	s_endpgm
	.section	.rodata,"a",@progbits
	.p2align	6, 0x0
	.amdhsa_kernel _ZN2at6native16triu_tril_kernelIbiLb0ELi4ELb1EEEvNS_4cuda6detail10TensorInfoIT_T0_EENS4_IKS5_S6_EEllS6_
		.amdhsa_group_segment_fixed_size 0
		.amdhsa_private_segment_fixed_size 0
		.amdhsa_kernarg_size 712
		.amdhsa_user_sgpr_count 6
		.amdhsa_user_sgpr_private_segment_buffer 1
		.amdhsa_user_sgpr_dispatch_ptr 0
		.amdhsa_user_sgpr_queue_ptr 0
		.amdhsa_user_sgpr_kernarg_segment_ptr 1
		.amdhsa_user_sgpr_dispatch_id 0
		.amdhsa_user_sgpr_flat_scratch_init 0
		.amdhsa_user_sgpr_kernarg_preload_length 0
		.amdhsa_user_sgpr_kernarg_preload_offset 0
		.amdhsa_user_sgpr_private_segment_size 0
		.amdhsa_uses_dynamic_stack 0
		.amdhsa_system_sgpr_private_segment_wavefront_offset 0
		.amdhsa_system_sgpr_workgroup_id_x 1
		.amdhsa_system_sgpr_workgroup_id_y 0
		.amdhsa_system_sgpr_workgroup_id_z 0
		.amdhsa_system_sgpr_workgroup_info 0
		.amdhsa_system_vgpr_workitem_id 0
		.amdhsa_next_free_vgpr 32
		.amdhsa_next_free_sgpr 63
		.amdhsa_accum_offset 32
		.amdhsa_reserve_vcc 1
		.amdhsa_reserve_flat_scratch 0
		.amdhsa_float_round_mode_32 0
		.amdhsa_float_round_mode_16_64 0
		.amdhsa_float_denorm_mode_32 3
		.amdhsa_float_denorm_mode_16_64 3
		.amdhsa_dx10_clamp 1
		.amdhsa_ieee_mode 1
		.amdhsa_fp16_overflow 0
		.amdhsa_tg_split 0
		.amdhsa_exception_fp_ieee_invalid_op 0
		.amdhsa_exception_fp_denorm_src 0
		.amdhsa_exception_fp_ieee_div_zero 0
		.amdhsa_exception_fp_ieee_overflow 0
		.amdhsa_exception_fp_ieee_underflow 0
		.amdhsa_exception_fp_ieee_inexact 0
		.amdhsa_exception_int_div_zero 0
	.end_amdhsa_kernel
	.section	.text._ZN2at6native16triu_tril_kernelIbiLb0ELi4ELb1EEEvNS_4cuda6detail10TensorInfoIT_T0_EENS4_IKS5_S6_EEllS6_,"axG",@progbits,_ZN2at6native16triu_tril_kernelIbiLb0ELi4ELb1EEEvNS_4cuda6detail10TensorInfoIT_T0_EENS4_IKS5_S6_EEllS6_,comdat
.Lfunc_end48:
	.size	_ZN2at6native16triu_tril_kernelIbiLb0ELi4ELb1EEEvNS_4cuda6detail10TensorInfoIT_T0_EENS4_IKS5_S6_EEllS6_, .Lfunc_end48-_ZN2at6native16triu_tril_kernelIbiLb0ELi4ELb1EEEvNS_4cuda6detail10TensorInfoIT_T0_EENS4_IKS5_S6_EEllS6_
                                        ; -- End function
	.section	.AMDGPU.csdata,"",@progbits
; Kernel info:
; codeLenInByte = 10264
; NumSgprs: 67
; NumVgprs: 32
; NumAgprs: 0
; TotalNumVgprs: 32
; ScratchSize: 0
; MemoryBound: 0
; FloatMode: 240
; IeeeMode: 1
; LDSByteSize: 0 bytes/workgroup (compile time only)
; SGPRBlocks: 8
; VGPRBlocks: 3
; NumSGPRsForWavesPerEU: 67
; NumVGPRsForWavesPerEU: 32
; AccumOffset: 32
; Occupancy: 8
; WaveLimiterHint : 0
; COMPUTE_PGM_RSRC2:SCRATCH_EN: 0
; COMPUTE_PGM_RSRC2:USER_SGPR: 6
; COMPUTE_PGM_RSRC2:TRAP_HANDLER: 0
; COMPUTE_PGM_RSRC2:TGID_X_EN: 1
; COMPUTE_PGM_RSRC2:TGID_Y_EN: 0
; COMPUTE_PGM_RSRC2:TGID_Z_EN: 0
; COMPUTE_PGM_RSRC2:TIDIG_COMP_CNT: 0
; COMPUTE_PGM_RSRC3_GFX90A:ACCUM_OFFSET: 7
; COMPUTE_PGM_RSRC3_GFX90A:TG_SPLIT: 0
	.section	.text._ZN2at6native16triu_tril_kernelIbiLb0ELi4ELb0EEEvNS_4cuda6detail10TensorInfoIT_T0_EENS4_IKS5_S6_EEllS6_,"axG",@progbits,_ZN2at6native16triu_tril_kernelIbiLb0ELi4ELb0EEEvNS_4cuda6detail10TensorInfoIT_T0_EENS4_IKS5_S6_EEllS6_,comdat
	.protected	_ZN2at6native16triu_tril_kernelIbiLb0ELi4ELb0EEEvNS_4cuda6detail10TensorInfoIT_T0_EENS4_IKS5_S6_EEllS6_ ; -- Begin function _ZN2at6native16triu_tril_kernelIbiLb0ELi4ELb0EEEvNS_4cuda6detail10TensorInfoIT_T0_EENS4_IKS5_S6_EEllS6_
	.globl	_ZN2at6native16triu_tril_kernelIbiLb0ELi4ELb0EEEvNS_4cuda6detail10TensorInfoIT_T0_EENS4_IKS5_S6_EEllS6_
	.p2align	8
	.type	_ZN2at6native16triu_tril_kernelIbiLb0ELi4ELb0EEEvNS_4cuda6detail10TensorInfoIT_T0_EENS4_IKS5_S6_EEllS6_,@function
_ZN2at6native16triu_tril_kernelIbiLb0ELi4ELb0EEEvNS_4cuda6detail10TensorInfoIT_T0_EENS4_IKS5_S6_EEllS6_: ; @_ZN2at6native16triu_tril_kernelIbiLb0ELi4ELb0EEEvNS_4cuda6detail10TensorInfoIT_T0_EENS4_IKS5_S6_EEllS6_
; %bb.0:
	s_load_dword s2, s[4:5], 0x1d4
	s_load_dwordx4 s[8:11], s[4:5], 0x1b0
	s_add_u32 s0, s4, 0x1c8
	v_mov_b32_e32 v2, 0
	s_addc_u32 s1, s5, 0
	s_waitcnt lgkmcnt(0)
	s_and_b32 s2, s2, 0xffff
	v_mov_b32_e32 v1, v2
	v_mov_b32_e32 v3, s6
	v_mad_u64_u32 v[0:1], s[6:7], s2, v3, v[0:1]
	v_lshlrev_b64 v[0:1], 2, v[0:1]
	s_mov_b32 s33, 0xffff
	v_cmp_gt_i64_e32 vcc, s[10:11], v[0:1]
	s_and_saveexec_b64 s[6:7], vcc
	s_cbranch_execz .LBB49_58
; %bb.1:
	s_load_dword s6, s[4:5], 0x1a8
	s_add_u32 s38, s4, 0xd8
	s_addc_u32 s39, s5, 0
	s_load_dword s3, s[0:1], 0x0
	s_load_dwordx2 s[12:13], s[4:5], 0xd8
	s_mov_b32 s25, 0
	s_waitcnt lgkmcnt(0)
	s_ashr_i32 s7, s6, 31
	s_lshl_b64 s[0:1], s[6:7], 2
	s_add_u32 s20, s0, -8
	s_addc_u32 s21, s1, -1
	s_add_u32 s0, s38, s20
	s_addc_u32 s1, s39, s21
	s_load_dwordx2 s[14:15], s[0:1], 0x8
	s_load_dword s40, s[4:5], 0x1c0
	s_load_dwordx2 s[18:19], s[0:1], 0x6c
	s_mul_i32 s3, s3, s2
	v_cmp_gt_i64_e64 s[16:17], s[6:7], 2
	s_waitcnt lgkmcnt(0)
	s_ashr_i32 s41, s14, 31
	v_cvt_f32_u32_e32 v3, s40
	s_ashr_i32 s42, s40, 31
	s_add_u32 s43, s4, 0x6c
	s_addc_u32 s44, s5, 0
	v_rcp_iflag_f32_e32 v3, v3
	s_add_u32 s0, s43, s20
	s_addc_u32 s1, s44, s21
	s_load_dwordx2 s[20:21], s[0:1], 0x0
	s_load_dwordx2 s[22:23], s[4:5], 0x0
	v_mul_f32_e32 v3, 0x4f7ffffe, v3
	s_add_i32 s45, s6, -3
	s_lshl_b32 s46, s3, 2
	s_and_b32 s48, s6, 3
	v_cvt_u32_f32_e32 v22, v3
	s_cmp_lg_u32 s48, 2
	s_cselect_b64 s[26:27], -1, 0
	s_cmp_gt_u32 s45, 2
	s_mov_b32 s47, s25
	s_cselect_b64 s[28:29], -1, 0
	s_ashr_i32 s49, s19, 31
	s_mov_b32 s50, s19
	s_waitcnt lgkmcnt(0)
	s_ashr_i32 s51, s21, 31
	s_mov_b32 s52, s21
	s_mov_b64 s[30:31], 0
	v_mov_b32_e32 v23, 1
	s_branch .LBB49_3
.LBB49_2:                               ;   in Loop: Header=BB49_3 Depth=1
	s_or_b64 exec, exec, s[0:1]
	v_mov_b32_e32 v3, s47
	v_add_co_u32_e32 v0, vcc, s46, v0
	v_addc_co_u32_e32 v1, vcc, v1, v3, vcc
	v_cmp_le_i64_e32 vcc, s[10:11], v[0:1]
	s_or_b64 s[30:31], vcc, s[30:31]
	s_andn2_b64 exec, exec, s[30:31]
	s_cbranch_execz .LBB49_58
.LBB49_3:                               ; =>This Loop Header: Depth=1
                                        ;     Child Loop BB49_37 Depth 2
                                        ;     Child Loop BB49_18 Depth 2
	v_or_b32_e32 v3, s42, v1
	v_cmp_ne_u64_e32 vcc, 0, v[2:3]
                                        ; implicit-def: $vgpr4_vgpr5
                                        ; implicit-def: $vgpr14_vgpr15
	s_and_saveexec_b64 s[0:1], vcc
	s_xor_b64 s[4:5], exec, s[0:1]
	s_cbranch_execz .LBB49_5
; %bb.4:                                ;   in Loop: Header=BB49_3 Depth=1
	s_add_u32 s0, s40, s42
	s_mov_b32 s2, s42
	s_mov_b32 s3, s42
	s_addc_u32 s1, s42, s42
	s_xor_b64 s[6:7], s[0:1], s[2:3]
	v_cvt_f32_u32_e32 v3, s6
	v_cvt_f32_u32_e32 v4, s7
	s_sub_u32 s0, 0, s6
	s_subb_u32 s1, 0, s7
	v_mac_f32_e32 v3, 0x4f800000, v4
	v_rcp_f32_e32 v3, v3
	v_mul_f32_e32 v3, 0x5f7ffffc, v3
	v_mul_f32_e32 v4, 0x2f800000, v3
	v_trunc_f32_e32 v4, v4
	v_mac_f32_e32 v3, 0xcf800000, v4
	v_cvt_u32_f32_e32 v4, v4
	v_cvt_u32_f32_e32 v3, v3
	v_mul_lo_u32 v5, s0, v4
	v_mul_hi_u32 v7, s0, v3
	v_mul_lo_u32 v6, s1, v3
	v_add_u32_e32 v5, v7, v5
	v_mul_lo_u32 v8, s0, v3
	v_add_u32_e32 v5, v5, v6
	v_mul_lo_u32 v7, v3, v5
	v_mul_hi_u32 v9, v3, v8
	v_mul_hi_u32 v6, v3, v5
	v_add_co_u32_e32 v7, vcc, v9, v7
	v_addc_co_u32_e32 v6, vcc, 0, v6, vcc
	v_mul_hi_u32 v10, v4, v8
	v_mul_lo_u32 v8, v4, v8
	v_add_co_u32_e32 v7, vcc, v7, v8
	v_mul_hi_u32 v9, v4, v5
	v_addc_co_u32_e32 v6, vcc, v6, v10, vcc
	v_addc_co_u32_e32 v7, vcc, 0, v9, vcc
	v_mul_lo_u32 v5, v4, v5
	v_add_co_u32_e32 v5, vcc, v6, v5
	v_addc_co_u32_e32 v6, vcc, 0, v7, vcc
	v_add_co_u32_e32 v3, vcc, v3, v5
	v_addc_co_u32_e32 v4, vcc, v4, v6, vcc
	v_mul_lo_u32 v5, s0, v4
	v_mul_hi_u32 v6, s0, v3
	v_add_u32_e32 v5, v6, v5
	v_mul_lo_u32 v6, s1, v3
	v_add_u32_e32 v5, v5, v6
	v_mul_lo_u32 v7, s0, v3
	v_mul_hi_u32 v8, v4, v7
	v_mul_lo_u32 v9, v4, v7
	v_mul_lo_u32 v11, v3, v5
	v_mul_hi_u32 v7, v3, v7
	v_mul_hi_u32 v10, v3, v5
	v_add_co_u32_e32 v7, vcc, v7, v11
	v_addc_co_u32_e32 v10, vcc, 0, v10, vcc
	v_add_co_u32_e32 v7, vcc, v7, v9
	v_mul_hi_u32 v6, v4, v5
	v_addc_co_u32_e32 v7, vcc, v10, v8, vcc
	v_addc_co_u32_e32 v6, vcc, 0, v6, vcc
	v_mul_lo_u32 v5, v4, v5
	v_add_co_u32_e32 v5, vcc, v7, v5
	v_addc_co_u32_e32 v6, vcc, 0, v6, vcc
	v_add_co_u32_e32 v3, vcc, v3, v5
	v_addc_co_u32_e32 v6, vcc, v4, v6, vcc
	v_ashrrev_i32_e32 v8, 31, v1
	v_add_co_u32_e32 v4, vcc, v0, v8
	v_addc_co_u32_e32 v5, vcc, v1, v8, vcc
	v_xor_b32_e32 v10, v4, v8
	v_xor_b32_e32 v9, v5, v8
	v_mad_u64_u32 v[4:5], s[0:1], v10, v6, 0
	v_mul_hi_u32 v7, v10, v3
	v_add_co_u32_e32 v11, vcc, v7, v4
	v_addc_co_u32_e32 v12, vcc, 0, v5, vcc
	v_mad_u64_u32 v[4:5], s[0:1], v9, v6, 0
	v_mad_u64_u32 v[6:7], s[0:1], v9, v3, 0
	v_add_co_u32_e32 v3, vcc, v11, v6
	v_addc_co_u32_e32 v3, vcc, v12, v7, vcc
	v_addc_co_u32_e32 v5, vcc, 0, v5, vcc
	v_add_co_u32_e32 v3, vcc, v3, v4
	v_addc_co_u32_e32 v6, vcc, 0, v5, vcc
	v_mul_lo_u32 v7, s7, v3
	v_mul_lo_u32 v11, s6, v6
	v_mad_u64_u32 v[4:5], s[0:1], s6, v3, 0
	v_add3_u32 v5, v5, v11, v7
	v_sub_u32_e32 v7, v9, v5
	v_mov_b32_e32 v11, s7
	v_sub_co_u32_e32 v4, vcc, v10, v4
	v_subb_co_u32_e64 v7, s[0:1], v7, v11, vcc
	v_subrev_co_u32_e64 v10, s[0:1], s6, v4
	v_subbrev_co_u32_e64 v7, s[0:1], 0, v7, s[0:1]
	v_cmp_le_u32_e64 s[0:1], s7, v7
	v_cndmask_b32_e64 v11, 0, -1, s[0:1]
	v_cmp_le_u32_e64 s[0:1], s6, v10
	v_cndmask_b32_e64 v12, 0, -1, s[0:1]
	v_cmp_eq_u32_e64 s[0:1], s7, v7
	v_cndmask_b32_e64 v7, v11, v12, s[0:1]
	v_add_co_u32_e64 v11, s[0:1], 2, v3
	v_addc_co_u32_e64 v12, s[0:1], 0, v6, s[0:1]
	v_add_co_u32_e64 v13, s[0:1], 1, v3
	v_subb_co_u32_e32 v5, vcc, v9, v5, vcc
	v_addc_co_u32_e64 v14, s[0:1], 0, v6, s[0:1]
	v_cmp_le_u32_e32 vcc, s7, v5
	v_cmp_ne_u32_e64 s[0:1], 0, v7
	v_cndmask_b32_e64 v9, 0, -1, vcc
	v_cmp_le_u32_e32 vcc, s6, v4
	v_cndmask_b32_e64 v7, v14, v12, s[0:1]
	v_cndmask_b32_e64 v12, 0, -1, vcc
	v_cmp_eq_u32_e32 vcc, s7, v5
	v_cndmask_b32_e32 v5, v9, v12, vcc
	v_cmp_ne_u32_e32 vcc, 0, v5
	v_cndmask_b32_e32 v5, v6, v7, vcc
	v_cndmask_b32_e64 v6, v13, v11, s[0:1]
	v_cndmask_b32_e32 v3, v3, v6, vcc
	v_xor_b32_e32 v7, s2, v8
	v_xor_b32_e32 v6, s3, v8
	v_xor_b32_e32 v3, v3, v7
	v_xor_b32_e32 v5, v5, v6
	v_sub_co_u32_e64 v14, s[2:3], v3, v7
	v_subb_co_u32_e64 v15, s[2:3], v5, v6, s[2:3]
	v_subrev_co_u32_e64 v3, s[2:3], s6, v10
	v_cndmask_b32_e64 v3, v10, v3, s[0:1]
	v_cndmask_b32_e32 v3, v4, v3, vcc
	v_xor_b32_e32 v3, v3, v8
	v_sub_co_u32_e32 v4, vcc, v3, v8
.LBB49_5:                               ;   in Loop: Header=BB49_3 Depth=1
	s_andn2_saveexec_b64 s[2:3], s[4:5]
	s_cbranch_execz .LBB49_7
; %bb.6:                                ;   in Loop: Header=BB49_3 Depth=1
	s_sub_i32 s0, 0, s40
	v_mul_lo_u32 v3, s0, v22
	v_mul_hi_u32 v3, v22, v3
	v_add_u32_e32 v3, v22, v3
	v_mul_hi_u32 v3, v0, v3
	v_mul_lo_u32 v4, v3, s40
	v_sub_u32_e32 v4, v0, v4
	v_subrev_u32_e32 v5, s40, v4
	v_cmp_le_u32_e32 vcc, s40, v4
	v_cndmask_b32_e32 v4, v4, v5, vcc
	v_subrev_u32_e32 v5, s40, v4
	v_cmp_le_u32_e64 s[0:1], s40, v4
	v_cndmask_b32_e64 v4, v4, v5, s[0:1]
	v_add_u32_e32 v5, 1, v3
	v_cndmask_b32_e32 v3, v3, v5, vcc
	v_add_u32_e32 v5, 1, v3
	v_cndmask_b32_e64 v14, v3, v5, s[0:1]
	v_mov_b32_e32 v15, v2
.LBB49_7:                               ;   in Loop: Header=BB49_3 Depth=1
	s_or_b64 exec, exec, s[2:3]
	v_or_b32_e32 v3, s41, v15
	v_cmp_ne_u64_e32 vcc, 0, v[2:3]
                                        ; implicit-def: $vgpr8_vgpr9
	s_and_saveexec_b64 s[0:1], vcc
	s_xor_b64 s[2:3], exec, s[0:1]
	s_cbranch_execz .LBB49_9
; %bb.8:                                ;   in Loop: Header=BB49_3 Depth=1
	s_add_u32 s4, s14, s41
	s_mov_b32 s0, s41
	s_mov_b32 s1, s41
	s_addc_u32 s5, s41, s41
	s_xor_b64 s[4:5], s[4:5], s[0:1]
	v_cvt_f32_u32_e32 v5, s4
	v_cvt_f32_u32_e32 v6, s5
	s_sub_u32 s0, 0, s4
	s_subb_u32 s1, 0, s5
	v_mac_f32_e32 v5, 0x4f800000, v6
	v_rcp_f32_e32 v5, v5
	v_mul_f32_e32 v5, 0x5f7ffffc, v5
	v_mul_f32_e32 v6, 0x2f800000, v5
	v_trunc_f32_e32 v6, v6
	v_mac_f32_e32 v5, 0xcf800000, v6
	v_cvt_u32_f32_e32 v6, v6
	v_cvt_u32_f32_e32 v5, v5
	v_mul_lo_u32 v7, s0, v6
	v_mul_hi_u32 v9, s0, v5
	v_mul_lo_u32 v8, s1, v5
	v_add_u32_e32 v7, v9, v7
	v_mul_lo_u32 v10, s0, v5
	v_add_u32_e32 v7, v7, v8
	v_mul_lo_u32 v9, v5, v7
	v_mul_hi_u32 v11, v5, v10
	v_mul_hi_u32 v8, v5, v7
	v_add_co_u32_e32 v9, vcc, v11, v9
	v_addc_co_u32_e32 v8, vcc, 0, v8, vcc
	v_mul_hi_u32 v12, v6, v10
	v_mul_lo_u32 v10, v6, v10
	v_add_co_u32_e32 v9, vcc, v9, v10
	v_mul_hi_u32 v11, v6, v7
	v_addc_co_u32_e32 v8, vcc, v8, v12, vcc
	v_addc_co_u32_e32 v9, vcc, 0, v11, vcc
	v_mul_lo_u32 v7, v6, v7
	v_add_co_u32_e32 v7, vcc, v8, v7
	v_addc_co_u32_e32 v8, vcc, 0, v9, vcc
	v_add_co_u32_e32 v5, vcc, v5, v7
	v_addc_co_u32_e32 v6, vcc, v6, v8, vcc
	v_mul_lo_u32 v7, s0, v6
	v_mul_hi_u32 v8, s0, v5
	v_add_u32_e32 v7, v8, v7
	v_mul_lo_u32 v8, s1, v5
	v_add_u32_e32 v7, v7, v8
	v_mul_lo_u32 v9, s0, v5
	v_mul_hi_u32 v10, v6, v9
	v_mul_lo_u32 v11, v6, v9
	v_mul_lo_u32 v13, v5, v7
	v_mul_hi_u32 v9, v5, v9
	v_mul_hi_u32 v12, v5, v7
	v_add_co_u32_e32 v9, vcc, v9, v13
	v_addc_co_u32_e32 v12, vcc, 0, v12, vcc
	v_add_co_u32_e32 v9, vcc, v9, v11
	v_mul_hi_u32 v8, v6, v7
	v_addc_co_u32_e32 v9, vcc, v12, v10, vcc
	v_addc_co_u32_e32 v8, vcc, 0, v8, vcc
	v_mul_lo_u32 v7, v6, v7
	v_add_co_u32_e32 v7, vcc, v9, v7
	v_addc_co_u32_e32 v8, vcc, 0, v8, vcc
	v_add_co_u32_e32 v5, vcc, v5, v7
	v_addc_co_u32_e32 v8, vcc, v6, v8, vcc
	v_ashrrev_i32_e32 v10, 31, v15
	v_add_co_u32_e32 v6, vcc, v14, v10
	v_addc_co_u32_e32 v7, vcc, v15, v10, vcc
	v_xor_b32_e32 v12, v6, v10
	v_xor_b32_e32 v11, v7, v10
	v_mad_u64_u32 v[6:7], s[0:1], v12, v8, 0
	v_mul_hi_u32 v9, v12, v5
	v_add_co_u32_e32 v13, vcc, v9, v6
	v_addc_co_u32_e32 v16, vcc, 0, v7, vcc
	v_mad_u64_u32 v[6:7], s[0:1], v11, v8, 0
	v_mad_u64_u32 v[8:9], s[0:1], v11, v5, 0
	v_add_co_u32_e32 v5, vcc, v13, v8
	v_addc_co_u32_e32 v5, vcc, v16, v9, vcc
	v_addc_co_u32_e32 v7, vcc, 0, v7, vcc
	v_add_co_u32_e32 v5, vcc, v5, v6
	v_addc_co_u32_e32 v6, vcc, 0, v7, vcc
	v_mul_lo_u32 v8, s5, v5
	v_mul_lo_u32 v9, s4, v6
	v_mad_u64_u32 v[6:7], s[0:1], s4, v5, 0
	v_add3_u32 v5, v7, v9, v8
	v_sub_u32_e32 v7, v11, v5
	v_mov_b32_e32 v8, s5
	v_sub_co_u32_e32 v6, vcc, v12, v6
	v_subb_co_u32_e64 v7, s[0:1], v7, v8, vcc
	v_subrev_co_u32_e64 v8, s[0:1], s4, v6
	v_subbrev_co_u32_e64 v7, s[0:1], 0, v7, s[0:1]
	v_cmp_le_u32_e64 s[0:1], s5, v7
	v_subb_co_u32_e32 v5, vcc, v11, v5, vcc
	v_cndmask_b32_e64 v9, 0, -1, s[0:1]
	v_cmp_le_u32_e64 s[0:1], s4, v8
	v_cmp_le_u32_e32 vcc, s5, v5
	v_cndmask_b32_e64 v12, 0, -1, s[0:1]
	v_cmp_eq_u32_e64 s[0:1], s5, v7
	v_cndmask_b32_e64 v11, 0, -1, vcc
	v_cmp_le_u32_e32 vcc, s4, v6
	v_cndmask_b32_e64 v7, v9, v12, s[0:1]
	v_cndmask_b32_e64 v12, 0, -1, vcc
	v_cmp_eq_u32_e32 vcc, s5, v5
	v_subrev_co_u32_e64 v9, s[0:1], s4, v8
	v_cndmask_b32_e32 v5, v11, v12, vcc
	v_cmp_ne_u32_e32 vcc, 0, v7
	v_cndmask_b32_e32 v7, v8, v9, vcc
	v_cmp_ne_u32_e32 vcc, 0, v5
	v_cndmask_b32_e32 v5, v6, v7, vcc
	v_xor_b32_e32 v5, v5, v10
	v_sub_co_u32_e32 v8, vcc, v5, v10
.LBB49_9:                               ;   in Loop: Header=BB49_3 Depth=1
	s_andn2_saveexec_b64 s[0:1], s[2:3]
	s_cbranch_execz .LBB49_11
; %bb.10:                               ;   in Loop: Header=BB49_3 Depth=1
	v_cvt_f32_u32_e32 v5, s14
	s_sub_i32 s2, 0, s14
	v_rcp_iflag_f32_e32 v5, v5
	v_mul_f32_e32 v5, 0x4f7ffffe, v5
	v_cvt_u32_f32_e32 v5, v5
	v_mul_lo_u32 v6, s2, v5
	v_mul_hi_u32 v6, v5, v6
	v_add_u32_e32 v5, v5, v6
	v_mul_hi_u32 v5, v14, v5
	v_mul_lo_u32 v5, v5, s14
	v_sub_u32_e32 v5, v14, v5
	v_subrev_u32_e32 v6, s14, v5
	v_cmp_le_u32_e32 vcc, s14, v5
	v_cndmask_b32_e32 v5, v5, v6, vcc
	v_subrev_u32_e32 v6, s14, v5
	v_cmp_le_u32_e32 vcc, s14, v5
	v_cndmask_b32_e32 v8, v5, v6, vcc
.LBB49_11:                              ;   in Loop: Header=BB49_3 Depth=1
	s_or_b64 exec, exec, s[0:1]
	v_mul_lo_u32 v6, s19, v4
	v_mad_u64_u32 v[10:11], s[0:1], s18, v8, v[6:7]
	v_mul_lo_u32 v6, s21, v4
	s_andn2_b64 vcc, exec, s[16:17]
	v_mad_u64_u32 v[6:7], s[0:1], s20, v8, v[6:7]
	s_cbranch_vccnz .LBB49_41
; %bb.12:                               ;   in Loop: Header=BB49_3 Depth=1
	v_cmp_ne_u64_e32 vcc, 0, v[2:3]
                                        ; implicit-def: $vgpr12_vgpr13
	s_and_saveexec_b64 s[0:1], vcc
	s_xor_b64 s[2:3], exec, s[0:1]
	s_cbranch_execz .LBB49_14
; %bb.13:                               ;   in Loop: Header=BB49_3 Depth=1
	s_add_u32 s0, s14, s41
	s_mov_b32 s4, s41
	s_mov_b32 s5, s41
	s_addc_u32 s1, s41, s41
	s_xor_b64 s[6:7], s[0:1], s[4:5]
	v_cvt_f32_u32_e32 v3, s6
	v_cvt_f32_u32_e32 v5, s7
	s_sub_u32 s0, 0, s6
	s_subb_u32 s1, 0, s7
	v_mac_f32_e32 v3, 0x4f800000, v5
	v_rcp_f32_e32 v3, v3
	v_mul_f32_e32 v3, 0x5f7ffffc, v3
	v_mul_f32_e32 v5, 0x2f800000, v3
	v_trunc_f32_e32 v5, v5
	v_mac_f32_e32 v3, 0xcf800000, v5
	v_cvt_u32_f32_e32 v5, v5
	v_cvt_u32_f32_e32 v3, v3
	v_mul_lo_u32 v7, s0, v5
	v_mul_hi_u32 v11, s0, v3
	v_mul_lo_u32 v9, s1, v3
	v_add_u32_e32 v7, v11, v7
	v_mul_lo_u32 v12, s0, v3
	v_add_u32_e32 v7, v7, v9
	v_mul_lo_u32 v11, v3, v7
	v_mul_hi_u32 v13, v3, v12
	v_mul_hi_u32 v9, v3, v7
	v_add_co_u32_e32 v11, vcc, v13, v11
	v_addc_co_u32_e32 v9, vcc, 0, v9, vcc
	v_mul_hi_u32 v16, v5, v12
	v_mul_lo_u32 v12, v5, v12
	v_add_co_u32_e32 v11, vcc, v11, v12
	v_mul_hi_u32 v13, v5, v7
	v_addc_co_u32_e32 v9, vcc, v9, v16, vcc
	v_addc_co_u32_e32 v11, vcc, 0, v13, vcc
	v_mul_lo_u32 v7, v5, v7
	v_add_co_u32_e32 v7, vcc, v9, v7
	v_addc_co_u32_e32 v9, vcc, 0, v11, vcc
	v_add_co_u32_e32 v3, vcc, v3, v7
	v_addc_co_u32_e32 v5, vcc, v5, v9, vcc
	v_mul_lo_u32 v7, s0, v5
	v_mul_hi_u32 v9, s0, v3
	v_add_u32_e32 v7, v9, v7
	v_mul_lo_u32 v9, s1, v3
	v_add_u32_e32 v7, v7, v9
	v_mul_lo_u32 v11, s0, v3
	v_mul_hi_u32 v12, v5, v11
	v_mul_lo_u32 v13, v5, v11
	v_mul_lo_u32 v17, v3, v7
	v_mul_hi_u32 v11, v3, v11
	v_mul_hi_u32 v16, v3, v7
	v_add_co_u32_e32 v11, vcc, v11, v17
	v_addc_co_u32_e32 v16, vcc, 0, v16, vcc
	v_add_co_u32_e32 v11, vcc, v11, v13
	v_mul_hi_u32 v9, v5, v7
	v_addc_co_u32_e32 v11, vcc, v16, v12, vcc
	v_addc_co_u32_e32 v9, vcc, 0, v9, vcc
	v_mul_lo_u32 v7, v5, v7
	v_add_co_u32_e32 v7, vcc, v11, v7
	v_addc_co_u32_e32 v9, vcc, 0, v9, vcc
	v_add_co_u32_e32 v3, vcc, v3, v7
	v_addc_co_u32_e32 v5, vcc, v5, v9, vcc
	v_ashrrev_i32_e32 v7, 31, v15
	v_add_co_u32_e32 v9, vcc, v14, v7
	v_xor_b32_e32 v9, v9, v7
	v_addc_co_u32_e32 v11, vcc, v15, v7, vcc
	v_mad_u64_u32 v[12:13], s[0:1], v9, v5, 0
	v_mul_hi_u32 v14, v9, v3
	v_xor_b32_e32 v11, v11, v7
	v_add_co_u32_e32 v16, vcc, v14, v12
	v_addc_co_u32_e32 v17, vcc, 0, v13, vcc
	v_mad_u64_u32 v[14:15], s[0:1], v11, v3, 0
	v_add_co_u32_e32 v3, vcc, v16, v14
	v_mad_u64_u32 v[12:13], s[0:1], v11, v5, 0
	v_addc_co_u32_e32 v3, vcc, v17, v15, vcc
	v_addc_co_u32_e32 v5, vcc, 0, v13, vcc
	v_add_co_u32_e32 v3, vcc, v3, v12
	v_addc_co_u32_e32 v5, vcc, 0, v5, vcc
	v_mul_lo_u32 v14, s7, v3
	v_mul_lo_u32 v15, s6, v5
	v_mad_u64_u32 v[12:13], s[0:1], s6, v3, 0
	v_add3_u32 v13, v13, v15, v14
	v_sub_u32_e32 v14, v11, v13
	v_mov_b32_e32 v15, s7
	v_sub_co_u32_e32 v9, vcc, v9, v12
	v_subb_co_u32_e64 v12, s[0:1], v14, v15, vcc
	v_subrev_co_u32_e64 v14, s[0:1], s6, v9
	v_subbrev_co_u32_e64 v12, s[0:1], 0, v12, s[0:1]
	v_cmp_le_u32_e64 s[0:1], s7, v12
	v_cndmask_b32_e64 v15, 0, -1, s[0:1]
	v_cmp_le_u32_e64 s[0:1], s6, v14
	v_cndmask_b32_e64 v14, 0, -1, s[0:1]
	v_cmp_eq_u32_e64 s[0:1], s7, v12
	v_cndmask_b32_e64 v12, v15, v14, s[0:1]
	v_add_co_u32_e64 v14, s[0:1], 2, v3
	v_subb_co_u32_e32 v11, vcc, v11, v13, vcc
	v_addc_co_u32_e64 v15, s[0:1], 0, v5, s[0:1]
	v_cmp_le_u32_e32 vcc, s7, v11
	v_add_co_u32_e64 v16, s[0:1], 1, v3
	v_cndmask_b32_e64 v13, 0, -1, vcc
	v_cmp_le_u32_e32 vcc, s6, v9
	v_addc_co_u32_e64 v17, s[0:1], 0, v5, s[0:1]
	v_cndmask_b32_e64 v9, 0, -1, vcc
	v_cmp_eq_u32_e32 vcc, s7, v11
	v_cmp_ne_u32_e64 s[0:1], 0, v12
	v_cndmask_b32_e32 v9, v13, v9, vcc
	v_cmp_ne_u32_e32 vcc, 0, v9
	v_cndmask_b32_e64 v9, v16, v14, s[0:1]
	v_cndmask_b32_e64 v12, v17, v15, s[0:1]
	v_cndmask_b32_e32 v3, v3, v9, vcc
	v_xor_b32_e32 v9, s5, v7
	v_xor_b32_e32 v7, s4, v7
	v_cndmask_b32_e32 v5, v5, v12, vcc
	v_xor_b32_e32 v3, v3, v7
	v_xor_b32_e32 v5, v5, v9
	v_sub_co_u32_e32 v12, vcc, v3, v7
	v_subb_co_u32_e32 v13, vcc, v5, v9, vcc
                                        ; implicit-def: $vgpr14_vgpr15
.LBB49_14:                              ;   in Loop: Header=BB49_3 Depth=1
	s_andn2_saveexec_b64 s[0:1], s[2:3]
	s_cbranch_execz .LBB49_16
; %bb.15:                               ;   in Loop: Header=BB49_3 Depth=1
	v_cvt_f32_u32_e32 v3, s14
	s_sub_i32 s2, 0, s14
	v_mov_b32_e32 v13, v2
	v_rcp_iflag_f32_e32 v3, v3
	v_mul_f32_e32 v3, 0x4f7ffffe, v3
	v_cvt_u32_f32_e32 v3, v3
	v_mul_lo_u32 v5, s2, v3
	v_mul_hi_u32 v5, v3, v5
	v_add_u32_e32 v3, v3, v5
	v_mul_hi_u32 v3, v14, v3
	v_mul_lo_u32 v5, v3, s14
	v_sub_u32_e32 v5, v14, v5
	v_add_u32_e32 v7, 1, v3
	v_subrev_u32_e32 v9, s14, v5
	v_cmp_le_u32_e32 vcc, s14, v5
	v_cndmask_b32_e32 v5, v5, v9, vcc
	v_cndmask_b32_e32 v3, v3, v7, vcc
	v_add_u32_e32 v7, 1, v3
	v_cmp_le_u32_e32 vcc, s14, v5
	v_cndmask_b32_e32 v12, v3, v7, vcc
.LBB49_16:                              ;   in Loop: Header=BB49_3 Depth=1
	s_or_b64 exec, exec, s[0:1]
	s_andn2_b64 vcc, exec, s[26:27]
	s_mov_b32 s53, 1
	s_mov_b32 s24, s45
	s_cbranch_vccz .LBB49_37
.LBB49_17:                              ;   in Loop: Header=BB49_3 Depth=1
	s_and_b64 vcc, exec, s[28:29]
	s_cbranch_vccz .LBB49_41
.LBB49_18:                              ;   Parent Loop BB49_3 Depth=1
                                        ; =>  This Inner Loop Header: Depth=2
	s_lshl_b64 s[2:3], s[24:25], 2
	s_add_u32 s4, s38, s2
	s_addc_u32 s5, s39, s3
	s_load_dword s53, s[4:5], 0x8
                                        ; implicit-def: $vgpr14_vgpr15
	s_waitcnt lgkmcnt(0)
	s_ashr_i32 s0, s53, 31
	v_or_b32_e32 v3, s0, v13
	v_cmp_ne_u64_e32 vcc, 0, v[2:3]
	s_and_saveexec_b64 s[6:7], vcc
	s_xor_b64 s[6:7], exec, s[6:7]
	s_cbranch_execz .LBB49_20
; %bb.19:                               ;   in Loop: Header=BB49_18 Depth=2
	s_add_u32 s36, s53, s0
	s_mov_b32 s34, s0
	s_mov_b32 s35, s0
	s_addc_u32 s37, s0, s0
	s_xor_b64 s[36:37], s[36:37], s[34:35]
	v_cvt_f32_u32_e32 v3, s36
	v_cvt_f32_u32_e32 v5, s37
	s_sub_u32 s0, 0, s36
	s_subb_u32 s1, 0, s37
	v_mac_f32_e32 v3, 0x4f800000, v5
	v_rcp_f32_e32 v3, v3
	v_mul_f32_e32 v3, 0x5f7ffffc, v3
	v_mul_f32_e32 v5, 0x2f800000, v3
	v_trunc_f32_e32 v5, v5
	v_mac_f32_e32 v3, 0xcf800000, v5
	v_cvt_u32_f32_e32 v5, v5
	v_cvt_u32_f32_e32 v3, v3
	v_mul_lo_u32 v7, s0, v5
	v_mul_hi_u32 v11, s0, v3
	v_mul_lo_u32 v9, s1, v3
	v_add_u32_e32 v7, v11, v7
	v_mul_lo_u32 v14, s0, v3
	v_add_u32_e32 v7, v7, v9
	v_mul_lo_u32 v11, v3, v7
	v_mul_hi_u32 v15, v3, v14
	v_mul_hi_u32 v9, v3, v7
	v_add_co_u32_e32 v11, vcc, v15, v11
	v_addc_co_u32_e32 v9, vcc, 0, v9, vcc
	v_mul_hi_u32 v16, v5, v14
	v_mul_lo_u32 v14, v5, v14
	v_add_co_u32_e32 v11, vcc, v11, v14
	v_mul_hi_u32 v15, v5, v7
	v_addc_co_u32_e32 v9, vcc, v9, v16, vcc
	v_addc_co_u32_e32 v11, vcc, 0, v15, vcc
	v_mul_lo_u32 v7, v5, v7
	v_add_co_u32_e32 v7, vcc, v9, v7
	v_addc_co_u32_e32 v9, vcc, 0, v11, vcc
	v_add_co_u32_e32 v3, vcc, v3, v7
	v_addc_co_u32_e32 v5, vcc, v5, v9, vcc
	v_mul_lo_u32 v7, s0, v5
	v_mul_hi_u32 v9, s0, v3
	v_add_u32_e32 v7, v9, v7
	v_mul_lo_u32 v9, s1, v3
	v_add_u32_e32 v7, v7, v9
	v_mul_lo_u32 v11, s0, v3
	v_mul_hi_u32 v14, v5, v11
	v_mul_lo_u32 v15, v5, v11
	v_mul_lo_u32 v17, v3, v7
	v_mul_hi_u32 v11, v3, v11
	v_mul_hi_u32 v16, v3, v7
	v_add_co_u32_e32 v11, vcc, v11, v17
	v_addc_co_u32_e32 v16, vcc, 0, v16, vcc
	v_add_co_u32_e32 v11, vcc, v11, v15
	v_mul_hi_u32 v9, v5, v7
	v_addc_co_u32_e32 v11, vcc, v16, v14, vcc
	v_addc_co_u32_e32 v9, vcc, 0, v9, vcc
	v_mul_lo_u32 v7, v5, v7
	v_add_co_u32_e32 v7, vcc, v11, v7
	v_addc_co_u32_e32 v9, vcc, 0, v9, vcc
	v_add_co_u32_e32 v3, vcc, v3, v7
	v_addc_co_u32_e32 v5, vcc, v5, v9, vcc
	v_ashrrev_i32_e32 v7, 31, v13
	v_add_co_u32_e32 v9, vcc, v12, v7
	v_xor_b32_e32 v9, v9, v7
	v_addc_co_u32_e32 v11, vcc, v13, v7, vcc
	v_mad_u64_u32 v[14:15], s[0:1], v9, v5, 0
	v_mul_hi_u32 v13, v9, v3
	v_xor_b32_e32 v11, v11, v7
	v_add_co_u32_e32 v13, vcc, v13, v14
	v_addc_co_u32_e32 v18, vcc, 0, v15, vcc
	v_mad_u64_u32 v[16:17], s[0:1], v11, v3, 0
	v_add_co_u32_e32 v3, vcc, v13, v16
	v_mad_u64_u32 v[14:15], s[0:1], v11, v5, 0
	v_addc_co_u32_e32 v3, vcc, v18, v17, vcc
	v_addc_co_u32_e32 v5, vcc, 0, v15, vcc
	v_add_co_u32_e32 v3, vcc, v3, v14
	v_addc_co_u32_e32 v5, vcc, 0, v5, vcc
	v_mul_lo_u32 v13, s37, v3
	v_mul_lo_u32 v16, s36, v5
	v_mad_u64_u32 v[14:15], s[0:1], s36, v3, 0
	v_add3_u32 v13, v15, v16, v13
	v_sub_u32_e32 v15, v11, v13
	v_mov_b32_e32 v16, s37
	v_sub_co_u32_e32 v9, vcc, v9, v14
	v_subb_co_u32_e64 v14, s[0:1], v15, v16, vcc
	v_subrev_co_u32_e64 v15, s[0:1], s36, v9
	v_subbrev_co_u32_e64 v14, s[0:1], 0, v14, s[0:1]
	v_cmp_le_u32_e64 s[0:1], s37, v14
	v_cndmask_b32_e64 v16, 0, -1, s[0:1]
	v_cmp_le_u32_e64 s[0:1], s36, v15
	v_cndmask_b32_e64 v15, 0, -1, s[0:1]
	v_cmp_eq_u32_e64 s[0:1], s37, v14
	v_cndmask_b32_e64 v14, v16, v15, s[0:1]
	v_add_co_u32_e64 v15, s[0:1], 2, v3
	v_subb_co_u32_e32 v11, vcc, v11, v13, vcc
	v_addc_co_u32_e64 v16, s[0:1], 0, v5, s[0:1]
	v_cmp_le_u32_e32 vcc, s37, v11
	v_add_co_u32_e64 v17, s[0:1], 1, v3
	v_cndmask_b32_e64 v13, 0, -1, vcc
	v_cmp_le_u32_e32 vcc, s36, v9
	v_addc_co_u32_e64 v18, s[0:1], 0, v5, s[0:1]
	v_cndmask_b32_e64 v9, 0, -1, vcc
	v_cmp_eq_u32_e32 vcc, s37, v11
	v_cmp_ne_u32_e64 s[0:1], 0, v14
	v_cndmask_b32_e32 v9, v13, v9, vcc
	v_cmp_ne_u32_e32 vcc, 0, v9
	v_cndmask_b32_e64 v9, v17, v15, s[0:1]
	v_cndmask_b32_e64 v14, v18, v16, s[0:1]
	v_cndmask_b32_e32 v3, v3, v9, vcc
	v_xor_b32_e32 v9, s35, v7
	v_xor_b32_e32 v7, s34, v7
	v_cndmask_b32_e32 v5, v5, v14, vcc
	v_xor_b32_e32 v3, v3, v7
	v_xor_b32_e32 v5, v5, v9
	v_sub_co_u32_e32 v14, vcc, v3, v7
	v_subb_co_u32_e32 v15, vcc, v5, v9, vcc
.LBB49_20:                              ;   in Loop: Header=BB49_18 Depth=2
	s_andn2_saveexec_b64 s[0:1], s[6:7]
	s_cbranch_execz .LBB49_22
; %bb.21:                               ;   in Loop: Header=BB49_18 Depth=2
	v_cvt_f32_u32_e32 v3, s53
	s_sub_i32 s6, 0, s53
	v_mov_b32_e32 v15, v2
	v_rcp_iflag_f32_e32 v3, v3
	v_mul_f32_e32 v3, 0x4f7ffffe, v3
	v_cvt_u32_f32_e32 v3, v3
	v_mul_lo_u32 v5, s6, v3
	v_mul_hi_u32 v5, v3, v5
	v_add_u32_e32 v3, v3, v5
	v_mul_hi_u32 v3, v12, v3
	v_mul_lo_u32 v5, v3, s53
	v_sub_u32_e32 v5, v12, v5
	v_add_u32_e32 v7, 1, v3
	v_subrev_u32_e32 v9, s53, v5
	v_cmp_le_u32_e32 vcc, s53, v5
	v_cndmask_b32_e32 v5, v5, v9, vcc
	v_cndmask_b32_e32 v3, v3, v7, vcc
	v_add_u32_e32 v7, 1, v3
	v_cmp_le_u32_e32 vcc, s53, v5
	v_cndmask_b32_e32 v14, v3, v7, vcc
.LBB49_22:                              ;   in Loop: Header=BB49_18 Depth=2
	s_or_b64 exec, exec, s[0:1]
	s_add_u32 s0, s43, s2
	s_addc_u32 s1, s44, s3
	s_add_i32 s2, s24, -1
	s_mov_b32 s3, s25
	s_lshl_b64 s[6:7], s[2:3], 2
	s_add_u32 s2, s38, s6
	s_addc_u32 s3, s39, s7
	s_load_dword s54, s[2:3], 0x8
	s_load_dword s55, s[4:5], 0x6c
	;; [unrolled: 1-line block ×3, first 2 shown]
                                        ; implicit-def: $vgpr16_vgpr17
	s_waitcnt lgkmcnt(0)
	s_ashr_i32 s0, s54, 31
	v_or_b32_e32 v3, s0, v15
	v_cmp_ne_u64_e32 vcc, 0, v[2:3]
	s_and_saveexec_b64 s[4:5], vcc
	s_xor_b64 s[4:5], exec, s[4:5]
	s_cbranch_execz .LBB49_24
; %bb.23:                               ;   in Loop: Header=BB49_18 Depth=2
	s_add_u32 s36, s54, s0
	s_mov_b32 s34, s0
	s_mov_b32 s35, s0
	s_addc_u32 s37, s0, s0
	s_xor_b64 s[36:37], s[36:37], s[34:35]
	v_cvt_f32_u32_e32 v3, s36
	v_cvt_f32_u32_e32 v5, s37
	s_sub_u32 s0, 0, s36
	s_subb_u32 s1, 0, s37
	v_mac_f32_e32 v3, 0x4f800000, v5
	v_rcp_f32_e32 v3, v3
	v_mul_f32_e32 v3, 0x5f7ffffc, v3
	v_mul_f32_e32 v5, 0x2f800000, v3
	v_trunc_f32_e32 v5, v5
	v_mac_f32_e32 v3, 0xcf800000, v5
	v_cvt_u32_f32_e32 v5, v5
	v_cvt_u32_f32_e32 v3, v3
	v_mul_lo_u32 v7, s0, v5
	v_mul_hi_u32 v11, s0, v3
	v_mul_lo_u32 v9, s1, v3
	v_add_u32_e32 v7, v11, v7
	v_mul_lo_u32 v13, s0, v3
	v_add_u32_e32 v7, v7, v9
	v_mul_lo_u32 v11, v3, v7
	v_mul_hi_u32 v16, v3, v13
	v_mul_hi_u32 v9, v3, v7
	v_add_co_u32_e32 v11, vcc, v16, v11
	v_addc_co_u32_e32 v9, vcc, 0, v9, vcc
	v_mul_hi_u32 v17, v5, v13
	v_mul_lo_u32 v13, v5, v13
	v_add_co_u32_e32 v11, vcc, v11, v13
	v_mul_hi_u32 v16, v5, v7
	v_addc_co_u32_e32 v9, vcc, v9, v17, vcc
	v_addc_co_u32_e32 v11, vcc, 0, v16, vcc
	v_mul_lo_u32 v7, v5, v7
	v_add_co_u32_e32 v7, vcc, v9, v7
	v_addc_co_u32_e32 v9, vcc, 0, v11, vcc
	v_add_co_u32_e32 v3, vcc, v3, v7
	v_addc_co_u32_e32 v5, vcc, v5, v9, vcc
	v_mul_lo_u32 v7, s0, v5
	v_mul_hi_u32 v9, s0, v3
	v_add_u32_e32 v7, v9, v7
	v_mul_lo_u32 v9, s1, v3
	v_add_u32_e32 v7, v7, v9
	v_mul_lo_u32 v11, s0, v3
	v_mul_hi_u32 v13, v5, v11
	v_mul_lo_u32 v16, v5, v11
	v_mul_lo_u32 v18, v3, v7
	v_mul_hi_u32 v11, v3, v11
	v_mul_hi_u32 v17, v3, v7
	v_add_co_u32_e32 v11, vcc, v11, v18
	v_addc_co_u32_e32 v17, vcc, 0, v17, vcc
	v_add_co_u32_e32 v11, vcc, v11, v16
	v_mul_hi_u32 v9, v5, v7
	v_addc_co_u32_e32 v11, vcc, v17, v13, vcc
	v_addc_co_u32_e32 v9, vcc, 0, v9, vcc
	v_mul_lo_u32 v7, v5, v7
	v_add_co_u32_e32 v7, vcc, v11, v7
	v_addc_co_u32_e32 v9, vcc, 0, v9, vcc
	v_add_co_u32_e32 v3, vcc, v3, v7
	v_addc_co_u32_e32 v5, vcc, v5, v9, vcc
	v_ashrrev_i32_e32 v7, 31, v15
	v_add_co_u32_e32 v9, vcc, v14, v7
	v_xor_b32_e32 v9, v9, v7
	v_addc_co_u32_e32 v11, vcc, v15, v7, vcc
	v_mad_u64_u32 v[16:17], s[0:1], v9, v5, 0
	v_mul_hi_u32 v13, v9, v3
	v_xor_b32_e32 v11, v11, v7
	v_add_co_u32_e32 v13, vcc, v13, v16
	v_addc_co_u32_e32 v15, vcc, 0, v17, vcc
	v_mad_u64_u32 v[18:19], s[0:1], v11, v3, 0
	v_add_co_u32_e32 v3, vcc, v13, v18
	v_mad_u64_u32 v[16:17], s[0:1], v11, v5, 0
	v_addc_co_u32_e32 v3, vcc, v15, v19, vcc
	v_addc_co_u32_e32 v5, vcc, 0, v17, vcc
	v_add_co_u32_e32 v3, vcc, v3, v16
	v_addc_co_u32_e32 v5, vcc, 0, v5, vcc
	v_mul_lo_u32 v13, s37, v3
	v_mul_lo_u32 v15, s36, v5
	v_mad_u64_u32 v[16:17], s[0:1], s36, v3, 0
	v_add3_u32 v13, v17, v15, v13
	v_sub_u32_e32 v15, v11, v13
	v_mov_b32_e32 v17, s37
	v_sub_co_u32_e32 v9, vcc, v9, v16
	v_subb_co_u32_e64 v15, s[0:1], v15, v17, vcc
	v_subrev_co_u32_e64 v16, s[0:1], s36, v9
	v_subbrev_co_u32_e64 v15, s[0:1], 0, v15, s[0:1]
	v_cmp_le_u32_e64 s[0:1], s37, v15
	v_cndmask_b32_e64 v17, 0, -1, s[0:1]
	v_cmp_le_u32_e64 s[0:1], s36, v16
	v_cndmask_b32_e64 v16, 0, -1, s[0:1]
	v_cmp_eq_u32_e64 s[0:1], s37, v15
	v_cndmask_b32_e64 v15, v17, v16, s[0:1]
	v_add_co_u32_e64 v16, s[0:1], 2, v3
	v_subb_co_u32_e32 v11, vcc, v11, v13, vcc
	v_addc_co_u32_e64 v17, s[0:1], 0, v5, s[0:1]
	v_cmp_le_u32_e32 vcc, s37, v11
	v_add_co_u32_e64 v18, s[0:1], 1, v3
	v_cndmask_b32_e64 v13, 0, -1, vcc
	v_cmp_le_u32_e32 vcc, s36, v9
	v_addc_co_u32_e64 v19, s[0:1], 0, v5, s[0:1]
	v_cndmask_b32_e64 v9, 0, -1, vcc
	v_cmp_eq_u32_e32 vcc, s37, v11
	v_cmp_ne_u32_e64 s[0:1], 0, v15
	v_cndmask_b32_e32 v9, v13, v9, vcc
	v_cmp_ne_u32_e32 vcc, 0, v9
	v_cndmask_b32_e64 v9, v18, v16, s[0:1]
	v_cndmask_b32_e64 v15, v19, v17, s[0:1]
	v_cndmask_b32_e32 v3, v3, v9, vcc
	v_xor_b32_e32 v9, s35, v7
	v_xor_b32_e32 v7, s34, v7
	v_cndmask_b32_e32 v5, v5, v15, vcc
	v_xor_b32_e32 v3, v3, v7
	v_xor_b32_e32 v5, v5, v9
	v_sub_co_u32_e32 v16, vcc, v3, v7
	v_subb_co_u32_e32 v17, vcc, v5, v9, vcc
.LBB49_24:                              ;   in Loop: Header=BB49_18 Depth=2
	s_andn2_saveexec_b64 s[0:1], s[4:5]
	s_cbranch_execz .LBB49_26
; %bb.25:                               ;   in Loop: Header=BB49_18 Depth=2
	v_cvt_f32_u32_e32 v3, s54
	s_sub_i32 s4, 0, s54
	v_mov_b32_e32 v17, v2
	v_rcp_iflag_f32_e32 v3, v3
	v_mul_f32_e32 v3, 0x4f7ffffe, v3
	v_cvt_u32_f32_e32 v3, v3
	v_mul_lo_u32 v5, s4, v3
	v_mul_hi_u32 v5, v3, v5
	v_add_u32_e32 v3, v3, v5
	v_mul_hi_u32 v3, v14, v3
	v_mul_lo_u32 v5, v3, s54
	v_sub_u32_e32 v5, v14, v5
	v_add_u32_e32 v7, 1, v3
	v_subrev_u32_e32 v9, s54, v5
	v_cmp_le_u32_e32 vcc, s54, v5
	v_cndmask_b32_e32 v5, v5, v9, vcc
	v_cndmask_b32_e32 v3, v3, v7, vcc
	v_add_u32_e32 v7, 1, v3
	v_cmp_le_u32_e32 vcc, s54, v5
	v_cndmask_b32_e32 v16, v3, v7, vcc
.LBB49_26:                              ;   in Loop: Header=BB49_18 Depth=2
	s_or_b64 exec, exec, s[0:1]
	s_add_u32 s0, s43, s6
	s_addc_u32 s1, s44, s7
	s_add_i32 s4, s24, -2
	s_mov_b32 s5, s25
	s_lshl_b64 s[4:5], s[4:5], 2
	s_add_u32 s6, s38, s4
	s_addc_u32 s7, s39, s5
	s_load_dword s57, s[6:7], 0x8
	s_load_dword s59, s[2:3], 0x6c
	;; [unrolled: 1-line block ×3, first 2 shown]
                                        ; implicit-def: $vgpr18_vgpr19
	s_waitcnt lgkmcnt(0)
	s_ashr_i32 s0, s57, 31
	v_or_b32_e32 v3, s0, v17
	v_cmp_ne_u64_e32 vcc, 0, v[2:3]
	s_and_saveexec_b64 s[2:3], vcc
	s_xor_b64 s[2:3], exec, s[2:3]
	s_cbranch_execz .LBB49_28
; %bb.27:                               ;   in Loop: Header=BB49_18 Depth=2
	s_add_u32 s36, s57, s0
	s_mov_b32 s34, s0
	s_mov_b32 s35, s0
	s_addc_u32 s37, s0, s0
	s_xor_b64 s[36:37], s[36:37], s[34:35]
	v_cvt_f32_u32_e32 v3, s36
	v_cvt_f32_u32_e32 v5, s37
	s_sub_u32 s0, 0, s36
	s_subb_u32 s1, 0, s37
	v_mac_f32_e32 v3, 0x4f800000, v5
	v_rcp_f32_e32 v3, v3
	v_mul_f32_e32 v3, 0x5f7ffffc, v3
	v_mul_f32_e32 v5, 0x2f800000, v3
	v_trunc_f32_e32 v5, v5
	v_mac_f32_e32 v3, 0xcf800000, v5
	v_cvt_u32_f32_e32 v5, v5
	v_cvt_u32_f32_e32 v3, v3
	v_mul_lo_u32 v7, s0, v5
	v_mul_hi_u32 v11, s0, v3
	v_mul_lo_u32 v9, s1, v3
	v_add_u32_e32 v7, v11, v7
	v_mul_lo_u32 v13, s0, v3
	v_add_u32_e32 v7, v7, v9
	v_mul_lo_u32 v11, v3, v7
	v_mul_hi_u32 v15, v3, v13
	v_mul_hi_u32 v9, v3, v7
	v_add_co_u32_e32 v11, vcc, v15, v11
	v_addc_co_u32_e32 v9, vcc, 0, v9, vcc
	v_mul_hi_u32 v18, v5, v13
	v_mul_lo_u32 v13, v5, v13
	v_add_co_u32_e32 v11, vcc, v11, v13
	v_mul_hi_u32 v15, v5, v7
	v_addc_co_u32_e32 v9, vcc, v9, v18, vcc
	v_addc_co_u32_e32 v11, vcc, 0, v15, vcc
	v_mul_lo_u32 v7, v5, v7
	v_add_co_u32_e32 v7, vcc, v9, v7
	v_addc_co_u32_e32 v9, vcc, 0, v11, vcc
	v_add_co_u32_e32 v3, vcc, v3, v7
	v_addc_co_u32_e32 v5, vcc, v5, v9, vcc
	v_mul_lo_u32 v7, s0, v5
	v_mul_hi_u32 v9, s0, v3
	v_add_u32_e32 v7, v9, v7
	v_mul_lo_u32 v9, s1, v3
	v_add_u32_e32 v7, v7, v9
	v_mul_lo_u32 v11, s0, v3
	v_mul_hi_u32 v13, v5, v11
	v_mul_lo_u32 v15, v5, v11
	v_mul_lo_u32 v19, v3, v7
	v_mul_hi_u32 v11, v3, v11
	v_mul_hi_u32 v18, v3, v7
	v_add_co_u32_e32 v11, vcc, v11, v19
	v_addc_co_u32_e32 v18, vcc, 0, v18, vcc
	v_add_co_u32_e32 v11, vcc, v11, v15
	v_mul_hi_u32 v9, v5, v7
	v_addc_co_u32_e32 v11, vcc, v18, v13, vcc
	v_addc_co_u32_e32 v9, vcc, 0, v9, vcc
	v_mul_lo_u32 v7, v5, v7
	v_add_co_u32_e32 v7, vcc, v11, v7
	v_addc_co_u32_e32 v9, vcc, 0, v9, vcc
	v_add_co_u32_e32 v3, vcc, v3, v7
	v_addc_co_u32_e32 v5, vcc, v5, v9, vcc
	v_ashrrev_i32_e32 v7, 31, v17
	v_add_co_u32_e32 v9, vcc, v16, v7
	v_xor_b32_e32 v9, v9, v7
	v_addc_co_u32_e32 v11, vcc, v17, v7, vcc
	v_mad_u64_u32 v[18:19], s[0:1], v9, v5, 0
	v_mul_hi_u32 v13, v9, v3
	v_xor_b32_e32 v11, v11, v7
	v_add_co_u32_e32 v13, vcc, v13, v18
	v_addc_co_u32_e32 v15, vcc, 0, v19, vcc
	v_mad_u64_u32 v[20:21], s[0:1], v11, v3, 0
	v_add_co_u32_e32 v3, vcc, v13, v20
	v_mad_u64_u32 v[18:19], s[0:1], v11, v5, 0
	v_addc_co_u32_e32 v3, vcc, v15, v21, vcc
	v_addc_co_u32_e32 v5, vcc, 0, v19, vcc
	v_add_co_u32_e32 v3, vcc, v3, v18
	v_addc_co_u32_e32 v5, vcc, 0, v5, vcc
	v_mul_lo_u32 v13, s37, v3
	v_mul_lo_u32 v15, s36, v5
	v_mad_u64_u32 v[18:19], s[0:1], s36, v3, 0
	v_add3_u32 v13, v19, v15, v13
	v_sub_u32_e32 v15, v11, v13
	v_mov_b32_e32 v17, s37
	v_sub_co_u32_e32 v9, vcc, v9, v18
	v_subb_co_u32_e64 v15, s[0:1], v15, v17, vcc
	v_subrev_co_u32_e64 v17, s[0:1], s36, v9
	v_subbrev_co_u32_e64 v15, s[0:1], 0, v15, s[0:1]
	v_cmp_le_u32_e64 s[0:1], s37, v15
	v_cndmask_b32_e64 v18, 0, -1, s[0:1]
	v_cmp_le_u32_e64 s[0:1], s36, v17
	v_cndmask_b32_e64 v17, 0, -1, s[0:1]
	v_cmp_eq_u32_e64 s[0:1], s37, v15
	v_cndmask_b32_e64 v15, v18, v17, s[0:1]
	v_add_co_u32_e64 v17, s[0:1], 2, v3
	v_subb_co_u32_e32 v11, vcc, v11, v13, vcc
	v_addc_co_u32_e64 v18, s[0:1], 0, v5, s[0:1]
	v_cmp_le_u32_e32 vcc, s37, v11
	v_add_co_u32_e64 v19, s[0:1], 1, v3
	v_cndmask_b32_e64 v13, 0, -1, vcc
	v_cmp_le_u32_e32 vcc, s36, v9
	v_addc_co_u32_e64 v20, s[0:1], 0, v5, s[0:1]
	v_cndmask_b32_e64 v9, 0, -1, vcc
	v_cmp_eq_u32_e32 vcc, s37, v11
	v_cmp_ne_u32_e64 s[0:1], 0, v15
	v_cndmask_b32_e32 v9, v13, v9, vcc
	v_cmp_ne_u32_e32 vcc, 0, v9
	v_cndmask_b32_e64 v9, v19, v17, s[0:1]
	v_cndmask_b32_e64 v15, v20, v18, s[0:1]
	v_cndmask_b32_e32 v3, v3, v9, vcc
	v_xor_b32_e32 v9, s35, v7
	v_xor_b32_e32 v7, s34, v7
	v_cndmask_b32_e32 v5, v5, v15, vcc
	v_xor_b32_e32 v3, v3, v7
	v_xor_b32_e32 v5, v5, v9
	v_sub_co_u32_e32 v18, vcc, v3, v7
	v_subb_co_u32_e32 v19, vcc, v5, v9, vcc
.LBB49_28:                              ;   in Loop: Header=BB49_18 Depth=2
	s_andn2_saveexec_b64 s[0:1], s[2:3]
	s_cbranch_execz .LBB49_30
; %bb.29:                               ;   in Loop: Header=BB49_18 Depth=2
	v_cvt_f32_u32_e32 v3, s57
	s_sub_i32 s2, 0, s57
	v_mov_b32_e32 v19, v2
	v_rcp_iflag_f32_e32 v3, v3
	v_mul_f32_e32 v3, 0x4f7ffffe, v3
	v_cvt_u32_f32_e32 v3, v3
	v_mul_lo_u32 v5, s2, v3
	v_mul_hi_u32 v5, v3, v5
	v_add_u32_e32 v3, v3, v5
	v_mul_hi_u32 v3, v16, v3
	v_mul_lo_u32 v5, v3, s57
	v_sub_u32_e32 v5, v16, v5
	v_add_u32_e32 v7, 1, v3
	v_subrev_u32_e32 v9, s57, v5
	v_cmp_le_u32_e32 vcc, s57, v5
	v_cndmask_b32_e32 v5, v5, v9, vcc
	v_cndmask_b32_e32 v3, v3, v7, vcc
	v_add_u32_e32 v7, 1, v3
	v_cmp_le_u32_e32 vcc, s57, v5
	v_cndmask_b32_e32 v18, v3, v7, vcc
.LBB49_30:                              ;   in Loop: Header=BB49_18 Depth=2
	s_or_b64 exec, exec, s[0:1]
	s_add_u32 s0, s43, s4
	s_addc_u32 s1, s44, s5
	s_add_i32 s2, s24, -3
	s_mov_b32 s3, s25
	s_lshl_b64 s[2:3], s[2:3], 2
	s_add_u32 s4, s38, s2
	s_addc_u32 s5, s39, s3
	s_load_dword s60, s[4:5], 0x8
	s_load_dword s61, s[6:7], 0x6c
	;; [unrolled: 1-line block ×3, first 2 shown]
                                        ; implicit-def: $vgpr20_vgpr21
	s_waitcnt lgkmcnt(0)
	s_ashr_i32 s0, s60, 31
	v_or_b32_e32 v3, s0, v19
	v_cmp_ne_u64_e32 vcc, 0, v[2:3]
	s_and_saveexec_b64 s[6:7], vcc
	s_xor_b64 s[6:7], exec, s[6:7]
	s_cbranch_execz .LBB49_32
; %bb.31:                               ;   in Loop: Header=BB49_18 Depth=2
	s_add_u32 s36, s60, s0
	s_mov_b32 s34, s0
	s_mov_b32 s35, s0
	s_addc_u32 s37, s0, s0
	s_xor_b64 s[36:37], s[36:37], s[34:35]
	v_cvt_f32_u32_e32 v3, s36
	v_cvt_f32_u32_e32 v5, s37
	s_sub_u32 s0, 0, s36
	s_subb_u32 s1, 0, s37
	v_mac_f32_e32 v3, 0x4f800000, v5
	v_rcp_f32_e32 v3, v3
	v_mul_f32_e32 v3, 0x5f7ffffc, v3
	v_mul_f32_e32 v5, 0x2f800000, v3
	v_trunc_f32_e32 v5, v5
	v_mac_f32_e32 v3, 0xcf800000, v5
	v_cvt_u32_f32_e32 v5, v5
	v_cvt_u32_f32_e32 v3, v3
	v_mul_lo_u32 v7, s0, v5
	v_mul_hi_u32 v11, s0, v3
	v_mul_lo_u32 v9, s1, v3
	v_add_u32_e32 v7, v11, v7
	v_mul_lo_u32 v13, s0, v3
	v_add_u32_e32 v7, v7, v9
	v_mul_lo_u32 v11, v3, v7
	v_mul_hi_u32 v15, v3, v13
	v_mul_hi_u32 v9, v3, v7
	v_add_co_u32_e32 v11, vcc, v15, v11
	v_addc_co_u32_e32 v9, vcc, 0, v9, vcc
	v_mul_hi_u32 v17, v5, v13
	v_mul_lo_u32 v13, v5, v13
	v_add_co_u32_e32 v11, vcc, v11, v13
	v_mul_hi_u32 v15, v5, v7
	v_addc_co_u32_e32 v9, vcc, v9, v17, vcc
	v_addc_co_u32_e32 v11, vcc, 0, v15, vcc
	v_mul_lo_u32 v7, v5, v7
	v_add_co_u32_e32 v7, vcc, v9, v7
	v_addc_co_u32_e32 v9, vcc, 0, v11, vcc
	v_add_co_u32_e32 v3, vcc, v3, v7
	v_addc_co_u32_e32 v5, vcc, v5, v9, vcc
	v_mul_lo_u32 v7, s0, v5
	v_mul_hi_u32 v9, s0, v3
	v_add_u32_e32 v7, v9, v7
	v_mul_lo_u32 v9, s1, v3
	v_add_u32_e32 v7, v7, v9
	v_mul_lo_u32 v11, s0, v3
	v_mul_hi_u32 v13, v5, v11
	v_mul_lo_u32 v15, v5, v11
	v_mul_lo_u32 v20, v3, v7
	v_mul_hi_u32 v11, v3, v11
	v_mul_hi_u32 v17, v3, v7
	v_add_co_u32_e32 v11, vcc, v11, v20
	v_addc_co_u32_e32 v17, vcc, 0, v17, vcc
	v_add_co_u32_e32 v11, vcc, v11, v15
	v_mul_hi_u32 v9, v5, v7
	v_addc_co_u32_e32 v11, vcc, v17, v13, vcc
	v_addc_co_u32_e32 v9, vcc, 0, v9, vcc
	v_mul_lo_u32 v7, v5, v7
	v_add_co_u32_e32 v7, vcc, v11, v7
	v_addc_co_u32_e32 v9, vcc, 0, v9, vcc
	v_add_co_u32_e32 v3, vcc, v3, v7
	v_addc_co_u32_e32 v5, vcc, v5, v9, vcc
	v_ashrrev_i32_e32 v7, 31, v19
	v_add_co_u32_e32 v9, vcc, v18, v7
	v_xor_b32_e32 v9, v9, v7
	v_addc_co_u32_e32 v11, vcc, v19, v7, vcc
	v_mad_u64_u32 v[20:21], s[0:1], v9, v5, 0
	v_mul_hi_u32 v13, v9, v3
	v_xor_b32_e32 v11, v11, v7
	v_add_co_u32_e32 v13, vcc, v13, v20
	v_addc_co_u32_e32 v15, vcc, 0, v21, vcc
	v_mad_u64_u32 v[24:25], s[0:1], v11, v3, 0
	v_add_co_u32_e32 v3, vcc, v13, v24
	v_mad_u64_u32 v[20:21], s[0:1], v11, v5, 0
	v_addc_co_u32_e32 v3, vcc, v15, v25, vcc
	v_addc_co_u32_e32 v5, vcc, 0, v21, vcc
	v_add_co_u32_e32 v3, vcc, v3, v20
	v_addc_co_u32_e32 v5, vcc, 0, v5, vcc
	v_mul_lo_u32 v13, s37, v3
	v_mul_lo_u32 v15, s36, v5
	v_mad_u64_u32 v[20:21], s[0:1], s36, v3, 0
	v_add3_u32 v13, v21, v15, v13
	v_sub_u32_e32 v15, v11, v13
	v_mov_b32_e32 v17, s37
	v_sub_co_u32_e32 v9, vcc, v9, v20
	v_subb_co_u32_e64 v15, s[0:1], v15, v17, vcc
	v_subrev_co_u32_e64 v17, s[0:1], s36, v9
	v_subbrev_co_u32_e64 v15, s[0:1], 0, v15, s[0:1]
	v_cmp_le_u32_e64 s[0:1], s37, v15
	v_cndmask_b32_e64 v19, 0, -1, s[0:1]
	v_cmp_le_u32_e64 s[0:1], s36, v17
	v_cndmask_b32_e64 v17, 0, -1, s[0:1]
	v_cmp_eq_u32_e64 s[0:1], s37, v15
	v_cndmask_b32_e64 v15, v19, v17, s[0:1]
	v_add_co_u32_e64 v17, s[0:1], 2, v3
	v_subb_co_u32_e32 v11, vcc, v11, v13, vcc
	v_addc_co_u32_e64 v19, s[0:1], 0, v5, s[0:1]
	v_cmp_le_u32_e32 vcc, s37, v11
	v_add_co_u32_e64 v20, s[0:1], 1, v3
	v_cndmask_b32_e64 v13, 0, -1, vcc
	v_cmp_le_u32_e32 vcc, s36, v9
	v_addc_co_u32_e64 v21, s[0:1], 0, v5, s[0:1]
	v_cndmask_b32_e64 v9, 0, -1, vcc
	v_cmp_eq_u32_e32 vcc, s37, v11
	v_cmp_ne_u32_e64 s[0:1], 0, v15
	v_cndmask_b32_e32 v9, v13, v9, vcc
	v_cmp_ne_u32_e32 vcc, 0, v9
	v_cndmask_b32_e64 v9, v20, v17, s[0:1]
	v_cndmask_b32_e64 v15, v21, v19, s[0:1]
	v_cndmask_b32_e32 v3, v3, v9, vcc
	v_xor_b32_e32 v9, s35, v7
	v_xor_b32_e32 v7, s34, v7
	v_cndmask_b32_e32 v5, v5, v15, vcc
	v_xor_b32_e32 v3, v3, v7
	v_xor_b32_e32 v5, v5, v9
	v_sub_co_u32_e32 v20, vcc, v3, v7
	v_subb_co_u32_e32 v21, vcc, v5, v9, vcc
.LBB49_32:                              ;   in Loop: Header=BB49_18 Depth=2
	s_andn2_saveexec_b64 s[0:1], s[6:7]
	s_cbranch_execz .LBB49_34
; %bb.33:                               ;   in Loop: Header=BB49_18 Depth=2
	v_cvt_f32_u32_e32 v3, s60
	s_sub_i32 s6, 0, s60
	v_mov_b32_e32 v21, v2
	v_rcp_iflag_f32_e32 v3, v3
	v_mul_f32_e32 v3, 0x4f7ffffe, v3
	v_cvt_u32_f32_e32 v3, v3
	v_mul_lo_u32 v5, s6, v3
	v_mul_hi_u32 v5, v3, v5
	v_add_u32_e32 v3, v3, v5
	v_mul_hi_u32 v3, v18, v3
	v_mul_lo_u32 v5, v3, s60
	v_sub_u32_e32 v5, v18, v5
	v_add_u32_e32 v7, 1, v3
	v_subrev_u32_e32 v9, s60, v5
	v_cmp_le_u32_e32 vcc, s60, v5
	v_cndmask_b32_e32 v5, v5, v9, vcc
	v_cndmask_b32_e32 v3, v3, v7, vcc
	v_add_u32_e32 v7, 1, v3
	v_cmp_le_u32_e32 vcc, s60, v5
	v_cndmask_b32_e32 v20, v3, v7, vcc
.LBB49_34:                              ;   in Loop: Header=BB49_18 Depth=2
	s_or_b64 exec, exec, s[0:1]
	s_add_u32 s0, s43, s2
	v_mul_lo_u32 v3, v14, s53
	v_mul_lo_u32 v7, v16, s54
	s_load_dword s2, s[4:5], 0x6c
	s_addc_u32 s1, s44, s3
	s_load_dword s0, s[0:1], 0x0
	v_sub_u32_e32 v3, v12, v3
	v_sub_u32_e32 v7, v14, v7
	v_mul_lo_u32 v5, s55, v3
	v_mul_lo_u32 v3, s56, v3
	;; [unrolled: 1-line block ×4, first 2 shown]
	v_add3_u32 v5, v5, v10, v9
	v_add3_u32 v3, v3, v6, v7
	v_mul_lo_u32 v6, v18, s57
	v_mul_lo_u32 v9, v20, s60
	v_sub_u32_e32 v6, v16, v6
	v_sub_u32_e32 v9, v18, v9
	v_mul_lo_u32 v7, s61, v6
	s_waitcnt lgkmcnt(0)
	v_mul_lo_u32 v10, s2, v9
	v_mul_lo_u32 v6, s62, v6
	v_add3_u32 v10, v7, v5, v10
	v_mul_lo_u32 v5, s0, v9
	s_add_i32 s24, s24, -4
	s_cmp_eq_u32 s24, -1
	v_add3_u32 v6, v6, v3, v5
	s_cbranch_scc1 .LBB49_41
; %bb.35:                               ;   in Loop: Header=BB49_18 Depth=2
	v_pk_mov_b32 v[12:13], v[20:21], v[20:21] op_sel:[0,1]
	s_branch .LBB49_18
.LBB49_36:                              ;   in Loop: Header=BB49_37 Depth=2
	s_or_b64 exec, exec, s[0:1]
	s_load_dword s4, s[4:5], 0x6c
	s_add_u32 s0, s43, s2
	s_addc_u32 s1, s44, s3
	s_load_dword s2, s[0:1], 0x0
	v_mul_lo_u32 v3, v12, s54
	v_sub_u32_e32 v3, v14, v3
	s_waitcnt lgkmcnt(0)
	v_mad_u64_u32 v[10:11], s[0:1], s4, v3, v[10:11]
	s_add_i32 s24, s24, -1
	s_xor_b32 s0, s48, s53
	s_add_i32 s53, s53, 1
	s_cmp_lg_u32 s0, 2
	v_mad_u64_u32 v[6:7], s[0:1], s2, v3, v[6:7]
	s_cbranch_scc0 .LBB49_17
.LBB49_37:                              ;   Parent Loop BB49_3 Depth=1
                                        ; =>  This Inner Loop Header: Depth=2
	s_lshl_b64 s[2:3], s[24:25], 2
	s_add_u32 s4, s38, s2
	s_addc_u32 s5, s39, s3
	s_load_dword s54, s[4:5], 0x8
	v_pk_mov_b32 v[14:15], v[12:13], v[12:13] op_sel:[0,1]
                                        ; implicit-def: $vgpr12_vgpr13
	s_waitcnt lgkmcnt(0)
	s_ashr_i32 s0, s54, 31
	v_or_b32_e32 v3, s0, v15
	v_cmp_ne_u64_e32 vcc, 0, v[2:3]
	s_and_saveexec_b64 s[6:7], vcc
	s_xor_b64 s[6:7], exec, s[6:7]
	s_cbranch_execz .LBB49_39
; %bb.38:                               ;   in Loop: Header=BB49_37 Depth=2
	s_add_u32 s36, s54, s0
	s_mov_b32 s34, s0
	s_mov_b32 s35, s0
	s_addc_u32 s37, s0, s0
	s_xor_b64 s[36:37], s[36:37], s[34:35]
	v_cvt_f32_u32_e32 v3, s36
	v_cvt_f32_u32_e32 v5, s37
	s_sub_u32 s0, 0, s36
	s_subb_u32 s1, 0, s37
	v_mac_f32_e32 v3, 0x4f800000, v5
	v_rcp_f32_e32 v3, v3
	v_mul_f32_e32 v3, 0x5f7ffffc, v3
	v_mul_f32_e32 v5, 0x2f800000, v3
	v_trunc_f32_e32 v5, v5
	v_mac_f32_e32 v3, 0xcf800000, v5
	v_cvt_u32_f32_e32 v5, v5
	v_cvt_u32_f32_e32 v3, v3
	v_mul_lo_u32 v7, s0, v5
	v_mul_hi_u32 v11, s0, v3
	v_mul_lo_u32 v9, s1, v3
	v_add_u32_e32 v7, v11, v7
	v_mul_lo_u32 v12, s0, v3
	v_add_u32_e32 v7, v7, v9
	v_mul_lo_u32 v11, v3, v7
	v_mul_hi_u32 v13, v3, v12
	v_mul_hi_u32 v9, v3, v7
	v_add_co_u32_e32 v11, vcc, v13, v11
	v_addc_co_u32_e32 v9, vcc, 0, v9, vcc
	v_mul_hi_u32 v16, v5, v12
	v_mul_lo_u32 v12, v5, v12
	v_add_co_u32_e32 v11, vcc, v11, v12
	v_mul_hi_u32 v13, v5, v7
	v_addc_co_u32_e32 v9, vcc, v9, v16, vcc
	v_addc_co_u32_e32 v11, vcc, 0, v13, vcc
	v_mul_lo_u32 v7, v5, v7
	v_add_co_u32_e32 v7, vcc, v9, v7
	v_addc_co_u32_e32 v9, vcc, 0, v11, vcc
	v_add_co_u32_e32 v3, vcc, v3, v7
	v_addc_co_u32_e32 v5, vcc, v5, v9, vcc
	v_mul_lo_u32 v7, s0, v5
	v_mul_hi_u32 v9, s0, v3
	v_add_u32_e32 v7, v9, v7
	v_mul_lo_u32 v9, s1, v3
	v_add_u32_e32 v7, v7, v9
	v_mul_lo_u32 v11, s0, v3
	v_mul_hi_u32 v12, v5, v11
	v_mul_lo_u32 v13, v5, v11
	v_mul_lo_u32 v17, v3, v7
	v_mul_hi_u32 v11, v3, v11
	v_mul_hi_u32 v16, v3, v7
	v_add_co_u32_e32 v11, vcc, v11, v17
	v_addc_co_u32_e32 v16, vcc, 0, v16, vcc
	v_add_co_u32_e32 v11, vcc, v11, v13
	v_mul_hi_u32 v9, v5, v7
	v_addc_co_u32_e32 v11, vcc, v16, v12, vcc
	v_addc_co_u32_e32 v9, vcc, 0, v9, vcc
	v_mul_lo_u32 v7, v5, v7
	v_add_co_u32_e32 v7, vcc, v11, v7
	v_addc_co_u32_e32 v9, vcc, 0, v9, vcc
	v_add_co_u32_e32 v3, vcc, v3, v7
	v_addc_co_u32_e32 v5, vcc, v5, v9, vcc
	v_ashrrev_i32_e32 v7, 31, v15
	v_add_co_u32_e32 v9, vcc, v14, v7
	v_xor_b32_e32 v9, v9, v7
	v_addc_co_u32_e32 v11, vcc, v15, v7, vcc
	v_mad_u64_u32 v[12:13], s[0:1], v9, v5, 0
	v_mul_hi_u32 v15, v9, v3
	v_xor_b32_e32 v11, v11, v7
	v_add_co_u32_e32 v15, vcc, v15, v12
	v_addc_co_u32_e32 v18, vcc, 0, v13, vcc
	v_mad_u64_u32 v[16:17], s[0:1], v11, v3, 0
	v_add_co_u32_e32 v3, vcc, v15, v16
	v_mad_u64_u32 v[12:13], s[0:1], v11, v5, 0
	v_addc_co_u32_e32 v3, vcc, v18, v17, vcc
	v_addc_co_u32_e32 v5, vcc, 0, v13, vcc
	v_add_co_u32_e32 v3, vcc, v3, v12
	v_addc_co_u32_e32 v5, vcc, 0, v5, vcc
	v_mul_lo_u32 v15, s37, v3
	v_mul_lo_u32 v16, s36, v5
	v_mad_u64_u32 v[12:13], s[0:1], s36, v3, 0
	v_add3_u32 v13, v13, v16, v15
	v_sub_u32_e32 v15, v11, v13
	v_mov_b32_e32 v16, s37
	v_sub_co_u32_e32 v9, vcc, v9, v12
	v_subb_co_u32_e64 v12, s[0:1], v15, v16, vcc
	v_subrev_co_u32_e64 v15, s[0:1], s36, v9
	v_subbrev_co_u32_e64 v12, s[0:1], 0, v12, s[0:1]
	v_cmp_le_u32_e64 s[0:1], s37, v12
	v_cndmask_b32_e64 v16, 0, -1, s[0:1]
	v_cmp_le_u32_e64 s[0:1], s36, v15
	v_cndmask_b32_e64 v15, 0, -1, s[0:1]
	v_cmp_eq_u32_e64 s[0:1], s37, v12
	v_cndmask_b32_e64 v12, v16, v15, s[0:1]
	v_add_co_u32_e64 v15, s[0:1], 2, v3
	v_subb_co_u32_e32 v11, vcc, v11, v13, vcc
	v_addc_co_u32_e64 v16, s[0:1], 0, v5, s[0:1]
	v_cmp_le_u32_e32 vcc, s37, v11
	v_add_co_u32_e64 v17, s[0:1], 1, v3
	v_cndmask_b32_e64 v13, 0, -1, vcc
	v_cmp_le_u32_e32 vcc, s36, v9
	v_addc_co_u32_e64 v18, s[0:1], 0, v5, s[0:1]
	v_cndmask_b32_e64 v9, 0, -1, vcc
	v_cmp_eq_u32_e32 vcc, s37, v11
	v_cmp_ne_u32_e64 s[0:1], 0, v12
	v_cndmask_b32_e32 v9, v13, v9, vcc
	v_cmp_ne_u32_e32 vcc, 0, v9
	v_cndmask_b32_e64 v9, v17, v15, s[0:1]
	v_cndmask_b32_e64 v12, v18, v16, s[0:1]
	v_cndmask_b32_e32 v3, v3, v9, vcc
	v_xor_b32_e32 v9, s35, v7
	v_xor_b32_e32 v7, s34, v7
	v_cndmask_b32_e32 v5, v5, v12, vcc
	v_xor_b32_e32 v3, v3, v7
	v_xor_b32_e32 v5, v5, v9
	v_sub_co_u32_e32 v12, vcc, v3, v7
	v_subb_co_u32_e32 v13, vcc, v5, v9, vcc
.LBB49_39:                              ;   in Loop: Header=BB49_37 Depth=2
	s_andn2_saveexec_b64 s[0:1], s[6:7]
	s_cbranch_execz .LBB49_36
; %bb.40:                               ;   in Loop: Header=BB49_37 Depth=2
	v_cvt_f32_u32_e32 v3, s54
	s_sub_i32 s6, 0, s54
	v_mov_b32_e32 v13, v2
	v_rcp_iflag_f32_e32 v3, v3
	v_mul_f32_e32 v3, 0x4f7ffffe, v3
	v_cvt_u32_f32_e32 v3, v3
	v_mul_lo_u32 v5, s6, v3
	v_mul_hi_u32 v5, v3, v5
	v_add_u32_e32 v3, v3, v5
	v_mul_hi_u32 v3, v14, v3
	v_mul_lo_u32 v5, v3, s54
	v_sub_u32_e32 v5, v14, v5
	v_add_u32_e32 v7, 1, v3
	v_subrev_u32_e32 v9, s54, v5
	v_cmp_le_u32_e32 vcc, s54, v5
	v_cndmask_b32_e32 v5, v5, v9, vcc
	v_cndmask_b32_e32 v3, v3, v7, vcc
	v_add_u32_e32 v7, 1, v3
	v_cmp_le_u32_e32 vcc, s54, v5
	v_cndmask_b32_e32 v12, v3, v7, vcc
	s_branch .LBB49_36
.LBB49_41:                              ;   in Loop: Header=BB49_3 Depth=1
	v_mov_b32_e32 v3, v4
	v_sub_u32_e32 v4, v4, v8
	v_ashrrev_i32_e32 v5, 31, v4
	v_cmp_ge_i64_e32 vcc, s[8:9], v[4:5]
                                        ; implicit-def: $vgpr7
	s_and_saveexec_b64 s[0:1], vcc
	s_xor_b64 s[34:35], exec, s[0:1]
	s_cbranch_execnz .LBB49_44
; %bb.42:                               ;   in Loop: Header=BB49_3 Depth=1
	s_andn2_saveexec_b64 s[0:1], s[34:35]
	s_cbranch_execnz .LBB49_53
.LBB49_43:                              ;   in Loop: Header=BB49_3 Depth=1
	s_or_b64 exec, exec, s[0:1]
	v_cmp_gt_i32_e32 vcc, s15, v3
	s_and_saveexec_b64 s[0:1], vcc
	s_cbranch_execz .LBB49_2
	s_branch .LBB49_54
.LBB49_44:                              ;   in Loop: Header=BB49_3 Depth=1
	v_cmp_gt_i32_e32 vcc, s15, v3
	v_mov_b32_e32 v7, 0
	s_and_saveexec_b64 s[0:1], vcc
	s_cbranch_execz .LBB49_52
; %bb.45:                               ;   in Loop: Header=BB49_3 Depth=1
	v_ashrrev_i32_e32 v5, 31, v10
	v_mov_b32_e32 v7, s13
	v_add_co_u32_e32 v4, vcc, s12, v10
	v_addc_co_u32_e32 v5, vcc, v7, v5, vcc
	global_load_ubyte v7, v[4:5], off
	v_add_u32_e32 v9, 1, v3
	v_cmp_gt_i32_e32 vcc, s15, v9
	s_and_saveexec_b64 s[2:3], vcc
	s_xor_b64 s[2:3], exec, s[2:3]
	s_cbranch_execz .LBB49_51
; %bb.46:                               ;   in Loop: Header=BB49_3 Depth=1
	v_mov_b32_e32 v9, s49
	v_add_co_u32_e32 v4, vcc, s50, v4
	v_addc_co_u32_e32 v5, vcc, v5, v9, vcc
	global_load_ubyte v4, v[4:5], off
	v_add_u32_e32 v5, 2, v3
	v_cmp_gt_i32_e32 vcc, s15, v5
	s_waitcnt vmcnt(0)
	v_lshlrev_b16_e32 v4, 8, v4
	v_or_b32_e32 v4, v7, v4
	v_and_b32_e32 v7, 0xffff, v4
	s_and_saveexec_b64 s[4:5], vcc
	s_xor_b64 s[4:5], exec, s[4:5]
	s_cbranch_execz .LBB49_50
; %bb.47:                               ;   in Loop: Header=BB49_3 Depth=1
	s_add_i32 s6, s50, s50
	v_add_u32_e32 v4, s6, v10
	v_ashrrev_i32_e32 v5, 31, v4
	v_mov_b32_e32 v9, s13
	v_add_co_u32_e32 v10, vcc, s12, v4
	v_addc_co_u32_e32 v11, vcc, v9, v5, vcc
	global_load_ubyte v5, v[10:11], off
	v_add_u32_e32 v9, 3, v3
	v_cmp_gt_i32_e32 vcc, s15, v9
	s_waitcnt vmcnt(0)
	v_lshl_or_b32 v7, v5, 16, v7
	s_and_saveexec_b64 s[6:7], vcc
	s_xor_b64 s[6:7], exec, s[6:7]
	s_cbranch_execz .LBB49_49
; %bb.48:                               ;   in Loop: Header=BB49_3 Depth=1
	v_add_u32_e32 v4, s50, v4
	v_ashrrev_i32_e32 v5, 31, v4
	v_mov_b32_e32 v9, s13
	v_add_co_u32_e32 v4, vcc, s12, v4
	v_addc_co_u32_e32 v5, vcc, v9, v5, vcc
	global_load_ubyte v4, v[4:5], off
	s_waitcnt vmcnt(0)
	v_lshlrev_b16_e32 v4, 8, v4
	v_or_b32_sdwa v4, v7, v4 dst_sel:WORD_1 dst_unused:UNUSED_PAD src0_sel:WORD_1 src1_sel:DWORD
	v_and_or_b32 v7, v7, s33, v4
.LBB49_49:                              ;   in Loop: Header=BB49_3 Depth=1
	s_or_b64 exec, exec, s[6:7]
.LBB49_50:                              ;   in Loop: Header=BB49_3 Depth=1
	s_or_b64 exec, exec, s[4:5]
.LBB49_51:                              ;   in Loop: Header=BB49_3 Depth=1
	s_or_b64 exec, exec, s[2:3]
.LBB49_52:                              ;   in Loop: Header=BB49_3 Depth=1
	s_or_b64 exec, exec, s[0:1]
	s_waitcnt vmcnt(0)
	v_and_b32_sdwa v4, v23, v7 dst_sel:DWORD dst_unused:UNUSED_PAD src0_sel:DWORD src1_sel:BYTE_1
	v_cmp_eq_u32_e32 vcc, 1, v4
	v_and_b32_e32 v4, 0x1000000, v7
	v_cmp_ne_u32_e64 s[0:1], 0, v4
	v_and_b32_e32 v4, 0x10000, v7
	v_cmp_ne_u32_e64 s[2:3], 0, v4
	v_and_b32_e32 v4, 1, v7
	v_cmp_eq_u32_e64 s[4:5], 1, v4
	v_sub_u32_e32 v4, v3, v8
	v_ashrrev_i32_e32 v5, 31, v4
	v_cmp_ge_i64_e64 s[6:7], s[8:9], v[4:5]
	v_add_u32_e32 v8, 1, v4
	s_and_b64 s[4:5], s[6:7], s[4:5]
	v_ashrrev_i32_e32 v9, 31, v8
	v_cndmask_b32_e64 v7, 0, 1, s[4:5]
	v_cmp_ge_i64_e64 s[4:5], s[8:9], v[8:9]
	v_add_u32_e32 v8, 2, v4
	v_ashrrev_i32_e32 v9, 31, v8
	v_add_u32_e32 v4, 3, v4
	s_and_b64 s[4:5], s[4:5], vcc
	v_cmp_ge_i64_e32 vcc, s[8:9], v[8:9]
	v_ashrrev_i32_e32 v5, 31, v4
	s_and_b64 s[2:3], vcc, s[2:3]
	v_cmp_ge_i64_e32 vcc, s[8:9], v[4:5]
	s_and_b64 s[0:1], vcc, s[0:1]
	v_cndmask_b32_e64 v10, 0, 1, s[4:5]
	v_cndmask_b32_e64 v4, 0, 1, s[0:1]
	;; [unrolled: 1-line block ×3, first 2 shown]
	v_lshlrev_b16_e32 v5, 8, v10
	v_lshlrev_b16_e32 v4, 8, v4
	v_or_b32_e32 v5, v7, v5
	v_or_b32_sdwa v4, v8, v4 dst_sel:WORD_1 dst_unused:UNUSED_PAD src0_sel:DWORD src1_sel:DWORD
	v_or_b32_sdwa v7, v5, v4 dst_sel:DWORD dst_unused:UNUSED_PAD src0_sel:WORD_0 src1_sel:DWORD
	s_andn2_saveexec_b64 s[0:1], s[34:35]
	s_cbranch_execz .LBB49_43
.LBB49_53:                              ;   in Loop: Header=BB49_3 Depth=1
	v_mov_b32_e32 v7, 0
	s_or_b64 exec, exec, s[0:1]
	v_cmp_gt_i32_e32 vcc, s15, v3
	s_and_saveexec_b64 s[0:1], vcc
	s_cbranch_execz .LBB49_2
.LBB49_54:                              ;   in Loop: Header=BB49_3 Depth=1
	v_ashrrev_i32_e32 v5, 31, v6
	v_mov_b32_e32 v8, s23
	v_add_co_u32_e32 v4, vcc, s22, v6
	v_addc_co_u32_e32 v5, vcc, v8, v5, vcc
	v_add_u32_e32 v8, 1, v3
	v_cmp_gt_i32_e32 vcc, s15, v8
	global_store_byte v[4:5], v7, off
	s_and_saveexec_b64 s[2:3], vcc
	s_xor_b64 s[2:3], exec, s[2:3]
	s_cbranch_execz .LBB49_2
; %bb.55:                               ;   in Loop: Header=BB49_3 Depth=1
	v_mov_b32_e32 v9, s51
	v_add_co_u32_e32 v4, vcc, s52, v4
	v_lshrrev_b32_e32 v8, 8, v7
	v_addc_co_u32_e32 v5, vcc, v5, v9, vcc
	global_store_byte v[4:5], v8, off
	v_add_u32_e32 v4, 2, v3
	v_cmp_gt_i32_e32 vcc, s15, v4
	s_and_saveexec_b64 s[2:3], vcc
	s_xor_b64 s[2:3], exec, s[2:3]
	s_cbranch_execz .LBB49_2
; %bb.56:                               ;   in Loop: Header=BB49_3 Depth=1
	s_add_i32 s2, s52, s52
	v_add_u32_e32 v4, s2, v6
	v_ashrrev_i32_e32 v5, 31, v4
	v_mov_b32_e32 v6, s23
	v_add_co_u32_e32 v8, vcc, s22, v4
	v_addc_co_u32_e32 v9, vcc, v6, v5, vcc
	v_add_u32_e32 v3, 3, v3
	v_cmp_gt_i32_e32 vcc, s15, v3
	global_store_byte_d16_hi v[8:9], v7, off
	s_and_saveexec_b64 s[2:3], vcc
	s_xor_b64 s[2:3], exec, s[2:3]
	s_cbranch_execz .LBB49_2
; %bb.57:                               ;   in Loop: Header=BB49_3 Depth=1
	v_add_u32_e32 v4, s52, v4
	v_ashrrev_i32_e32 v5, 31, v4
	v_mov_b32_e32 v6, s23
	v_add_co_u32_e32 v4, vcc, s22, v4
	v_lshrrev_b32_e32 v3, 24, v7
	v_addc_co_u32_e32 v5, vcc, v6, v5, vcc
	global_store_byte v[4:5], v3, off
	s_branch .LBB49_2
.LBB49_58:
	s_endpgm
	.section	.rodata,"a",@progbits
	.p2align	6, 0x0
	.amdhsa_kernel _ZN2at6native16triu_tril_kernelIbiLb0ELi4ELb0EEEvNS_4cuda6detail10TensorInfoIT_T0_EENS4_IKS5_S6_EEllS6_
		.amdhsa_group_segment_fixed_size 0
		.amdhsa_private_segment_fixed_size 0
		.amdhsa_kernarg_size 712
		.amdhsa_user_sgpr_count 6
		.amdhsa_user_sgpr_private_segment_buffer 1
		.amdhsa_user_sgpr_dispatch_ptr 0
		.amdhsa_user_sgpr_queue_ptr 0
		.amdhsa_user_sgpr_kernarg_segment_ptr 1
		.amdhsa_user_sgpr_dispatch_id 0
		.amdhsa_user_sgpr_flat_scratch_init 0
		.amdhsa_user_sgpr_kernarg_preload_length 0
		.amdhsa_user_sgpr_kernarg_preload_offset 0
		.amdhsa_user_sgpr_private_segment_size 0
		.amdhsa_uses_dynamic_stack 0
		.amdhsa_system_sgpr_private_segment_wavefront_offset 0
		.amdhsa_system_sgpr_workgroup_id_x 1
		.amdhsa_system_sgpr_workgroup_id_y 0
		.amdhsa_system_sgpr_workgroup_id_z 0
		.amdhsa_system_sgpr_workgroup_info 0
		.amdhsa_system_vgpr_workitem_id 0
		.amdhsa_next_free_vgpr 26
		.amdhsa_next_free_sgpr 63
		.amdhsa_accum_offset 28
		.amdhsa_reserve_vcc 1
		.amdhsa_reserve_flat_scratch 0
		.amdhsa_float_round_mode_32 0
		.amdhsa_float_round_mode_16_64 0
		.amdhsa_float_denorm_mode_32 3
		.amdhsa_float_denorm_mode_16_64 3
		.amdhsa_dx10_clamp 1
		.amdhsa_ieee_mode 1
		.amdhsa_fp16_overflow 0
		.amdhsa_tg_split 0
		.amdhsa_exception_fp_ieee_invalid_op 0
		.amdhsa_exception_fp_denorm_src 0
		.amdhsa_exception_fp_ieee_div_zero 0
		.amdhsa_exception_fp_ieee_overflow 0
		.amdhsa_exception_fp_ieee_underflow 0
		.amdhsa_exception_fp_ieee_inexact 0
		.amdhsa_exception_int_div_zero 0
	.end_amdhsa_kernel
	.section	.text._ZN2at6native16triu_tril_kernelIbiLb0ELi4ELb0EEEvNS_4cuda6detail10TensorInfoIT_T0_EENS4_IKS5_S6_EEllS6_,"axG",@progbits,_ZN2at6native16triu_tril_kernelIbiLb0ELi4ELb0EEEvNS_4cuda6detail10TensorInfoIT_T0_EENS4_IKS5_S6_EEllS6_,comdat
.Lfunc_end49:
	.size	_ZN2at6native16triu_tril_kernelIbiLb0ELi4ELb0EEEvNS_4cuda6detail10TensorInfoIT_T0_EENS4_IKS5_S6_EEllS6_, .Lfunc_end49-_ZN2at6native16triu_tril_kernelIbiLb0ELi4ELb0EEEvNS_4cuda6detail10TensorInfoIT_T0_EENS4_IKS5_S6_EEllS6_
                                        ; -- End function
	.section	.AMDGPU.csdata,"",@progbits
; Kernel info:
; codeLenInByte = 8040
; NumSgprs: 67
; NumVgprs: 26
; NumAgprs: 0
; TotalNumVgprs: 26
; ScratchSize: 0
; MemoryBound: 0
; FloatMode: 240
; IeeeMode: 1
; LDSByteSize: 0 bytes/workgroup (compile time only)
; SGPRBlocks: 8
; VGPRBlocks: 3
; NumSGPRsForWavesPerEU: 67
; NumVGPRsForWavesPerEU: 26
; AccumOffset: 28
; Occupancy: 8
; WaveLimiterHint : 0
; COMPUTE_PGM_RSRC2:SCRATCH_EN: 0
; COMPUTE_PGM_RSRC2:USER_SGPR: 6
; COMPUTE_PGM_RSRC2:TRAP_HANDLER: 0
; COMPUTE_PGM_RSRC2:TGID_X_EN: 1
; COMPUTE_PGM_RSRC2:TGID_Y_EN: 0
; COMPUTE_PGM_RSRC2:TGID_Z_EN: 0
; COMPUTE_PGM_RSRC2:TIDIG_COMP_CNT: 0
; COMPUTE_PGM_RSRC3_GFX90A:ACCUM_OFFSET: 6
; COMPUTE_PGM_RSRC3_GFX90A:TG_SPLIT: 0
	.section	.text._ZN2at6native16triu_tril_kernelIblLb0ELi4ELb1EEEvNS_4cuda6detail10TensorInfoIT_T0_EENS4_IKS5_S6_EEllS6_,"axG",@progbits,_ZN2at6native16triu_tril_kernelIblLb0ELi4ELb1EEEvNS_4cuda6detail10TensorInfoIT_T0_EENS4_IKS5_S6_EEllS6_,comdat
	.protected	_ZN2at6native16triu_tril_kernelIblLb0ELi4ELb1EEEvNS_4cuda6detail10TensorInfoIT_T0_EENS4_IKS5_S6_EEllS6_ ; -- Begin function _ZN2at6native16triu_tril_kernelIblLb0ELi4ELb1EEEvNS_4cuda6detail10TensorInfoIT_T0_EENS4_IKS5_S6_EEllS6_
	.globl	_ZN2at6native16triu_tril_kernelIblLb0ELi4ELb1EEEvNS_4cuda6detail10TensorInfoIT_T0_EENS4_IKS5_S6_EEllS6_
	.p2align	8
	.type	_ZN2at6native16triu_tril_kernelIblLb0ELi4ELb1EEEvNS_4cuda6detail10TensorInfoIT_T0_EENS4_IKS5_S6_EEllS6_,@function
_ZN2at6native16triu_tril_kernelIblLb0ELi4ELb1EEEvNS_4cuda6detail10TensorInfoIT_T0_EENS4_IKS5_S6_EEllS6_: ; @_ZN2at6native16triu_tril_kernelIblLb0ELi4ELb1EEEvNS_4cuda6detail10TensorInfoIT_T0_EENS4_IKS5_S6_EEllS6_
; %bb.0:
	s_load_dword s2, s[4:5], 0x364
	s_load_dwordx4 s[8:11], s[4:5], 0x340
	s_add_u32 s0, s4, 0x358
	v_mov_b32_e32 v2, 0
	s_addc_u32 s1, s5, 0
	s_waitcnt lgkmcnt(0)
	s_and_b32 s12, s2, 0xffff
	v_mov_b32_e32 v1, v2
	v_mov_b32_e32 v3, s6
	v_mad_u64_u32 v[0:1], s[2:3], s12, v3, v[0:1]
	v_lshlrev_b64 v[0:1], 2, v[0:1]
	v_cmp_gt_i64_e32 vcc, s[10:11], v[0:1]
	s_and_saveexec_b64 s[2:3], vcc
	s_cbranch_execz .LBB50_29
; %bb.1:
	s_load_dword s13, s[0:1], 0x0
	s_load_dword s18, s[4:5], 0x338
	s_load_dwordx2 s[2:3], s[4:5], 0x350
	s_load_dwordx2 s[6:7], s[4:5], 0x0
	s_mov_b32 s48, 0
	s_waitcnt lgkmcnt(0)
	s_mul_i32 s20, s13, s12
	s_ashr_i32 s19, s18, 31
	s_add_u32 s24, s4, 0x1a8
	s_addc_u32 s25, s5, 0
	s_lshl_b64 s[0:1], s[18:19], 3
	s_add_u32 s16, s0, -16
	s_addc_u32 s17, s1, -1
	s_add_u32 s14, s24, s16
	s_addc_u32 s15, s25, s17
	v_cmp_gt_i64_e64 s[12:13], s[18:19], 2
	s_add_u32 s19, s0, -8
	s_addc_u32 s21, s1, -1
	s_add_u32 s26, s4, 0xd0
	s_addc_u32 s27, s5, 0
	s_add_u32 s4, s26, s19
	v_cvt_f32_u32_e32 v3, s2
	s_addc_u32 s5, s27, s21
	s_add_u32 s16, s26, s16
	s_addc_u32 s17, s27, s17
	s_add_i32 s0, s18, -3
	s_ashr_i32 s1, s0, 31
	v_rcp_iflag_f32_e32 v3, v3
	s_add_u32 s18, s24, s19
	s_addc_u32 s19, s25, s21
	s_lshl_b32 s33, s20, 2
	s_lshl_b64 s[22:23], s[0:1], 3
	s_add_u32 s20, s26, s22
	s_load_dwordx2 s[14:15], s[14:15], 0x0
	s_addc_u32 s21, s27, s23
	v_mul_f32_e32 v3, 0x4f7ffffe, v3
	s_add_u32 s22, s24, s22
	v_cvt_u32_f32_e32 v14, v3
	s_addc_u32 s23, s25, s23
	s_add_u32 s24, s0, 1
	s_addc_u32 s25, s1, 0
	s_mov_b64 s[26:27], 0
	s_branch .LBB50_3
.LBB50_2:                               ;   in Loop: Header=BB50_3 Depth=1
	s_or_b64 exec, exec, s[28:29]
	v_mov_b32_e32 v3, s48
	v_add_co_u32_e32 v0, vcc, s33, v0
	v_addc_co_u32_e32 v1, vcc, v1, v3, vcc
	v_cmp_le_i64_e32 vcc, s[10:11], v[0:1]
	s_or_b64 s[26:27], vcc, s[26:27]
	s_andn2_b64 exec, exec, s[26:27]
	s_cbranch_execz .LBB50_29
.LBB50_3:                               ; =>This Loop Header: Depth=1
                                        ;     Child Loop BB50_25 Depth 2
	v_or_b32_e32 v3, s3, v1
	v_cmp_ne_u64_e32 vcc, 0, v[2:3]
                                        ; implicit-def: $vgpr6_vgpr7
	s_and_saveexec_b64 s[0:1], vcc
	s_xor_b64 s[28:29], exec, s[0:1]
	s_cbranch_execz .LBB50_5
; %bb.4:                                ;   in Loop: Header=BB50_3 Depth=1
	s_ashr_i32 s30, s3, 31
	s_add_u32 s0, s2, s30
	s_mov_b32 s31, s30
	s_addc_u32 s1, s3, s30
	s_xor_b64 s[34:35], s[0:1], s[30:31]
	v_cvt_f32_u32_e32 v3, s34
	v_cvt_f32_u32_e32 v4, s35
	s_sub_u32 s0, 0, s34
	s_subb_u32 s1, 0, s35
	v_mac_f32_e32 v3, 0x4f800000, v4
	v_rcp_f32_e32 v3, v3
	v_mul_f32_e32 v3, 0x5f7ffffc, v3
	v_mul_f32_e32 v4, 0x2f800000, v3
	v_trunc_f32_e32 v4, v4
	v_mac_f32_e32 v3, 0xcf800000, v4
	v_cvt_u32_f32_e32 v4, v4
	v_cvt_u32_f32_e32 v3, v3
	v_mul_lo_u32 v5, s0, v4
	v_mul_hi_u32 v7, s0, v3
	v_mul_lo_u32 v6, s1, v3
	v_add_u32_e32 v5, v7, v5
	v_mul_lo_u32 v8, s0, v3
	v_add_u32_e32 v5, v5, v6
	v_mul_lo_u32 v7, v3, v5
	v_mul_hi_u32 v9, v3, v8
	v_mul_hi_u32 v6, v3, v5
	v_add_co_u32_e32 v7, vcc, v9, v7
	v_addc_co_u32_e32 v6, vcc, 0, v6, vcc
	v_mul_hi_u32 v10, v4, v8
	v_mul_lo_u32 v8, v4, v8
	v_add_co_u32_e32 v7, vcc, v7, v8
	v_mul_hi_u32 v9, v4, v5
	v_addc_co_u32_e32 v6, vcc, v6, v10, vcc
	v_addc_co_u32_e32 v7, vcc, 0, v9, vcc
	v_mul_lo_u32 v5, v4, v5
	v_add_co_u32_e32 v5, vcc, v6, v5
	v_addc_co_u32_e32 v6, vcc, 0, v7, vcc
	v_add_co_u32_e32 v3, vcc, v3, v5
	v_addc_co_u32_e32 v4, vcc, v4, v6, vcc
	v_mul_lo_u32 v5, s0, v4
	v_mul_hi_u32 v6, s0, v3
	v_add_u32_e32 v5, v6, v5
	v_mul_lo_u32 v6, s1, v3
	v_add_u32_e32 v5, v5, v6
	v_mul_lo_u32 v7, s0, v3
	v_mul_hi_u32 v8, v4, v7
	v_mul_lo_u32 v9, v4, v7
	v_mul_lo_u32 v11, v3, v5
	v_mul_hi_u32 v7, v3, v7
	v_mul_hi_u32 v10, v3, v5
	v_add_co_u32_e32 v7, vcc, v7, v11
	v_addc_co_u32_e32 v10, vcc, 0, v10, vcc
	v_add_co_u32_e32 v7, vcc, v7, v9
	v_mul_hi_u32 v6, v4, v5
	v_addc_co_u32_e32 v7, vcc, v10, v8, vcc
	v_addc_co_u32_e32 v6, vcc, 0, v6, vcc
	v_mul_lo_u32 v5, v4, v5
	v_add_co_u32_e32 v5, vcc, v7, v5
	v_addc_co_u32_e32 v6, vcc, 0, v6, vcc
	v_add_co_u32_e32 v3, vcc, v3, v5
	v_addc_co_u32_e32 v6, vcc, v4, v6, vcc
	v_ashrrev_i32_e32 v8, 31, v1
	v_add_co_u32_e32 v4, vcc, v0, v8
	v_addc_co_u32_e32 v5, vcc, v1, v8, vcc
	v_xor_b32_e32 v10, v4, v8
	v_xor_b32_e32 v9, v5, v8
	v_mad_u64_u32 v[4:5], s[0:1], v10, v6, 0
	v_mul_hi_u32 v7, v10, v3
	v_add_co_u32_e32 v11, vcc, v7, v4
	v_addc_co_u32_e32 v12, vcc, 0, v5, vcc
	v_mad_u64_u32 v[4:5], s[0:1], v9, v6, 0
	v_mad_u64_u32 v[6:7], s[0:1], v9, v3, 0
	v_add_co_u32_e32 v3, vcc, v11, v6
	v_addc_co_u32_e32 v3, vcc, v12, v7, vcc
	v_addc_co_u32_e32 v5, vcc, 0, v5, vcc
	v_add_co_u32_e32 v3, vcc, v3, v4
	v_addc_co_u32_e32 v6, vcc, 0, v5, vcc
	v_mul_lo_u32 v7, s35, v3
	v_mul_lo_u32 v11, s34, v6
	v_mad_u64_u32 v[4:5], s[0:1], s34, v3, 0
	v_add3_u32 v5, v5, v11, v7
	v_sub_u32_e32 v7, v9, v5
	v_mov_b32_e32 v11, s35
	v_sub_co_u32_e32 v4, vcc, v10, v4
	v_subb_co_u32_e64 v7, s[0:1], v7, v11, vcc
	v_subrev_co_u32_e64 v10, s[0:1], s34, v4
	v_subbrev_co_u32_e64 v7, s[0:1], 0, v7, s[0:1]
	v_cmp_le_u32_e64 s[0:1], s35, v7
	v_cndmask_b32_e64 v11, 0, -1, s[0:1]
	v_cmp_le_u32_e64 s[0:1], s34, v10
	v_cndmask_b32_e64 v10, 0, -1, s[0:1]
	v_cmp_eq_u32_e64 s[0:1], s35, v7
	v_cndmask_b32_e64 v7, v11, v10, s[0:1]
	v_add_co_u32_e64 v10, s[0:1], 2, v3
	v_subb_co_u32_e32 v5, vcc, v9, v5, vcc
	v_addc_co_u32_e64 v11, s[0:1], 0, v6, s[0:1]
	v_cmp_le_u32_e32 vcc, s35, v5
	v_add_co_u32_e64 v12, s[0:1], 1, v3
	v_cndmask_b32_e64 v9, 0, -1, vcc
	v_cmp_le_u32_e32 vcc, s34, v4
	v_addc_co_u32_e64 v13, s[0:1], 0, v6, s[0:1]
	v_cndmask_b32_e64 v4, 0, -1, vcc
	v_cmp_eq_u32_e32 vcc, s35, v5
	v_cmp_ne_u32_e64 s[0:1], 0, v7
	v_cndmask_b32_e32 v4, v9, v4, vcc
	v_cmp_ne_u32_e32 vcc, 0, v4
	v_cndmask_b32_e64 v5, v12, v10, s[0:1]
	v_cndmask_b32_e64 v7, v13, v11, s[0:1]
	v_cndmask_b32_e32 v3, v3, v5, vcc
	v_xor_b32_e32 v5, s30, v8
	v_cndmask_b32_e32 v4, v6, v7, vcc
	v_xor_b32_e32 v3, v3, v5
	v_xor_b32_e32 v4, v4, v5
	v_sub_co_u32_e32 v6, vcc, v3, v5
	v_subb_co_u32_e32 v7, vcc, v4, v5, vcc
.LBB50_5:                               ;   in Loop: Header=BB50_3 Depth=1
	s_andn2_saveexec_b64 s[0:1], s[28:29]
	s_cbranch_execz .LBB50_7
; %bb.6:                                ;   in Loop: Header=BB50_3 Depth=1
	s_sub_i32 s28, 0, s2
	v_mul_lo_u32 v3, s28, v14
	v_mul_hi_u32 v3, v14, v3
	v_add_u32_e32 v3, v14, v3
	v_mul_hi_u32 v3, v0, v3
	v_mul_lo_u32 v4, v3, s2
	v_sub_u32_e32 v4, v0, v4
	v_subrev_u32_e32 v5, s2, v4
	v_cmp_le_u32_e32 vcc, s2, v4
	v_cndmask_b32_e32 v4, v4, v5, vcc
	v_add_u32_e32 v5, 1, v3
	v_cndmask_b32_e32 v3, v3, v5, vcc
	v_add_u32_e32 v5, 1, v3
	v_cmp_le_u32_e32 vcc, s2, v4
	v_cndmask_b32_e32 v6, v3, v5, vcc
	v_mov_b32_e32 v7, v2
.LBB50_7:                               ;   in Loop: Header=BB50_3 Depth=1
	s_or_b64 exec, exec, s[0:1]
	s_waitcnt lgkmcnt(0)
	v_or_b32_e32 v3, s15, v7
	v_cmp_ne_u64_e32 vcc, 0, v[2:3]
                                        ; implicit-def: $vgpr8_vgpr9
	s_and_saveexec_b64 s[0:1], vcc
	s_xor_b64 s[28:29], exec, s[0:1]
	s_cbranch_execz .LBB50_9
; %bb.8:                                ;   in Loop: Header=BB50_3 Depth=1
	s_ashr_i32 s30, s15, 31
	s_add_u32 s0, s14, s30
	s_mov_b32 s31, s30
	s_addc_u32 s1, s15, s30
	s_xor_b64 s[34:35], s[0:1], s[30:31]
	v_cvt_f32_u32_e32 v3, s34
	v_cvt_f32_u32_e32 v4, s35
	s_sub_u32 s0, 0, s34
	s_subb_u32 s1, 0, s35
	v_mac_f32_e32 v3, 0x4f800000, v4
	v_rcp_f32_e32 v3, v3
	v_mul_f32_e32 v3, 0x5f7ffffc, v3
	v_mul_f32_e32 v4, 0x2f800000, v3
	v_trunc_f32_e32 v4, v4
	v_mac_f32_e32 v3, 0xcf800000, v4
	v_cvt_u32_f32_e32 v4, v4
	v_cvt_u32_f32_e32 v3, v3
	v_mul_lo_u32 v5, s0, v4
	v_mul_hi_u32 v9, s0, v3
	v_mul_lo_u32 v8, s1, v3
	v_add_u32_e32 v5, v9, v5
	v_mul_lo_u32 v10, s0, v3
	v_add_u32_e32 v5, v5, v8
	v_mul_lo_u32 v9, v3, v5
	v_mul_hi_u32 v11, v3, v10
	v_mul_hi_u32 v8, v3, v5
	v_add_co_u32_e32 v9, vcc, v11, v9
	v_addc_co_u32_e32 v8, vcc, 0, v8, vcc
	v_mul_hi_u32 v12, v4, v10
	v_mul_lo_u32 v10, v4, v10
	v_add_co_u32_e32 v9, vcc, v9, v10
	v_mul_hi_u32 v11, v4, v5
	v_addc_co_u32_e32 v8, vcc, v8, v12, vcc
	v_addc_co_u32_e32 v9, vcc, 0, v11, vcc
	v_mul_lo_u32 v5, v4, v5
	v_add_co_u32_e32 v5, vcc, v8, v5
	v_addc_co_u32_e32 v8, vcc, 0, v9, vcc
	v_add_co_u32_e32 v3, vcc, v3, v5
	v_addc_co_u32_e32 v4, vcc, v4, v8, vcc
	v_mul_lo_u32 v5, s0, v4
	v_mul_hi_u32 v8, s0, v3
	v_add_u32_e32 v5, v8, v5
	v_mul_lo_u32 v8, s1, v3
	v_add_u32_e32 v5, v5, v8
	v_mul_lo_u32 v9, s0, v3
	v_mul_hi_u32 v10, v4, v9
	v_mul_lo_u32 v11, v4, v9
	v_mul_lo_u32 v13, v3, v5
	v_mul_hi_u32 v9, v3, v9
	v_mul_hi_u32 v12, v3, v5
	v_add_co_u32_e32 v9, vcc, v9, v13
	v_addc_co_u32_e32 v12, vcc, 0, v12, vcc
	v_add_co_u32_e32 v9, vcc, v9, v11
	v_mul_hi_u32 v8, v4, v5
	v_addc_co_u32_e32 v9, vcc, v12, v10, vcc
	v_addc_co_u32_e32 v8, vcc, 0, v8, vcc
	v_mul_lo_u32 v5, v4, v5
	v_add_co_u32_e32 v5, vcc, v9, v5
	v_addc_co_u32_e32 v8, vcc, 0, v8, vcc
	v_add_co_u32_e32 v3, vcc, v3, v5
	v_addc_co_u32_e32 v8, vcc, v4, v8, vcc
	v_ashrrev_i32_e32 v10, 31, v7
	v_add_co_u32_e32 v4, vcc, v6, v10
	v_addc_co_u32_e32 v5, vcc, v7, v10, vcc
	v_xor_b32_e32 v12, v4, v10
	v_xor_b32_e32 v11, v5, v10
	v_mad_u64_u32 v[4:5], s[0:1], v12, v8, 0
	v_mul_hi_u32 v9, v12, v3
	v_add_co_u32_e32 v13, vcc, v9, v4
	v_addc_co_u32_e32 v15, vcc, 0, v5, vcc
	v_mad_u64_u32 v[4:5], s[0:1], v11, v8, 0
	v_mad_u64_u32 v[8:9], s[0:1], v11, v3, 0
	v_add_co_u32_e32 v3, vcc, v13, v8
	v_addc_co_u32_e32 v3, vcc, v15, v9, vcc
	v_addc_co_u32_e32 v5, vcc, 0, v5, vcc
	v_add_co_u32_e32 v3, vcc, v3, v4
	v_addc_co_u32_e32 v8, vcc, 0, v5, vcc
	v_mul_lo_u32 v9, s35, v3
	v_mul_lo_u32 v13, s34, v8
	v_mad_u64_u32 v[4:5], s[0:1], s34, v3, 0
	v_add3_u32 v5, v5, v13, v9
	v_sub_u32_e32 v9, v11, v5
	v_mov_b32_e32 v13, s35
	v_sub_co_u32_e32 v4, vcc, v12, v4
	v_subb_co_u32_e64 v9, s[0:1], v9, v13, vcc
	v_subrev_co_u32_e64 v12, s[0:1], s34, v4
	v_subbrev_co_u32_e64 v9, s[0:1], 0, v9, s[0:1]
	v_cmp_le_u32_e64 s[0:1], s35, v9
	v_cndmask_b32_e64 v13, 0, -1, s[0:1]
	v_cmp_le_u32_e64 s[0:1], s34, v12
	v_cndmask_b32_e64 v12, 0, -1, s[0:1]
	v_cmp_eq_u32_e64 s[0:1], s35, v9
	v_cndmask_b32_e64 v9, v13, v12, s[0:1]
	v_add_co_u32_e64 v12, s[0:1], 2, v3
	v_subb_co_u32_e32 v5, vcc, v11, v5, vcc
	v_addc_co_u32_e64 v13, s[0:1], 0, v8, s[0:1]
	v_cmp_le_u32_e32 vcc, s35, v5
	v_add_co_u32_e64 v15, s[0:1], 1, v3
	v_cndmask_b32_e64 v11, 0, -1, vcc
	v_cmp_le_u32_e32 vcc, s34, v4
	v_addc_co_u32_e64 v16, s[0:1], 0, v8, s[0:1]
	v_cndmask_b32_e64 v4, 0, -1, vcc
	v_cmp_eq_u32_e32 vcc, s35, v5
	v_cmp_ne_u32_e64 s[0:1], 0, v9
	v_cndmask_b32_e32 v4, v11, v4, vcc
	v_cmp_ne_u32_e32 vcc, 0, v4
	v_cndmask_b32_e64 v5, v15, v12, s[0:1]
	v_cndmask_b32_e64 v9, v16, v13, s[0:1]
	v_cndmask_b32_e32 v3, v3, v5, vcc
	v_xor_b32_e32 v5, s30, v10
	v_cndmask_b32_e32 v4, v8, v9, vcc
	v_xor_b32_e32 v3, v3, v5
	v_xor_b32_e32 v4, v4, v5
	v_sub_co_u32_e32 v8, vcc, v3, v5
	v_subb_co_u32_e32 v9, vcc, v4, v5, vcc
.LBB50_9:                               ;   in Loop: Header=BB50_3 Depth=1
	s_andn2_saveexec_b64 s[0:1], s[28:29]
	s_cbranch_execz .LBB50_11
; %bb.10:                               ;   in Loop: Header=BB50_3 Depth=1
	v_cvt_f32_u32_e32 v3, s14
	s_sub_i32 s28, 0, s14
	v_mov_b32_e32 v9, v2
	v_rcp_iflag_f32_e32 v3, v3
	v_mul_f32_e32 v3, 0x4f7ffffe, v3
	v_cvt_u32_f32_e32 v3, v3
	v_mul_lo_u32 v4, s28, v3
	v_mul_hi_u32 v4, v3, v4
	v_add_u32_e32 v3, v3, v4
	v_mul_hi_u32 v3, v6, v3
	v_mul_lo_u32 v4, v3, s14
	v_sub_u32_e32 v4, v6, v4
	v_add_u32_e32 v5, 1, v3
	v_subrev_u32_e32 v8, s14, v4
	v_cmp_le_u32_e32 vcc, s14, v4
	v_cndmask_b32_e32 v4, v4, v8, vcc
	v_cndmask_b32_e32 v3, v3, v5, vcc
	v_add_u32_e32 v5, 1, v3
	v_cmp_le_u32_e32 vcc, s14, v4
	v_cndmask_b32_e32 v8, v3, v5, vcc
.LBB50_11:                              ;   in Loop: Header=BB50_3 Depth=1
	s_or_b64 exec, exec, s[0:1]
	v_mul_lo_u32 v3, v7, s2
	v_mul_lo_u32 v10, v6, s3
	v_mad_u64_u32 v[4:5], s[0:1], v6, s2, 0
	v_add3_u32 v3, v5, v10, v3
	v_sub_co_u32_e32 v4, vcc, v0, v4
	v_subb_co_u32_e32 v5, vcc, v1, v3, vcc
	v_mul_lo_u32 v3, v9, s14
	v_mul_lo_u32 v12, v8, s15
	v_mad_u64_u32 v[10:11], s[0:1], v8, s14, 0
	v_add3_u32 v3, v11, v12, v3
	v_sub_co_u32_e32 v15, vcc, v6, v10
	v_subb_co_u32_e32 v16, vcc, v7, v3, vcc
	v_sub_co_u32_e32 v6, vcc, v4, v15
	v_subb_co_u32_e32 v7, vcc, v5, v16, vcc
	v_add_co_u32_e32 v10, vcc, 4, v6
	v_addc_co_u32_e32 v11, vcc, 0, v7, vcc
	v_cmp_lt_i64_e32 vcc, s[8:9], v[10:11]
	s_and_saveexec_b64 s[28:29], vcc
	s_cbranch_execz .LBB50_2
; %bb.12:                               ;   in Loop: Header=BB50_3 Depth=1
	s_load_dwordx2 s[30:31], s[4:5], 0x0
	s_load_dwordx2 s[0:1], s[16:17], 0x0
	s_and_b64 vcc, exec, s[12:13]
	s_mov_b64 s[36:37], s[22:23]
	s_mov_b64 s[38:39], s[20:21]
	s_waitcnt lgkmcnt(0)
	v_mul_lo_u32 v3, s31, v4
	v_mul_lo_u32 v12, s30, v5
	v_mad_u64_u32 v[10:11], s[34:35], s30, v4, 0
	v_add3_u32 v11, v11, v12, v3
	v_mad_u64_u32 v[10:11], s[34:35], s0, v15, v[10:11]
	v_mul_lo_u32 v3, s0, v16
	v_mul_lo_u32 v12, s1, v15
	v_add3_u32 v11, v12, v11, v3
	s_mov_b64 s[34:35], s[24:25]
	s_cbranch_vccnz .LBB50_25
.LBB50_13:                              ;   in Loop: Header=BB50_3 Depth=1
	s_load_dwordx2 s[0:1], s[18:19], 0x0
	s_waitcnt lgkmcnt(0)
	v_cmp_gt_i64_e32 vcc, s[0:1], v[4:5]
	s_and_b64 exec, exec, vcc
	s_cbranch_execz .LBB50_2
; %bb.14:                               ;   in Loop: Header=BB50_3 Depth=1
	v_mov_b32_e32 v3, s7
	v_add_co_u32_e32 v8, vcc, s6, v10
	v_addc_co_u32_e32 v9, vcc, v3, v11, vcc
	v_cmp_lt_i64_e32 vcc, s[8:9], v[6:7]
	s_and_saveexec_b64 s[34:35], vcc
	s_cbranch_execz .LBB50_16
; %bb.15:                               ;   in Loop: Header=BB50_3 Depth=1
	global_store_byte v[8:9], v2, off
.LBB50_16:                              ;   in Loop: Header=BB50_3 Depth=1
	s_or_b64 exec, exec, s[34:35]
	v_add_co_u32_e32 v6, vcc, 1, v4
	v_addc_co_u32_e32 v7, vcc, 0, v5, vcc
	v_cmp_gt_i64_e32 vcc, s[0:1], v[6:7]
	s_and_b64 exec, exec, vcc
	s_cbranch_execz .LBB50_2
; %bb.17:                               ;   in Loop: Header=BB50_3 Depth=1
	v_sub_co_u32_e32 v6, vcc, v6, v15
	v_subb_co_u32_e32 v7, vcc, v7, v16, vcc
	v_cmp_lt_i64_e32 vcc, s[8:9], v[6:7]
	s_and_saveexec_b64 s[34:35], vcc
	s_cbranch_execz .LBB50_19
; %bb.18:                               ;   in Loop: Header=BB50_3 Depth=1
	v_mov_b32_e32 v3, s31
	v_add_co_u32_e32 v6, vcc, s30, v8
	v_addc_co_u32_e32 v7, vcc, v9, v3, vcc
	global_store_byte v[6:7], v2, off
.LBB50_19:                              ;   in Loop: Header=BB50_3 Depth=1
	s_or_b64 exec, exec, s[34:35]
	v_add_co_u32_e32 v6, vcc, 2, v4
	v_addc_co_u32_e32 v7, vcc, 0, v5, vcc
	v_cmp_gt_i64_e32 vcc, s[0:1], v[6:7]
	s_and_b64 exec, exec, vcc
	s_cbranch_execz .LBB50_2
; %bb.20:                               ;   in Loop: Header=BB50_3 Depth=1
	v_sub_co_u32_e32 v6, vcc, v6, v15
	v_subb_co_u32_e32 v7, vcc, v7, v16, vcc
	v_cmp_lt_i64_e32 vcc, s[8:9], v[6:7]
	s_and_saveexec_b64 s[34:35], vcc
	s_cbranch_execz .LBB50_22
; %bb.21:                               ;   in Loop: Header=BB50_3 Depth=1
	s_lshl_b64 s[36:37], s[30:31], 1
	v_mov_b32_e32 v3, s37
	v_add_co_u32_e32 v6, vcc, s36, v8
	v_addc_co_u32_e32 v7, vcc, v9, v3, vcc
	global_store_byte v[6:7], v2, off
.LBB50_22:                              ;   in Loop: Header=BB50_3 Depth=1
	s_or_b64 exec, exec, s[34:35]
	v_add_co_u32_e32 v4, vcc, 3, v4
	v_addc_co_u32_e32 v5, vcc, 0, v5, vcc
	v_cmp_gt_i64_e32 vcc, s[0:1], v[4:5]
	v_sub_co_u32_e64 v4, s[0:1], v4, v15
	v_subb_co_u32_e64 v5, s[0:1], v5, v16, s[0:1]
	v_cmp_lt_i64_e64 s[0:1], s[8:9], v[4:5]
	s_and_b64 s[0:1], vcc, s[0:1]
	s_and_b64 exec, exec, s[0:1]
	s_cbranch_execz .LBB50_2
; %bb.23:                               ;   in Loop: Header=BB50_3 Depth=1
	v_mad_u64_u32 v[4:5], s[0:1], s30, 3, v[8:9]
	v_mov_b32_e32 v6, v5
	v_mad_u64_u32 v[6:7], s[0:1], s31, 3, v[6:7]
	v_mov_b32_e32 v5, v6
	global_store_byte v[4:5], v2, off
	s_branch .LBB50_2
.LBB50_24:                              ;   in Loop: Header=BB50_25 Depth=2
	s_or_b64 exec, exec, s[0:1]
	v_mad_u64_u32 v[18:19], s[0:1], v12, s40, 0
	s_load_dwordx2 s[0:1], s[38:39], 0x0
	s_add_u32 s38, s38, -8
	s_addc_u32 s39, s39, -1
	v_mul_lo_u32 v3, v13, s40
	v_mul_lo_u32 v17, v12, s41
	s_add_u32 s36, s36, -8
	v_add3_u32 v3, v19, v17, v3
	v_sub_co_u32_e32 v8, vcc, v8, v18
	s_addc_u32 s37, s37, -1
	v_subb_co_u32_e32 v3, vcc, v9, v3, vcc
	s_add_u32 s34, s34, -1
	s_waitcnt lgkmcnt(0)
	v_mul_lo_u32 v3, s0, v3
	v_mul_lo_u32 v9, s1, v8
	v_mad_u64_u32 v[10:11], s[0:1], s0, v8, v[10:11]
	s_addc_u32 s35, s35, -1
	v_cmp_lt_i64_e64 s[0:1], s[34:35], 1
	v_add3_u32 v11, v9, v11, v3
	s_and_b64 vcc, exec, s[0:1]
	v_pk_mov_b32 v[8:9], v[12:13], v[12:13] op_sel:[0,1]
	s_cbranch_vccnz .LBB50_13
.LBB50_25:                              ;   Parent Loop BB50_3 Depth=1
                                        ; =>  This Inner Loop Header: Depth=2
	s_load_dwordx2 s[40:41], s[36:37], 0x0
                                        ; implicit-def: $vgpr12_vgpr13
	s_waitcnt lgkmcnt(0)
	v_or_b32_e32 v3, s41, v9
	v_cmp_ne_u64_e32 vcc, 0, v[2:3]
	s_and_saveexec_b64 s[0:1], vcc
	s_xor_b64 s[42:43], exec, s[0:1]
	s_cbranch_execz .LBB50_27
; %bb.26:                               ;   in Loop: Header=BB50_25 Depth=2
	s_ashr_i32 s44, s41, 31
	s_add_u32 s0, s40, s44
	s_mov_b32 s45, s44
	s_addc_u32 s1, s41, s44
	s_xor_b64 s[46:47], s[0:1], s[44:45]
	v_cvt_f32_u32_e32 v3, s46
	v_cvt_f32_u32_e32 v12, s47
	s_sub_u32 s0, 0, s46
	s_subb_u32 s1, 0, s47
	v_mac_f32_e32 v3, 0x4f800000, v12
	v_rcp_f32_e32 v3, v3
	v_mul_f32_e32 v3, 0x5f7ffffc, v3
	v_mul_f32_e32 v12, 0x2f800000, v3
	v_trunc_f32_e32 v12, v12
	v_mac_f32_e32 v3, 0xcf800000, v12
	v_cvt_u32_f32_e32 v12, v12
	v_cvt_u32_f32_e32 v3, v3
	v_mul_lo_u32 v13, s0, v12
	v_mul_hi_u32 v18, s0, v3
	v_mul_lo_u32 v17, s1, v3
	v_add_u32_e32 v13, v18, v13
	v_mul_lo_u32 v19, s0, v3
	v_add_u32_e32 v13, v13, v17
	v_mul_lo_u32 v18, v3, v13
	v_mul_hi_u32 v20, v3, v19
	v_mul_hi_u32 v17, v3, v13
	v_add_co_u32_e32 v18, vcc, v20, v18
	v_addc_co_u32_e32 v17, vcc, 0, v17, vcc
	v_mul_hi_u32 v21, v12, v19
	v_mul_lo_u32 v19, v12, v19
	v_add_co_u32_e32 v18, vcc, v18, v19
	v_mul_hi_u32 v20, v12, v13
	v_addc_co_u32_e32 v17, vcc, v17, v21, vcc
	v_addc_co_u32_e32 v18, vcc, 0, v20, vcc
	v_mul_lo_u32 v13, v12, v13
	v_add_co_u32_e32 v13, vcc, v17, v13
	v_addc_co_u32_e32 v17, vcc, 0, v18, vcc
	v_add_co_u32_e32 v3, vcc, v3, v13
	v_addc_co_u32_e32 v12, vcc, v12, v17, vcc
	v_mul_lo_u32 v13, s0, v12
	v_mul_hi_u32 v17, s0, v3
	v_add_u32_e32 v13, v17, v13
	v_mul_lo_u32 v17, s1, v3
	v_add_u32_e32 v13, v13, v17
	v_mul_lo_u32 v18, s0, v3
	v_mul_hi_u32 v19, v12, v18
	v_mul_lo_u32 v20, v12, v18
	v_mul_lo_u32 v22, v3, v13
	v_mul_hi_u32 v18, v3, v18
	v_mul_hi_u32 v21, v3, v13
	v_add_co_u32_e32 v18, vcc, v18, v22
	v_addc_co_u32_e32 v21, vcc, 0, v21, vcc
	v_add_co_u32_e32 v18, vcc, v18, v20
	v_mul_hi_u32 v17, v12, v13
	v_addc_co_u32_e32 v18, vcc, v21, v19, vcc
	v_addc_co_u32_e32 v17, vcc, 0, v17, vcc
	v_mul_lo_u32 v13, v12, v13
	v_add_co_u32_e32 v13, vcc, v18, v13
	v_addc_co_u32_e32 v17, vcc, 0, v17, vcc
	v_add_co_u32_e32 v3, vcc, v3, v13
	v_addc_co_u32_e32 v17, vcc, v12, v17, vcc
	v_ashrrev_i32_e32 v20, 31, v9
	v_add_co_u32_e32 v12, vcc, v8, v20
	v_addc_co_u32_e32 v13, vcc, v9, v20, vcc
	v_xor_b32_e32 v22, v12, v20
	v_xor_b32_e32 v21, v13, v20
	v_mad_u64_u32 v[12:13], s[0:1], v22, v17, 0
	v_mul_hi_u32 v18, v22, v3
	v_add_co_u32_e32 v23, vcc, v18, v12
	v_addc_co_u32_e32 v24, vcc, 0, v13, vcc
	v_mad_u64_u32 v[18:19], s[0:1], v21, v3, 0
	v_add_co_u32_e32 v3, vcc, v23, v18
	v_mad_u64_u32 v[12:13], s[0:1], v21, v17, 0
	v_addc_co_u32_e32 v3, vcc, v24, v19, vcc
	v_addc_co_u32_e32 v13, vcc, 0, v13, vcc
	v_add_co_u32_e32 v3, vcc, v3, v12
	v_addc_co_u32_e32 v17, vcc, 0, v13, vcc
	v_mul_lo_u32 v18, s47, v3
	v_mul_lo_u32 v19, s46, v17
	v_mad_u64_u32 v[12:13], s[0:1], s46, v3, 0
	v_add3_u32 v13, v13, v19, v18
	v_sub_u32_e32 v18, v21, v13
	v_mov_b32_e32 v19, s47
	v_sub_co_u32_e32 v12, vcc, v22, v12
	v_subb_co_u32_e64 v18, s[0:1], v18, v19, vcc
	v_subrev_co_u32_e64 v19, s[0:1], s46, v12
	v_subbrev_co_u32_e64 v18, s[0:1], 0, v18, s[0:1]
	v_cmp_le_u32_e64 s[0:1], s47, v18
	v_cndmask_b32_e64 v22, 0, -1, s[0:1]
	v_cmp_le_u32_e64 s[0:1], s46, v19
	v_cndmask_b32_e64 v19, 0, -1, s[0:1]
	v_cmp_eq_u32_e64 s[0:1], s47, v18
	v_cndmask_b32_e64 v18, v22, v19, s[0:1]
	v_add_co_u32_e64 v19, s[0:1], 2, v3
	v_subb_co_u32_e32 v13, vcc, v21, v13, vcc
	v_addc_co_u32_e64 v22, s[0:1], 0, v17, s[0:1]
	v_cmp_le_u32_e32 vcc, s47, v13
	v_add_co_u32_e64 v23, s[0:1], 1, v3
	v_cndmask_b32_e64 v21, 0, -1, vcc
	v_cmp_le_u32_e32 vcc, s46, v12
	v_addc_co_u32_e64 v24, s[0:1], 0, v17, s[0:1]
	v_cndmask_b32_e64 v12, 0, -1, vcc
	v_cmp_eq_u32_e32 vcc, s47, v13
	v_cmp_ne_u32_e64 s[0:1], 0, v18
	v_cndmask_b32_e32 v12, v21, v12, vcc
	v_cmp_ne_u32_e32 vcc, 0, v12
	v_cndmask_b32_e64 v13, v23, v19, s[0:1]
	v_cndmask_b32_e64 v18, v24, v22, s[0:1]
	v_cndmask_b32_e32 v3, v3, v13, vcc
	v_xor_b32_e32 v13, s44, v20
	v_cndmask_b32_e32 v12, v17, v18, vcc
	v_xor_b32_e32 v3, v3, v13
	v_xor_b32_e32 v17, v12, v13
	v_sub_co_u32_e32 v12, vcc, v3, v13
	v_subb_co_u32_e32 v13, vcc, v17, v13, vcc
.LBB50_27:                              ;   in Loop: Header=BB50_25 Depth=2
	s_andn2_saveexec_b64 s[0:1], s[42:43]
	s_cbranch_execz .LBB50_24
; %bb.28:                               ;   in Loop: Header=BB50_25 Depth=2
	v_cvt_f32_u32_e32 v3, s40
	s_sub_i32 s42, 0, s40
	v_rcp_iflag_f32_e32 v3, v3
	v_mul_f32_e32 v3, 0x4f7ffffe, v3
	v_cvt_u32_f32_e32 v3, v3
	v_mul_lo_u32 v12, s42, v3
	v_mul_hi_u32 v12, v3, v12
	v_add_u32_e32 v3, v3, v12
	v_mul_hi_u32 v3, v8, v3
	v_mul_lo_u32 v12, v3, s40
	v_sub_u32_e32 v12, v8, v12
	v_add_u32_e32 v13, 1, v3
	v_subrev_u32_e32 v17, s40, v12
	v_cmp_le_u32_e32 vcc, s40, v12
	v_cndmask_b32_e32 v12, v12, v17, vcc
	v_cndmask_b32_e32 v3, v3, v13, vcc
	v_add_u32_e32 v13, 1, v3
	v_cmp_le_u32_e32 vcc, s40, v12
	v_cndmask_b32_e32 v12, v3, v13, vcc
	v_mov_b32_e32 v13, v2
	s_branch .LBB50_24
.LBB50_29:
	s_endpgm
	.section	.rodata,"a",@progbits
	.p2align	6, 0x0
	.amdhsa_kernel _ZN2at6native16triu_tril_kernelIblLb0ELi4ELb1EEEvNS_4cuda6detail10TensorInfoIT_T0_EENS4_IKS5_S6_EEllS6_
		.amdhsa_group_segment_fixed_size 0
		.amdhsa_private_segment_fixed_size 0
		.amdhsa_kernarg_size 1112
		.amdhsa_user_sgpr_count 6
		.amdhsa_user_sgpr_private_segment_buffer 1
		.amdhsa_user_sgpr_dispatch_ptr 0
		.amdhsa_user_sgpr_queue_ptr 0
		.amdhsa_user_sgpr_kernarg_segment_ptr 1
		.amdhsa_user_sgpr_dispatch_id 0
		.amdhsa_user_sgpr_flat_scratch_init 0
		.amdhsa_user_sgpr_kernarg_preload_length 0
		.amdhsa_user_sgpr_kernarg_preload_offset 0
		.amdhsa_user_sgpr_private_segment_size 0
		.amdhsa_uses_dynamic_stack 0
		.amdhsa_system_sgpr_private_segment_wavefront_offset 0
		.amdhsa_system_sgpr_workgroup_id_x 1
		.amdhsa_system_sgpr_workgroup_id_y 0
		.amdhsa_system_sgpr_workgroup_id_z 0
		.amdhsa_system_sgpr_workgroup_info 0
		.amdhsa_system_vgpr_workitem_id 0
		.amdhsa_next_free_vgpr 25
		.amdhsa_next_free_sgpr 49
		.amdhsa_accum_offset 28
		.amdhsa_reserve_vcc 1
		.amdhsa_reserve_flat_scratch 0
		.amdhsa_float_round_mode_32 0
		.amdhsa_float_round_mode_16_64 0
		.amdhsa_float_denorm_mode_32 3
		.amdhsa_float_denorm_mode_16_64 3
		.amdhsa_dx10_clamp 1
		.amdhsa_ieee_mode 1
		.amdhsa_fp16_overflow 0
		.amdhsa_tg_split 0
		.amdhsa_exception_fp_ieee_invalid_op 0
		.amdhsa_exception_fp_denorm_src 0
		.amdhsa_exception_fp_ieee_div_zero 0
		.amdhsa_exception_fp_ieee_overflow 0
		.amdhsa_exception_fp_ieee_underflow 0
		.amdhsa_exception_fp_ieee_inexact 0
		.amdhsa_exception_int_div_zero 0
	.end_amdhsa_kernel
	.section	.text._ZN2at6native16triu_tril_kernelIblLb0ELi4ELb1EEEvNS_4cuda6detail10TensorInfoIT_T0_EENS4_IKS5_S6_EEllS6_,"axG",@progbits,_ZN2at6native16triu_tril_kernelIblLb0ELi4ELb1EEEvNS_4cuda6detail10TensorInfoIT_T0_EENS4_IKS5_S6_EEllS6_,comdat
.Lfunc_end50:
	.size	_ZN2at6native16triu_tril_kernelIblLb0ELi4ELb1EEEvNS_4cuda6detail10TensorInfoIT_T0_EENS4_IKS5_S6_EEllS6_, .Lfunc_end50-_ZN2at6native16triu_tril_kernelIblLb0ELi4ELb1EEEvNS_4cuda6detail10TensorInfoIT_T0_EENS4_IKS5_S6_EEllS6_
                                        ; -- End function
	.section	.AMDGPU.csdata,"",@progbits
; Kernel info:
; codeLenInByte = 3344
; NumSgprs: 53
; NumVgprs: 25
; NumAgprs: 0
; TotalNumVgprs: 25
; ScratchSize: 0
; MemoryBound: 0
; FloatMode: 240
; IeeeMode: 1
; LDSByteSize: 0 bytes/workgroup (compile time only)
; SGPRBlocks: 6
; VGPRBlocks: 3
; NumSGPRsForWavesPerEU: 53
; NumVGPRsForWavesPerEU: 25
; AccumOffset: 28
; Occupancy: 8
; WaveLimiterHint : 0
; COMPUTE_PGM_RSRC2:SCRATCH_EN: 0
; COMPUTE_PGM_RSRC2:USER_SGPR: 6
; COMPUTE_PGM_RSRC2:TRAP_HANDLER: 0
; COMPUTE_PGM_RSRC2:TGID_X_EN: 1
; COMPUTE_PGM_RSRC2:TGID_Y_EN: 0
; COMPUTE_PGM_RSRC2:TGID_Z_EN: 0
; COMPUTE_PGM_RSRC2:TIDIG_COMP_CNT: 0
; COMPUTE_PGM_RSRC3_GFX90A:ACCUM_OFFSET: 6
; COMPUTE_PGM_RSRC3_GFX90A:TG_SPLIT: 0
	.section	.text._ZN2at6native16triu_tril_kernelIblLb0ELi4ELb0EEEvNS_4cuda6detail10TensorInfoIT_T0_EENS4_IKS5_S6_EEllS6_,"axG",@progbits,_ZN2at6native16triu_tril_kernelIblLb0ELi4ELb0EEEvNS_4cuda6detail10TensorInfoIT_T0_EENS4_IKS5_S6_EEllS6_,comdat
	.protected	_ZN2at6native16triu_tril_kernelIblLb0ELi4ELb0EEEvNS_4cuda6detail10TensorInfoIT_T0_EENS4_IKS5_S6_EEllS6_ ; -- Begin function _ZN2at6native16triu_tril_kernelIblLb0ELi4ELb0EEEvNS_4cuda6detail10TensorInfoIT_T0_EENS4_IKS5_S6_EEllS6_
	.globl	_ZN2at6native16triu_tril_kernelIblLb0ELi4ELb0EEEvNS_4cuda6detail10TensorInfoIT_T0_EENS4_IKS5_S6_EEllS6_
	.p2align	8
	.type	_ZN2at6native16triu_tril_kernelIblLb0ELi4ELb0EEEvNS_4cuda6detail10TensorInfoIT_T0_EENS4_IKS5_S6_EEllS6_,@function
_ZN2at6native16triu_tril_kernelIblLb0ELi4ELb0EEEvNS_4cuda6detail10TensorInfoIT_T0_EENS4_IKS5_S6_EEllS6_: ; @_ZN2at6native16triu_tril_kernelIblLb0ELi4ELb0EEEvNS_4cuda6detail10TensorInfoIT_T0_EENS4_IKS5_S6_EEllS6_
; %bb.0:
	s_load_dword s2, s[4:5], 0x364
	s_load_dwordx4 s[8:11], s[4:5], 0x340
	s_add_u32 s0, s4, 0x358
	v_mov_b32_e32 v2, 0
	s_addc_u32 s1, s5, 0
	s_waitcnt lgkmcnt(0)
	s_and_b32 s2, s2, 0xffff
	v_mov_b32_e32 v1, v2
	v_mov_b32_e32 v3, s6
	v_mad_u64_u32 v[0:1], s[6:7], s2, v3, v[0:1]
	v_lshlrev_b64 v[0:1], 2, v[0:1]
	s_mov_b32 s33, 0xffff
	v_cmp_gt_i64_e32 vcc, s[10:11], v[0:1]
	s_and_saveexec_b64 s[6:7], vcc
	s_cbranch_execz .LBB51_32
; %bb.1:
	s_load_dword s3, s[0:1], 0x0
	s_load_dwordx2 s[6:7], s[4:5], 0x350
	s_load_dword s28, s[4:5], 0x338
	s_add_u32 s12, s4, 0x1a0
	s_addc_u32 s13, s5, 0
	s_waitcnt lgkmcnt(0)
	s_mul_i32 s30, s3, s2
	v_cvt_f32_u32_e32 v3, s6
	s_ashr_i32 s29, s28, 31
	s_add_u32 s34, s4, 0x1a8
	s_addc_u32 s35, s5, 0
	s_lshl_b64 s[0:1], s[28:29], 3
	s_add_u32 s20, s0, -16
	s_addc_u32 s21, s1, -1
	s_add_u32 s0, s34, s20
	s_addc_u32 s1, s35, s21
	s_add_u32 s2, s12, s20
	s_addc_u32 s3, s13, s21
	;; [unrolled: 2-line block ×3, first 2 shown]
	s_load_dwordx4 s[12:15], s[0:1], 0x0
	s_load_dwordx4 s[16:19], s[2:3], 0xd0
	s_add_u32 s0, s31, s20
	s_addc_u32 s1, s36, s21
	s_load_dwordx2 s[24:25], s[4:5], 0x1a0
	s_load_dwordx4 s[20:23], s[0:1], 0x0
	s_add_i32 s0, s28, -3
	v_rcp_iflag_f32_e32 v3, v3
	s_ashr_i32 s1, s0, 31
	s_lshl_b32 s50, s30, 2
	s_lshl_b64 s[2:3], s[0:1], 3
	s_add_u32 s30, s31, s2
	v_cmp_gt_i64_e64 s[26:27], s[28:29], 2
	s_load_dwordx2 s[28:29], s[4:5], 0x0
	s_addc_u32 s31, s36, s3
	v_mul_f32_e32 v3, 0x4f7ffffe, v3
	s_add_u32 s34, s34, s2
	v_cvt_u32_f32_e32 v14, v3
	s_addc_u32 s35, s35, s3
	s_add_u32 s36, s0, 1
	s_mov_b32 s51, 0
	s_addc_u32 s37, s1, 0
	s_mov_b64 s[38:39], 0
	v_mov_b32_e32 v15, 1
	s_branch .LBB51_3
.LBB51_2:                               ;   in Loop: Header=BB51_3 Depth=1
	s_or_b64 exec, exec, s[0:1]
	v_mov_b32_e32 v3, s51
	v_add_co_u32_e32 v0, vcc, s50, v0
	v_addc_co_u32_e32 v1, vcc, v1, v3, vcc
	v_cmp_le_i64_e32 vcc, s[10:11], v[0:1]
	s_or_b64 s[38:39], vcc, s[38:39]
	s_andn2_b64 exec, exec, s[38:39]
	s_cbranch_execz .LBB51_32
.LBB51_3:                               ; =>This Loop Header: Depth=1
                                        ;     Child Loop BB51_28 Depth 2
	v_or_b32_e32 v3, s7, v1
	v_cmp_ne_u64_e32 vcc, 0, v[2:3]
                                        ; implicit-def: $vgpr6_vgpr7
	s_and_saveexec_b64 s[0:1], vcc
	s_xor_b64 s[2:3], exec, s[0:1]
	s_cbranch_execz .LBB51_5
; %bb.4:                                ;   in Loop: Header=BB51_3 Depth=1
	s_ashr_i32 s4, s7, 31
	s_add_u32 s0, s6, s4
	s_mov_b32 s5, s4
	s_addc_u32 s1, s7, s4
	s_xor_b64 s[40:41], s[0:1], s[4:5]
	v_cvt_f32_u32_e32 v3, s40
	v_cvt_f32_u32_e32 v4, s41
	s_sub_u32 s0, 0, s40
	s_subb_u32 s1, 0, s41
	v_mac_f32_e32 v3, 0x4f800000, v4
	v_rcp_f32_e32 v3, v3
	v_mul_f32_e32 v3, 0x5f7ffffc, v3
	v_mul_f32_e32 v4, 0x2f800000, v3
	v_trunc_f32_e32 v4, v4
	v_mac_f32_e32 v3, 0xcf800000, v4
	v_cvt_u32_f32_e32 v4, v4
	v_cvt_u32_f32_e32 v3, v3
	v_mul_lo_u32 v5, s0, v4
	v_mul_hi_u32 v7, s0, v3
	v_mul_lo_u32 v6, s1, v3
	v_add_u32_e32 v5, v7, v5
	v_mul_lo_u32 v8, s0, v3
	v_add_u32_e32 v5, v5, v6
	v_mul_lo_u32 v7, v3, v5
	v_mul_hi_u32 v9, v3, v8
	v_mul_hi_u32 v6, v3, v5
	v_add_co_u32_e32 v7, vcc, v9, v7
	v_addc_co_u32_e32 v6, vcc, 0, v6, vcc
	v_mul_hi_u32 v10, v4, v8
	v_mul_lo_u32 v8, v4, v8
	v_add_co_u32_e32 v7, vcc, v7, v8
	v_mul_hi_u32 v9, v4, v5
	v_addc_co_u32_e32 v6, vcc, v6, v10, vcc
	v_addc_co_u32_e32 v7, vcc, 0, v9, vcc
	v_mul_lo_u32 v5, v4, v5
	v_add_co_u32_e32 v5, vcc, v6, v5
	v_addc_co_u32_e32 v6, vcc, 0, v7, vcc
	v_add_co_u32_e32 v3, vcc, v3, v5
	v_addc_co_u32_e32 v4, vcc, v4, v6, vcc
	v_mul_lo_u32 v5, s0, v4
	v_mul_hi_u32 v6, s0, v3
	v_add_u32_e32 v5, v6, v5
	v_mul_lo_u32 v6, s1, v3
	v_add_u32_e32 v5, v5, v6
	v_mul_lo_u32 v7, s0, v3
	v_mul_hi_u32 v8, v4, v7
	v_mul_lo_u32 v9, v4, v7
	v_mul_lo_u32 v11, v3, v5
	v_mul_hi_u32 v7, v3, v7
	v_mul_hi_u32 v10, v3, v5
	v_add_co_u32_e32 v7, vcc, v7, v11
	v_addc_co_u32_e32 v10, vcc, 0, v10, vcc
	v_add_co_u32_e32 v7, vcc, v7, v9
	v_mul_hi_u32 v6, v4, v5
	v_addc_co_u32_e32 v7, vcc, v10, v8, vcc
	v_addc_co_u32_e32 v6, vcc, 0, v6, vcc
	v_mul_lo_u32 v5, v4, v5
	v_add_co_u32_e32 v5, vcc, v7, v5
	v_addc_co_u32_e32 v6, vcc, 0, v6, vcc
	v_add_co_u32_e32 v3, vcc, v3, v5
	v_addc_co_u32_e32 v6, vcc, v4, v6, vcc
	v_ashrrev_i32_e32 v8, 31, v1
	v_add_co_u32_e32 v4, vcc, v0, v8
	v_addc_co_u32_e32 v5, vcc, v1, v8, vcc
	v_xor_b32_e32 v10, v4, v8
	v_xor_b32_e32 v9, v5, v8
	v_mad_u64_u32 v[4:5], s[0:1], v10, v6, 0
	v_mul_hi_u32 v7, v10, v3
	v_add_co_u32_e32 v11, vcc, v7, v4
	v_addc_co_u32_e32 v12, vcc, 0, v5, vcc
	v_mad_u64_u32 v[4:5], s[0:1], v9, v6, 0
	v_mad_u64_u32 v[6:7], s[0:1], v9, v3, 0
	v_add_co_u32_e32 v3, vcc, v11, v6
	v_addc_co_u32_e32 v3, vcc, v12, v7, vcc
	v_addc_co_u32_e32 v5, vcc, 0, v5, vcc
	v_add_co_u32_e32 v3, vcc, v3, v4
	v_addc_co_u32_e32 v6, vcc, 0, v5, vcc
	v_mul_lo_u32 v7, s41, v3
	v_mul_lo_u32 v11, s40, v6
	v_mad_u64_u32 v[4:5], s[0:1], s40, v3, 0
	v_add3_u32 v5, v5, v11, v7
	v_sub_u32_e32 v7, v9, v5
	v_mov_b32_e32 v11, s41
	v_sub_co_u32_e32 v4, vcc, v10, v4
	v_subb_co_u32_e64 v7, s[0:1], v7, v11, vcc
	v_subrev_co_u32_e64 v10, s[0:1], s40, v4
	v_subbrev_co_u32_e64 v7, s[0:1], 0, v7, s[0:1]
	v_cmp_le_u32_e64 s[0:1], s41, v7
	v_cndmask_b32_e64 v11, 0, -1, s[0:1]
	v_cmp_le_u32_e64 s[0:1], s40, v10
	v_cndmask_b32_e64 v10, 0, -1, s[0:1]
	v_cmp_eq_u32_e64 s[0:1], s41, v7
	v_cndmask_b32_e64 v7, v11, v10, s[0:1]
	v_add_co_u32_e64 v10, s[0:1], 2, v3
	v_subb_co_u32_e32 v5, vcc, v9, v5, vcc
	v_addc_co_u32_e64 v11, s[0:1], 0, v6, s[0:1]
	v_cmp_le_u32_e32 vcc, s41, v5
	v_add_co_u32_e64 v12, s[0:1], 1, v3
	v_cndmask_b32_e64 v9, 0, -1, vcc
	v_cmp_le_u32_e32 vcc, s40, v4
	v_addc_co_u32_e64 v13, s[0:1], 0, v6, s[0:1]
	v_cndmask_b32_e64 v4, 0, -1, vcc
	v_cmp_eq_u32_e32 vcc, s41, v5
	v_cmp_ne_u32_e64 s[0:1], 0, v7
	v_cndmask_b32_e32 v4, v9, v4, vcc
	v_cmp_ne_u32_e32 vcc, 0, v4
	v_cndmask_b32_e64 v5, v12, v10, s[0:1]
	v_cndmask_b32_e64 v7, v13, v11, s[0:1]
	v_cndmask_b32_e32 v3, v3, v5, vcc
	v_xor_b32_e32 v5, s4, v8
	v_cndmask_b32_e32 v4, v6, v7, vcc
	v_xor_b32_e32 v3, v3, v5
	v_xor_b32_e32 v4, v4, v5
	v_sub_co_u32_e32 v6, vcc, v3, v5
	v_subb_co_u32_e32 v7, vcc, v4, v5, vcc
.LBB51_5:                               ;   in Loop: Header=BB51_3 Depth=1
	s_andn2_saveexec_b64 s[0:1], s[2:3]
	s_cbranch_execz .LBB51_7
; %bb.6:                                ;   in Loop: Header=BB51_3 Depth=1
	s_sub_i32 s2, 0, s6
	v_mul_lo_u32 v3, s2, v14
	v_mul_hi_u32 v3, v14, v3
	v_add_u32_e32 v3, v14, v3
	v_mul_hi_u32 v3, v0, v3
	v_mul_lo_u32 v4, v3, s6
	v_sub_u32_e32 v4, v0, v4
	v_subrev_u32_e32 v5, s6, v4
	v_cmp_le_u32_e32 vcc, s6, v4
	v_cndmask_b32_e32 v4, v4, v5, vcc
	v_add_u32_e32 v5, 1, v3
	v_cndmask_b32_e32 v3, v3, v5, vcc
	v_add_u32_e32 v5, 1, v3
	v_cmp_le_u32_e32 vcc, s6, v4
	v_cndmask_b32_e32 v6, v3, v5, vcc
	v_mov_b32_e32 v7, v2
.LBB51_7:                               ;   in Loop: Header=BB51_3 Depth=1
	s_or_b64 exec, exec, s[0:1]
	s_waitcnt lgkmcnt(0)
	v_or_b32_e32 v3, s13, v7
	v_cmp_ne_u64_e32 vcc, 0, v[2:3]
                                        ; implicit-def: $vgpr10_vgpr11
	s_and_saveexec_b64 s[0:1], vcc
	s_xor_b64 s[2:3], exec, s[0:1]
	s_cbranch_execz .LBB51_9
; %bb.8:                                ;   in Loop: Header=BB51_3 Depth=1
	s_ashr_i32 s4, s13, 31
	s_add_u32 s0, s12, s4
	s_mov_b32 s5, s4
	s_addc_u32 s1, s13, s4
	s_xor_b64 s[40:41], s[0:1], s[4:5]
	v_cvt_f32_u32_e32 v3, s40
	v_cvt_f32_u32_e32 v4, s41
	s_sub_u32 s0, 0, s40
	s_subb_u32 s1, 0, s41
	v_mac_f32_e32 v3, 0x4f800000, v4
	v_rcp_f32_e32 v3, v3
	v_mul_f32_e32 v3, 0x5f7ffffc, v3
	v_mul_f32_e32 v4, 0x2f800000, v3
	v_trunc_f32_e32 v4, v4
	v_mac_f32_e32 v3, 0xcf800000, v4
	v_cvt_u32_f32_e32 v4, v4
	v_cvt_u32_f32_e32 v3, v3
	v_mul_lo_u32 v5, s0, v4
	v_mul_hi_u32 v9, s0, v3
	v_mul_lo_u32 v8, s1, v3
	v_add_u32_e32 v5, v9, v5
	v_mul_lo_u32 v10, s0, v3
	v_add_u32_e32 v5, v5, v8
	v_mul_lo_u32 v9, v3, v5
	v_mul_hi_u32 v11, v3, v10
	v_mul_hi_u32 v8, v3, v5
	v_add_co_u32_e32 v9, vcc, v11, v9
	v_addc_co_u32_e32 v8, vcc, 0, v8, vcc
	v_mul_hi_u32 v12, v4, v10
	v_mul_lo_u32 v10, v4, v10
	v_add_co_u32_e32 v9, vcc, v9, v10
	v_mul_hi_u32 v11, v4, v5
	v_addc_co_u32_e32 v8, vcc, v8, v12, vcc
	v_addc_co_u32_e32 v9, vcc, 0, v11, vcc
	v_mul_lo_u32 v5, v4, v5
	v_add_co_u32_e32 v5, vcc, v8, v5
	v_addc_co_u32_e32 v8, vcc, 0, v9, vcc
	v_add_co_u32_e32 v3, vcc, v3, v5
	v_addc_co_u32_e32 v4, vcc, v4, v8, vcc
	v_mul_lo_u32 v5, s0, v4
	v_mul_hi_u32 v8, s0, v3
	v_add_u32_e32 v5, v8, v5
	v_mul_lo_u32 v8, s1, v3
	v_add_u32_e32 v5, v5, v8
	v_mul_lo_u32 v9, s0, v3
	v_mul_hi_u32 v10, v4, v9
	v_mul_lo_u32 v11, v4, v9
	v_mul_lo_u32 v13, v3, v5
	v_mul_hi_u32 v9, v3, v9
	v_mul_hi_u32 v12, v3, v5
	v_add_co_u32_e32 v9, vcc, v9, v13
	v_addc_co_u32_e32 v12, vcc, 0, v12, vcc
	v_add_co_u32_e32 v9, vcc, v9, v11
	v_mul_hi_u32 v8, v4, v5
	v_addc_co_u32_e32 v9, vcc, v12, v10, vcc
	v_addc_co_u32_e32 v8, vcc, 0, v8, vcc
	v_mul_lo_u32 v5, v4, v5
	v_add_co_u32_e32 v5, vcc, v9, v5
	v_addc_co_u32_e32 v8, vcc, 0, v8, vcc
	v_add_co_u32_e32 v3, vcc, v3, v5
	v_addc_co_u32_e32 v8, vcc, v4, v8, vcc
	v_ashrrev_i32_e32 v10, 31, v7
	v_add_co_u32_e32 v4, vcc, v6, v10
	v_addc_co_u32_e32 v5, vcc, v7, v10, vcc
	v_xor_b32_e32 v12, v4, v10
	v_xor_b32_e32 v11, v5, v10
	v_mad_u64_u32 v[4:5], s[0:1], v12, v8, 0
	v_mul_hi_u32 v9, v12, v3
	v_add_co_u32_e32 v13, vcc, v9, v4
	v_addc_co_u32_e32 v16, vcc, 0, v5, vcc
	v_mad_u64_u32 v[4:5], s[0:1], v11, v8, 0
	v_mad_u64_u32 v[8:9], s[0:1], v11, v3, 0
	v_add_co_u32_e32 v3, vcc, v13, v8
	v_addc_co_u32_e32 v3, vcc, v16, v9, vcc
	v_addc_co_u32_e32 v5, vcc, 0, v5, vcc
	v_add_co_u32_e32 v3, vcc, v3, v4
	v_addc_co_u32_e32 v8, vcc, 0, v5, vcc
	v_mul_lo_u32 v9, s41, v3
	v_mul_lo_u32 v13, s40, v8
	v_mad_u64_u32 v[4:5], s[0:1], s40, v3, 0
	v_add3_u32 v5, v5, v13, v9
	v_sub_u32_e32 v9, v11, v5
	v_mov_b32_e32 v13, s41
	v_sub_co_u32_e32 v4, vcc, v12, v4
	v_subb_co_u32_e64 v9, s[0:1], v9, v13, vcc
	v_subrev_co_u32_e64 v12, s[0:1], s40, v4
	v_subbrev_co_u32_e64 v9, s[0:1], 0, v9, s[0:1]
	v_cmp_le_u32_e64 s[0:1], s41, v9
	v_cndmask_b32_e64 v13, 0, -1, s[0:1]
	v_cmp_le_u32_e64 s[0:1], s40, v12
	v_cndmask_b32_e64 v12, 0, -1, s[0:1]
	v_cmp_eq_u32_e64 s[0:1], s41, v9
	v_cndmask_b32_e64 v9, v13, v12, s[0:1]
	v_add_co_u32_e64 v12, s[0:1], 2, v3
	v_subb_co_u32_e32 v5, vcc, v11, v5, vcc
	v_addc_co_u32_e64 v13, s[0:1], 0, v8, s[0:1]
	v_cmp_le_u32_e32 vcc, s41, v5
	v_add_co_u32_e64 v16, s[0:1], 1, v3
	v_cndmask_b32_e64 v11, 0, -1, vcc
	v_cmp_le_u32_e32 vcc, s40, v4
	v_addc_co_u32_e64 v17, s[0:1], 0, v8, s[0:1]
	v_cndmask_b32_e64 v4, 0, -1, vcc
	v_cmp_eq_u32_e32 vcc, s41, v5
	v_cmp_ne_u32_e64 s[0:1], 0, v9
	v_cndmask_b32_e32 v4, v11, v4, vcc
	v_cmp_ne_u32_e32 vcc, 0, v4
	v_cndmask_b32_e64 v5, v16, v12, s[0:1]
	v_cndmask_b32_e64 v9, v17, v13, s[0:1]
	v_cndmask_b32_e32 v3, v3, v5, vcc
	v_xor_b32_e32 v5, s4, v10
	v_cndmask_b32_e32 v4, v8, v9, vcc
	v_xor_b32_e32 v3, v3, v5
	v_xor_b32_e32 v4, v4, v5
	v_sub_co_u32_e32 v10, vcc, v3, v5
	v_subb_co_u32_e32 v11, vcc, v4, v5, vcc
.LBB51_9:                               ;   in Loop: Header=BB51_3 Depth=1
	s_andn2_saveexec_b64 s[0:1], s[2:3]
	s_cbranch_execz .LBB51_11
; %bb.10:                               ;   in Loop: Header=BB51_3 Depth=1
	v_cvt_f32_u32_e32 v3, s12
	s_sub_i32 s2, 0, s12
	v_mov_b32_e32 v11, v2
	v_rcp_iflag_f32_e32 v3, v3
	v_mul_f32_e32 v3, 0x4f7ffffe, v3
	v_cvt_u32_f32_e32 v3, v3
	v_mul_lo_u32 v4, s2, v3
	v_mul_hi_u32 v4, v3, v4
	v_add_u32_e32 v3, v3, v4
	v_mul_hi_u32 v3, v6, v3
	v_mul_lo_u32 v4, v3, s12
	v_sub_u32_e32 v4, v6, v4
	v_add_u32_e32 v5, 1, v3
	v_subrev_u32_e32 v8, s12, v4
	v_cmp_le_u32_e32 vcc, s12, v4
	v_cndmask_b32_e32 v4, v4, v8, vcc
	v_cndmask_b32_e32 v3, v3, v5, vcc
	v_add_u32_e32 v5, 1, v3
	v_cmp_le_u32_e32 vcc, s12, v4
	v_cndmask_b32_e32 v10, v3, v5, vcc
.LBB51_11:                              ;   in Loop: Header=BB51_3 Depth=1
	s_or_b64 exec, exec, s[0:1]
	v_mul_lo_u32 v3, v7, s6
	v_mul_lo_u32 v8, v6, s7
	v_mad_u64_u32 v[4:5], s[0:1], v6, s6, 0
	v_add3_u32 v3, v5, v8, v3
	v_sub_co_u32_e32 v4, vcc, v0, v4
	v_subb_co_u32_e32 v5, vcc, v1, v3, vcc
	v_mul_lo_u32 v3, v11, s12
	v_mul_lo_u32 v12, v10, s13
	v_mad_u64_u32 v[8:9], s[0:1], v10, s12, 0
	v_add3_u32 v3, v9, v12, v3
	v_sub_co_u32_e32 v16, vcc, v6, v8
	v_subb_co_u32_e32 v17, vcc, v7, v3, vcc
	v_mul_lo_u32 v3, s19, v4
	v_mul_lo_u32 v8, s18, v5
	v_mad_u64_u32 v[6:7], s[0:1], s18, v4, 0
	v_add3_u32 v7, v7, v8, v3
	v_mul_lo_u32 v3, s23, v4
	v_mul_lo_u32 v8, s22, v5
	v_mad_u64_u32 v[12:13], s[0:1], s22, v4, 0
	v_add3_u32 v13, v13, v8, v3
	v_mad_u64_u32 v[8:9], s[0:1], s16, v16, v[6:7]
	v_mul_lo_u32 v3, s16, v17
	v_mul_lo_u32 v6, s17, v16
	v_add3_u32 v9, v6, v9, v3
	v_mad_u64_u32 v[6:7], s[0:1], s20, v16, v[12:13]
	v_mul_lo_u32 v3, s20, v17
	v_mul_lo_u32 v12, s21, v16
	v_add3_u32 v7, v12, v7, v3
	s_and_b64 vcc, exec, s[26:27]
	s_mov_b64 s[2:3], s[36:37]
	s_mov_b64 s[4:5], s[34:35]
	;; [unrolled: 1-line block ×3, first 2 shown]
	s_cbranch_vccnz .LBB51_28
.LBB51_12:                              ;   in Loop: Header=BB51_3 Depth=1
	v_sub_co_u32_e32 v10, vcc, v4, v16
	v_subb_co_u32_e32 v11, vcc, v5, v17, vcc
	v_cmp_ge_i64_e32 vcc, s[8:9], v[10:11]
	v_mov_b32_e32 v3, 0
	s_and_saveexec_b64 s[40:41], vcc
	s_cbranch_execz .LBB51_22
; %bb.13:                               ;   in Loop: Header=BB51_3 Depth=1
	v_cmp_gt_i64_e32 vcc, s[14:15], v[4:5]
	v_mov_b32_e32 v3, 0
	s_and_saveexec_b64 s[0:1], vcc
	s_cbranch_execz .LBB51_21
; %bb.14:                               ;   in Loop: Header=BB51_3 Depth=1
	v_mov_b32_e32 v3, s25
	v_add_co_u32_e32 v8, vcc, s24, v8
	v_addc_co_u32_e32 v9, vcc, v3, v9, vcc
	global_load_ubyte v3, v[8:9], off
	v_add_co_u32_e32 v12, vcc, 1, v4
	v_addc_co_u32_e32 v13, vcc, 0, v5, vcc
	v_cmp_gt_i64_e32 vcc, s[14:15], v[12:13]
	s_and_saveexec_b64 s[2:3], vcc
	s_xor_b64 s[2:3], exec, s[2:3]
	s_cbranch_execz .LBB51_20
; %bb.15:                               ;   in Loop: Header=BB51_3 Depth=1
	v_mov_b32_e32 v12, s19
	v_add_co_u32_e32 v8, vcc, s18, v8
	v_addc_co_u32_e32 v9, vcc, v9, v12, vcc
	global_load_ubyte v16, v[8:9], off
	v_add_co_u32_e32 v12, vcc, 2, v4
	v_addc_co_u32_e32 v13, vcc, 0, v5, vcc
	v_cmp_gt_i64_e32 vcc, s[14:15], v[12:13]
	s_waitcnt vmcnt(0)
	v_lshlrev_b16_e32 v16, 8, v16
	v_or_b32_e32 v3, v3, v16
	v_and_b32_e32 v3, 0xffff, v3
	s_and_saveexec_b64 s[4:5], vcc
	s_xor_b64 s[4:5], exec, s[4:5]
	s_cbranch_execz .LBB51_19
; %bb.16:                               ;   in Loop: Header=BB51_3 Depth=1
	v_mov_b32_e32 v12, s19
	v_add_co_u32_e32 v8, vcc, s18, v8
	v_addc_co_u32_e32 v9, vcc, v9, v12, vcc
	global_load_ubyte v16, v[8:9], off
	v_add_co_u32_e32 v12, vcc, 3, v4
	v_addc_co_u32_e32 v13, vcc, 0, v5, vcc
	v_cmp_gt_i64_e32 vcc, s[14:15], v[12:13]
	s_waitcnt vmcnt(0)
	v_lshl_or_b32 v3, v16, 16, v3
	s_and_saveexec_b64 s[42:43], vcc
	s_xor_b64 s[42:43], exec, s[42:43]
	s_cbranch_execz .LBB51_18
; %bb.17:                               ;   in Loop: Header=BB51_3 Depth=1
	v_mov_b32_e32 v12, s19
	v_add_co_u32_e32 v8, vcc, s18, v8
	v_addc_co_u32_e32 v9, vcc, v9, v12, vcc
	global_load_ubyte v8, v[8:9], off
	s_waitcnt vmcnt(0)
	v_lshlrev_b16_e32 v8, 8, v8
	v_or_b32_sdwa v8, v3, v8 dst_sel:WORD_1 dst_unused:UNUSED_PAD src0_sel:WORD_1 src1_sel:DWORD
	v_and_or_b32 v3, v3, s33, v8
.LBB51_18:                              ;   in Loop: Header=BB51_3 Depth=1
	s_or_b64 exec, exec, s[42:43]
.LBB51_19:                              ;   in Loop: Header=BB51_3 Depth=1
	s_or_b64 exec, exec, s[4:5]
.LBB51_20:                              ;   in Loop: Header=BB51_3 Depth=1
	s_or_b64 exec, exec, s[2:3]
.LBB51_21:                              ;   in Loop: Header=BB51_3 Depth=1
	s_or_b64 exec, exec, s[0:1]
	s_waitcnt vmcnt(0)
	v_and_b32_sdwa v8, v15, v3 dst_sel:DWORD dst_unused:UNUSED_PAD src0_sel:DWORD src1_sel:BYTE_1
	v_cmp_eq_u32_e32 vcc, 1, v8
	v_and_b32_e32 v8, 0x1000000, v3
	v_cmp_ne_u32_e64 s[0:1], 0, v8
	v_and_b32_e32 v8, 0x10000, v3
	v_cmp_ne_u32_e64 s[2:3], 0, v8
	v_add_co_u32_e64 v8, s[4:5], 1, v10
	v_addc_co_u32_e64 v9, s[4:5], 0, v11, s[4:5]
	v_cmp_ge_i64_e64 s[4:5], s[8:9], v[8:9]
	s_and_b64 s[4:5], s[4:5], vcc
	v_add_co_u32_e32 v8, vcc, 2, v10
	v_addc_co_u32_e32 v9, vcc, 0, v11, vcc
	v_cmp_ge_i64_e32 vcc, s[8:9], v[8:9]
	s_and_b64 s[2:3], vcc, s[2:3]
	v_add_co_u32_e32 v8, vcc, 3, v10
	v_addc_co_u32_e32 v9, vcc, 0, v11, vcc
	v_cmp_ge_i64_e32 vcc, s[8:9], v[8:9]
	s_and_b64 s[0:1], vcc, s[0:1]
	v_cndmask_b32_e64 v12, 0, 1, s[4:5]
	v_cndmask_b32_e64 v8, 0, 1, s[0:1]
	v_and_b32_e32 v3, 1, v3
	v_cndmask_b32_e64 v13, 0, 1, s[2:3]
	v_lshlrev_b16_e32 v9, 8, v12
	v_lshlrev_b16_e32 v8, 8, v8
	v_or_b32_e32 v3, v3, v9
	v_or_b32_sdwa v8, v13, v8 dst_sel:WORD_1 dst_unused:UNUSED_PAD src0_sel:DWORD src1_sel:DWORD
	v_or_b32_sdwa v3, v3, v8 dst_sel:DWORD dst_unused:UNUSED_PAD src0_sel:WORD_0 src1_sel:DWORD
.LBB51_22:                              ;   in Loop: Header=BB51_3 Depth=1
	s_or_b64 exec, exec, s[40:41]
	v_cmp_gt_i64_e32 vcc, s[14:15], v[4:5]
	s_and_saveexec_b64 s[0:1], vcc
	s_cbranch_execz .LBB51_2
; %bb.23:                               ;   in Loop: Header=BB51_3 Depth=1
	v_mov_b32_e32 v8, s29
	v_add_co_u32_e32 v6, vcc, s28, v6
	v_addc_co_u32_e32 v7, vcc, v8, v7, vcc
	v_add_co_u32_e32 v8, vcc, 1, v4
	v_addc_co_u32_e32 v9, vcc, 0, v5, vcc
	v_cmp_gt_i64_e32 vcc, s[14:15], v[8:9]
	global_store_byte v[6:7], v3, off
	s_and_saveexec_b64 s[2:3], vcc
	s_xor_b64 s[2:3], exec, s[2:3]
	s_cbranch_execz .LBB51_2
; %bb.24:                               ;   in Loop: Header=BB51_3 Depth=1
	v_mov_b32_e32 v9, s23
	v_add_co_u32_e32 v6, vcc, s22, v6
	v_lshrrev_b32_e32 v8, 8, v3
	v_addc_co_u32_e32 v7, vcc, v7, v9, vcc
	global_store_byte v[6:7], v8, off
	v_add_co_u32_e32 v8, vcc, 2, v4
	v_addc_co_u32_e32 v9, vcc, 0, v5, vcc
	v_cmp_gt_i64_e32 vcc, s[14:15], v[8:9]
	s_and_saveexec_b64 s[2:3], vcc
	s_xor_b64 s[2:3], exec, s[2:3]
	s_cbranch_execz .LBB51_2
; %bb.25:                               ;   in Loop: Header=BB51_3 Depth=1
	v_mov_b32_e32 v8, s23
	v_add_co_u32_e32 v6, vcc, s22, v6
	v_addc_co_u32_e32 v7, vcc, v7, v8, vcc
	v_add_co_u32_e32 v4, vcc, 3, v4
	v_addc_co_u32_e32 v5, vcc, 0, v5, vcc
	v_cmp_gt_i64_e32 vcc, s[14:15], v[4:5]
	global_store_byte_d16_hi v[6:7], v3, off
	s_and_saveexec_b64 s[2:3], vcc
	s_xor_b64 s[2:3], exec, s[2:3]
	s_cbranch_execz .LBB51_2
; %bb.26:                               ;   in Loop: Header=BB51_3 Depth=1
	v_mov_b32_e32 v5, s23
	v_add_co_u32_e32 v4, vcc, s22, v6
	v_lshrrev_b32_e32 v3, 24, v3
	v_addc_co_u32_e32 v5, vcc, v7, v5, vcc
	global_store_byte v[4:5], v3, off
	s_branch .LBB51_2
.LBB51_27:                              ;   in Loop: Header=BB51_28 Depth=2
	s_or_b64 exec, exec, s[0:1]
	v_mad_u64_u32 v[18:19], s[0:1], v12, s42, 0
	v_mul_lo_u32 v3, v13, s42
	v_mul_lo_u32 v20, v12, s43
	s_load_dwordx2 s[0:1], s[4:5], 0xc8
	s_load_dwordx2 s[42:43], s[40:41], 0x0
	s_add_u32 s40, s40, -8
	s_addc_u32 s41, s41, -1
	s_add_u32 s4, s4, -8
	v_add3_u32 v3, v19, v20, v3
	v_sub_co_u32_e32 v10, vcc, v10, v18
	s_addc_u32 s5, s5, -1
	v_subb_co_u32_e32 v3, vcc, v11, v3, vcc
	s_add_u32 s2, s2, -1
	s_waitcnt lgkmcnt(0)
	v_mul_lo_u32 v11, s0, v3
	v_mul_lo_u32 v18, s1, v10
	v_mad_u64_u32 v[8:9], s[0:1], s0, v10, v[8:9]
	v_mad_u64_u32 v[6:7], s[0:1], s42, v10, v[6:7]
	s_addc_u32 s3, s3, -1
	v_add3_u32 v9, v18, v9, v11
	v_mul_lo_u32 v3, s42, v3
	v_mul_lo_u32 v11, s43, v10
	v_cmp_lt_i64_e64 s[0:1], s[2:3], 1
	v_add3_u32 v7, v11, v7, v3
	s_and_b64 vcc, exec, s[0:1]
	v_pk_mov_b32 v[10:11], v[12:13], v[12:13] op_sel:[0,1]
	s_cbranch_vccnz .LBB51_12
.LBB51_28:                              ;   Parent Loop BB51_3 Depth=1
                                        ; =>  This Inner Loop Header: Depth=2
	s_load_dwordx2 s[42:43], s[4:5], 0x0
                                        ; implicit-def: $vgpr12_vgpr13
	s_waitcnt lgkmcnt(0)
	v_or_b32_e32 v3, s43, v11
	v_cmp_ne_u64_e32 vcc, 0, v[2:3]
	s_and_saveexec_b64 s[0:1], vcc
	s_xor_b64 s[44:45], exec, s[0:1]
	s_cbranch_execz .LBB51_30
; %bb.29:                               ;   in Loop: Header=BB51_28 Depth=2
	s_ashr_i32 s46, s43, 31
	s_add_u32 s0, s42, s46
	s_mov_b32 s47, s46
	s_addc_u32 s1, s43, s46
	s_xor_b64 s[48:49], s[0:1], s[46:47]
	v_cvt_f32_u32_e32 v3, s48
	v_cvt_f32_u32_e32 v12, s49
	s_sub_u32 s0, 0, s48
	s_subb_u32 s1, 0, s49
	v_mac_f32_e32 v3, 0x4f800000, v12
	v_rcp_f32_e32 v3, v3
	v_mul_f32_e32 v3, 0x5f7ffffc, v3
	v_mul_f32_e32 v12, 0x2f800000, v3
	v_trunc_f32_e32 v12, v12
	v_mac_f32_e32 v3, 0xcf800000, v12
	v_cvt_u32_f32_e32 v12, v12
	v_cvt_u32_f32_e32 v3, v3
	v_mul_lo_u32 v13, s0, v12
	v_mul_hi_u32 v19, s0, v3
	v_mul_lo_u32 v18, s1, v3
	v_add_u32_e32 v13, v19, v13
	v_mul_lo_u32 v20, s0, v3
	v_add_u32_e32 v13, v13, v18
	v_mul_lo_u32 v19, v3, v13
	v_mul_hi_u32 v21, v3, v20
	v_mul_hi_u32 v18, v3, v13
	v_add_co_u32_e32 v19, vcc, v21, v19
	v_addc_co_u32_e32 v18, vcc, 0, v18, vcc
	v_mul_hi_u32 v22, v12, v20
	v_mul_lo_u32 v20, v12, v20
	v_add_co_u32_e32 v19, vcc, v19, v20
	v_mul_hi_u32 v21, v12, v13
	v_addc_co_u32_e32 v18, vcc, v18, v22, vcc
	v_addc_co_u32_e32 v19, vcc, 0, v21, vcc
	v_mul_lo_u32 v13, v12, v13
	v_add_co_u32_e32 v13, vcc, v18, v13
	v_addc_co_u32_e32 v18, vcc, 0, v19, vcc
	v_add_co_u32_e32 v3, vcc, v3, v13
	v_addc_co_u32_e32 v12, vcc, v12, v18, vcc
	v_mul_lo_u32 v13, s0, v12
	v_mul_hi_u32 v18, s0, v3
	v_add_u32_e32 v13, v18, v13
	v_mul_lo_u32 v18, s1, v3
	v_add_u32_e32 v13, v13, v18
	v_mul_lo_u32 v19, s0, v3
	v_mul_hi_u32 v20, v12, v19
	v_mul_lo_u32 v21, v12, v19
	v_mul_lo_u32 v23, v3, v13
	v_mul_hi_u32 v19, v3, v19
	v_mul_hi_u32 v22, v3, v13
	v_add_co_u32_e32 v19, vcc, v19, v23
	v_addc_co_u32_e32 v22, vcc, 0, v22, vcc
	v_add_co_u32_e32 v19, vcc, v19, v21
	v_mul_hi_u32 v18, v12, v13
	v_addc_co_u32_e32 v19, vcc, v22, v20, vcc
	v_addc_co_u32_e32 v18, vcc, 0, v18, vcc
	v_mul_lo_u32 v13, v12, v13
	v_add_co_u32_e32 v13, vcc, v19, v13
	v_addc_co_u32_e32 v18, vcc, 0, v18, vcc
	v_add_co_u32_e32 v3, vcc, v3, v13
	v_addc_co_u32_e32 v18, vcc, v12, v18, vcc
	v_ashrrev_i32_e32 v20, 31, v11
	v_add_co_u32_e32 v12, vcc, v10, v20
	v_addc_co_u32_e32 v13, vcc, v11, v20, vcc
	v_xor_b32_e32 v22, v12, v20
	v_xor_b32_e32 v21, v13, v20
	v_mad_u64_u32 v[12:13], s[0:1], v22, v18, 0
	v_mul_hi_u32 v19, v22, v3
	v_add_co_u32_e32 v23, vcc, v19, v12
	v_addc_co_u32_e32 v24, vcc, 0, v13, vcc
	v_mad_u64_u32 v[12:13], s[0:1], v21, v18, 0
	v_mad_u64_u32 v[18:19], s[0:1], v21, v3, 0
	v_add_co_u32_e32 v3, vcc, v23, v18
	v_addc_co_u32_e32 v3, vcc, v24, v19, vcc
	v_addc_co_u32_e32 v13, vcc, 0, v13, vcc
	v_add_co_u32_e32 v3, vcc, v3, v12
	v_addc_co_u32_e32 v18, vcc, 0, v13, vcc
	v_mul_lo_u32 v19, s49, v3
	v_mul_lo_u32 v23, s48, v18
	v_mad_u64_u32 v[12:13], s[0:1], s48, v3, 0
	v_add3_u32 v13, v13, v23, v19
	v_sub_u32_e32 v19, v21, v13
	v_mov_b32_e32 v23, s49
	v_sub_co_u32_e32 v12, vcc, v22, v12
	v_subb_co_u32_e64 v19, s[0:1], v19, v23, vcc
	v_subrev_co_u32_e64 v22, s[0:1], s48, v12
	v_subbrev_co_u32_e64 v19, s[0:1], 0, v19, s[0:1]
	v_cmp_le_u32_e64 s[0:1], s49, v19
	v_cndmask_b32_e64 v23, 0, -1, s[0:1]
	v_cmp_le_u32_e64 s[0:1], s48, v22
	v_cndmask_b32_e64 v22, 0, -1, s[0:1]
	v_cmp_eq_u32_e64 s[0:1], s49, v19
	v_cndmask_b32_e64 v19, v23, v22, s[0:1]
	v_add_co_u32_e64 v22, s[0:1], 2, v3
	v_subb_co_u32_e32 v13, vcc, v21, v13, vcc
	v_addc_co_u32_e64 v23, s[0:1], 0, v18, s[0:1]
	v_cmp_le_u32_e32 vcc, s49, v13
	v_add_co_u32_e64 v24, s[0:1], 1, v3
	v_cndmask_b32_e64 v21, 0, -1, vcc
	v_cmp_le_u32_e32 vcc, s48, v12
	v_addc_co_u32_e64 v25, s[0:1], 0, v18, s[0:1]
	v_cndmask_b32_e64 v12, 0, -1, vcc
	v_cmp_eq_u32_e32 vcc, s49, v13
	v_cmp_ne_u32_e64 s[0:1], 0, v19
	v_cndmask_b32_e32 v12, v21, v12, vcc
	v_cmp_ne_u32_e32 vcc, 0, v12
	v_cndmask_b32_e64 v13, v24, v22, s[0:1]
	v_cndmask_b32_e64 v19, v25, v23, s[0:1]
	v_cndmask_b32_e32 v3, v3, v13, vcc
	v_xor_b32_e32 v13, s46, v20
	v_cndmask_b32_e32 v12, v18, v19, vcc
	v_xor_b32_e32 v3, v3, v13
	v_xor_b32_e32 v18, v12, v13
	v_sub_co_u32_e32 v12, vcc, v3, v13
	v_subb_co_u32_e32 v13, vcc, v18, v13, vcc
.LBB51_30:                              ;   in Loop: Header=BB51_28 Depth=2
	s_andn2_saveexec_b64 s[0:1], s[44:45]
	s_cbranch_execz .LBB51_27
; %bb.31:                               ;   in Loop: Header=BB51_28 Depth=2
	v_cvt_f32_u32_e32 v3, s42
	s_sub_i32 s44, 0, s42
	v_rcp_iflag_f32_e32 v3, v3
	v_mul_f32_e32 v3, 0x4f7ffffe, v3
	v_cvt_u32_f32_e32 v3, v3
	v_mul_lo_u32 v12, s44, v3
	v_mul_hi_u32 v12, v3, v12
	v_add_u32_e32 v3, v3, v12
	v_mul_hi_u32 v3, v10, v3
	v_mul_lo_u32 v12, v3, s42
	v_sub_u32_e32 v12, v10, v12
	v_add_u32_e32 v13, 1, v3
	v_subrev_u32_e32 v18, s42, v12
	v_cmp_le_u32_e32 vcc, s42, v12
	v_cndmask_b32_e32 v12, v12, v18, vcc
	v_cndmask_b32_e32 v3, v3, v13, vcc
	v_add_u32_e32 v13, 1, v3
	v_cmp_le_u32_e32 vcc, s42, v12
	v_cndmask_b32_e32 v12, v3, v13, vcc
	v_mov_b32_e32 v13, v2
	s_branch .LBB51_27
.LBB51_32:
	s_endpgm
	.section	.rodata,"a",@progbits
	.p2align	6, 0x0
	.amdhsa_kernel _ZN2at6native16triu_tril_kernelIblLb0ELi4ELb0EEEvNS_4cuda6detail10TensorInfoIT_T0_EENS4_IKS5_S6_EEllS6_
		.amdhsa_group_segment_fixed_size 0
		.amdhsa_private_segment_fixed_size 0
		.amdhsa_kernarg_size 1112
		.amdhsa_user_sgpr_count 6
		.amdhsa_user_sgpr_private_segment_buffer 1
		.amdhsa_user_sgpr_dispatch_ptr 0
		.amdhsa_user_sgpr_queue_ptr 0
		.amdhsa_user_sgpr_kernarg_segment_ptr 1
		.amdhsa_user_sgpr_dispatch_id 0
		.amdhsa_user_sgpr_flat_scratch_init 0
		.amdhsa_user_sgpr_kernarg_preload_length 0
		.amdhsa_user_sgpr_kernarg_preload_offset 0
		.amdhsa_user_sgpr_private_segment_size 0
		.amdhsa_uses_dynamic_stack 0
		.amdhsa_system_sgpr_private_segment_wavefront_offset 0
		.amdhsa_system_sgpr_workgroup_id_x 1
		.amdhsa_system_sgpr_workgroup_id_y 0
		.amdhsa_system_sgpr_workgroup_id_z 0
		.amdhsa_system_sgpr_workgroup_info 0
		.amdhsa_system_vgpr_workitem_id 0
		.amdhsa_next_free_vgpr 26
		.amdhsa_next_free_sgpr 52
		.amdhsa_accum_offset 28
		.amdhsa_reserve_vcc 1
		.amdhsa_reserve_flat_scratch 0
		.amdhsa_float_round_mode_32 0
		.amdhsa_float_round_mode_16_64 0
		.amdhsa_float_denorm_mode_32 3
		.amdhsa_float_denorm_mode_16_64 3
		.amdhsa_dx10_clamp 1
		.amdhsa_ieee_mode 1
		.amdhsa_fp16_overflow 0
		.amdhsa_tg_split 0
		.amdhsa_exception_fp_ieee_invalid_op 0
		.amdhsa_exception_fp_denorm_src 0
		.amdhsa_exception_fp_ieee_div_zero 0
		.amdhsa_exception_fp_ieee_overflow 0
		.amdhsa_exception_fp_ieee_underflow 0
		.amdhsa_exception_fp_ieee_inexact 0
		.amdhsa_exception_int_div_zero 0
	.end_amdhsa_kernel
	.section	.text._ZN2at6native16triu_tril_kernelIblLb0ELi4ELb0EEEvNS_4cuda6detail10TensorInfoIT_T0_EENS4_IKS5_S6_EEllS6_,"axG",@progbits,_ZN2at6native16triu_tril_kernelIblLb0ELi4ELb0EEEvNS_4cuda6detail10TensorInfoIT_T0_EENS4_IKS5_S6_EEllS6_,comdat
.Lfunc_end51:
	.size	_ZN2at6native16triu_tril_kernelIblLb0ELi4ELb0EEEvNS_4cuda6detail10TensorInfoIT_T0_EENS4_IKS5_S6_EEllS6_, .Lfunc_end51-_ZN2at6native16triu_tril_kernelIblLb0ELi4ELb0EEEvNS_4cuda6detail10TensorInfoIT_T0_EENS4_IKS5_S6_EEllS6_
                                        ; -- End function
	.section	.AMDGPU.csdata,"",@progbits
; Kernel info:
; codeLenInByte = 3764
; NumSgprs: 56
; NumVgprs: 26
; NumAgprs: 0
; TotalNumVgprs: 26
; ScratchSize: 0
; MemoryBound: 0
; FloatMode: 240
; IeeeMode: 1
; LDSByteSize: 0 bytes/workgroup (compile time only)
; SGPRBlocks: 6
; VGPRBlocks: 3
; NumSGPRsForWavesPerEU: 56
; NumVGPRsForWavesPerEU: 26
; AccumOffset: 28
; Occupancy: 8
; WaveLimiterHint : 0
; COMPUTE_PGM_RSRC2:SCRATCH_EN: 0
; COMPUTE_PGM_RSRC2:USER_SGPR: 6
; COMPUTE_PGM_RSRC2:TRAP_HANDLER: 0
; COMPUTE_PGM_RSRC2:TGID_X_EN: 1
; COMPUTE_PGM_RSRC2:TGID_Y_EN: 0
; COMPUTE_PGM_RSRC2:TGID_Z_EN: 0
; COMPUTE_PGM_RSRC2:TIDIG_COMP_CNT: 0
; COMPUTE_PGM_RSRC3_GFX90A:ACCUM_OFFSET: 6
; COMPUTE_PGM_RSRC3_GFX90A:TG_SPLIT: 0
	.section	.text._ZN2at6native16triu_tril_kernelIhiLb1ELi4ELb1EEEvNS_4cuda6detail10TensorInfoIT_T0_EENS4_IKS5_S6_EEllS6_,"axG",@progbits,_ZN2at6native16triu_tril_kernelIhiLb1ELi4ELb1EEEvNS_4cuda6detail10TensorInfoIT_T0_EENS4_IKS5_S6_EEllS6_,comdat
	.protected	_ZN2at6native16triu_tril_kernelIhiLb1ELi4ELb1EEEvNS_4cuda6detail10TensorInfoIT_T0_EENS4_IKS5_S6_EEllS6_ ; -- Begin function _ZN2at6native16triu_tril_kernelIhiLb1ELi4ELb1EEEvNS_4cuda6detail10TensorInfoIT_T0_EENS4_IKS5_S6_EEllS6_
	.globl	_ZN2at6native16triu_tril_kernelIhiLb1ELi4ELb1EEEvNS_4cuda6detail10TensorInfoIT_T0_EENS4_IKS5_S6_EEllS6_
	.p2align	8
	.type	_ZN2at6native16triu_tril_kernelIhiLb1ELi4ELb1EEEvNS_4cuda6detail10TensorInfoIT_T0_EENS4_IKS5_S6_EEllS6_,@function
_ZN2at6native16triu_tril_kernelIhiLb1ELi4ELb1EEEvNS_4cuda6detail10TensorInfoIT_T0_EENS4_IKS5_S6_EEllS6_: ; @_ZN2at6native16triu_tril_kernelIhiLb1ELi4ELb1EEEvNS_4cuda6detail10TensorInfoIT_T0_EENS4_IKS5_S6_EEllS6_
; %bb.0:
	s_load_dword s2, s[4:5], 0x1d4
	s_load_dwordx4 s[8:11], s[4:5], 0x1b0
	s_add_u32 s0, s4, 0x1c8
	v_mov_b32_e32 v2, 0
	s_addc_u32 s1, s5, 0
	s_waitcnt lgkmcnt(0)
	s_and_b32 s7, s2, 0xffff
	v_mov_b32_e32 v1, v2
	v_mov_b32_e32 v3, s6
	v_mad_u64_u32 v[0:1], s[2:3], s7, v3, v[0:1]
	v_lshlrev_b64 v[0:1], 2, v[0:1]
	v_cmp_gt_i64_e32 vcc, s[10:11], v[0:1]
	s_and_saveexec_b64 s[2:3], vcc
	s_cbranch_execz .LBB52_67
; %bb.1:
	s_load_dword s33, s[4:5], 0x1c0
	s_load_dword s14, s[4:5], 0x1a8
	;; [unrolled: 1-line block ×3, first 2 shown]
	s_load_dwordx2 s[2:3], s[4:5], 0x0
	s_mov_b64 s[22:23], 0
	s_waitcnt lgkmcnt(0)
	s_ashr_i32 s38, s33, 31
	s_ashr_i32 s15, s14, 31
	s_add_u32 s39, s4, 0xe0
	s_addc_u32 s40, s5, 0
	s_add_i32 s0, s14, -2
	s_ashr_i32 s1, s0, 31
	s_lshl_b64 s[12:13], s[0:1], 2
	s_add_u32 s16, s39, s12
	s_addc_u32 s17, s40, s13
	s_load_dword s41, s[16:17], 0x0
	s_lshl_b64 s[16:17], s[14:15], 2
	s_mul_i32 s1, s6, s7
	v_cmp_gt_i64_e64 s[6:7], s[14:15], 2
	v_cvt_f32_u32_e32 v3, s33
	s_waitcnt lgkmcnt(0)
	s_ashr_i32 s42, s41, 31
	s_add_u32 s15, s16, -4
	s_addc_u32 s16, s17, -1
	s_add_u32 s43, s4, 0x6c
	s_addc_u32 s44, s5, 0
	s_add_u32 s4, s43, s15
	v_rcp_iflag_f32_e32 v3, v3
	s_addc_u32 s5, s44, s16
	s_add_u32 s12, s43, s12
	s_addc_u32 s13, s44, s13
	s_add_i32 s45, s14, -3
	s_add_u32 s14, s39, s15
	v_mul_f32_e32 v3, 0x4f7ffffe, v3
	s_addc_u32 s15, s40, s16
	s_lshl_b32 s46, s1, 2
	s_and_b32 s48, s0, 7
	v_cvt_u32_f32_e32 v24, v3
	s_cmp_lg_u32 s48, 0
	s_mov_b32 s17, 0
	s_cselect_b64 s[18:19], -1, 0
	s_cmp_gt_u32 s45, 6
	s_mov_b32 s47, s17
	s_cselect_b64 s[20:21], -1, 0
	s_branch .LBB52_3
.LBB52_2:                               ;   in Loop: Header=BB52_3 Depth=1
	s_or_b64 exec, exec, s[24:25]
	v_mov_b32_e32 v3, s47
	v_add_co_u32_e32 v0, vcc, s46, v0
	v_addc_co_u32_e32 v1, vcc, v1, v3, vcc
	v_cmp_le_i64_e32 vcc, s[10:11], v[0:1]
	s_or_b64 s[22:23], vcc, s[22:23]
	s_andn2_b64 exec, exec, s[22:23]
	s_cbranch_execz .LBB52_67
.LBB52_3:                               ; =>This Loop Header: Depth=1
                                        ;     Child Loop BB52_16 Depth 2
                                        ;     Child Loop BB52_23 Depth 2
	v_or_b32_e32 v3, s38, v1
	v_cmp_ne_u64_e32 vcc, 0, v[2:3]
                                        ; implicit-def: $vgpr4_vgpr5
	s_and_saveexec_b64 s[0:1], vcc
	s_xor_b64 s[24:25], exec, s[0:1]
	s_cbranch_execz .LBB52_5
; %bb.4:                                ;   in Loop: Header=BB52_3 Depth=1
	s_add_u32 s0, s33, s38
	s_mov_b32 s26, s38
	s_mov_b32 s27, s38
	s_addc_u32 s1, s38, s38
	s_xor_b64 s[28:29], s[0:1], s[26:27]
	v_cvt_f32_u32_e32 v3, s28
	v_cvt_f32_u32_e32 v4, s29
	s_sub_u32 s0, 0, s28
	s_subb_u32 s1, 0, s29
	v_mac_f32_e32 v3, 0x4f800000, v4
	v_rcp_f32_e32 v3, v3
	v_mul_f32_e32 v3, 0x5f7ffffc, v3
	v_mul_f32_e32 v4, 0x2f800000, v3
	v_trunc_f32_e32 v4, v4
	v_mac_f32_e32 v3, 0xcf800000, v4
	v_cvt_u32_f32_e32 v4, v4
	v_cvt_u32_f32_e32 v3, v3
	v_mul_lo_u32 v5, s0, v4
	v_mul_hi_u32 v7, s0, v3
	v_mul_lo_u32 v6, s1, v3
	v_add_u32_e32 v5, v7, v5
	v_mul_lo_u32 v8, s0, v3
	v_add_u32_e32 v5, v5, v6
	v_mul_lo_u32 v7, v3, v5
	v_mul_hi_u32 v9, v3, v8
	v_mul_hi_u32 v6, v3, v5
	v_add_co_u32_e32 v7, vcc, v9, v7
	v_addc_co_u32_e32 v6, vcc, 0, v6, vcc
	v_mul_hi_u32 v10, v4, v8
	v_mul_lo_u32 v8, v4, v8
	v_add_co_u32_e32 v7, vcc, v7, v8
	v_mul_hi_u32 v9, v4, v5
	v_addc_co_u32_e32 v6, vcc, v6, v10, vcc
	v_addc_co_u32_e32 v7, vcc, 0, v9, vcc
	v_mul_lo_u32 v5, v4, v5
	v_add_co_u32_e32 v5, vcc, v6, v5
	v_addc_co_u32_e32 v6, vcc, 0, v7, vcc
	v_add_co_u32_e32 v3, vcc, v3, v5
	v_addc_co_u32_e32 v4, vcc, v4, v6, vcc
	v_mul_lo_u32 v5, s0, v4
	v_mul_hi_u32 v6, s0, v3
	v_add_u32_e32 v5, v6, v5
	v_mul_lo_u32 v6, s1, v3
	v_add_u32_e32 v5, v5, v6
	v_mul_lo_u32 v7, s0, v3
	v_mul_hi_u32 v8, v4, v7
	v_mul_lo_u32 v9, v4, v7
	v_mul_lo_u32 v11, v3, v5
	v_mul_hi_u32 v7, v3, v7
	v_mul_hi_u32 v10, v3, v5
	v_add_co_u32_e32 v7, vcc, v7, v11
	v_addc_co_u32_e32 v10, vcc, 0, v10, vcc
	v_add_co_u32_e32 v7, vcc, v7, v9
	v_mul_hi_u32 v6, v4, v5
	v_addc_co_u32_e32 v7, vcc, v10, v8, vcc
	v_addc_co_u32_e32 v6, vcc, 0, v6, vcc
	v_mul_lo_u32 v5, v4, v5
	v_add_co_u32_e32 v5, vcc, v7, v5
	v_addc_co_u32_e32 v6, vcc, 0, v6, vcc
	v_add_co_u32_e32 v3, vcc, v3, v5
	v_addc_co_u32_e32 v6, vcc, v4, v6, vcc
	v_ashrrev_i32_e32 v8, 31, v1
	v_add_co_u32_e32 v4, vcc, v0, v8
	v_addc_co_u32_e32 v5, vcc, v1, v8, vcc
	v_xor_b32_e32 v10, v4, v8
	v_xor_b32_e32 v9, v5, v8
	v_mad_u64_u32 v[4:5], s[0:1], v10, v6, 0
	v_mul_hi_u32 v7, v10, v3
	v_add_co_u32_e32 v11, vcc, v7, v4
	v_addc_co_u32_e32 v12, vcc, 0, v5, vcc
	v_mad_u64_u32 v[4:5], s[0:1], v9, v6, 0
	v_mad_u64_u32 v[6:7], s[0:1], v9, v3, 0
	v_add_co_u32_e32 v3, vcc, v11, v6
	v_addc_co_u32_e32 v3, vcc, v12, v7, vcc
	v_addc_co_u32_e32 v5, vcc, 0, v5, vcc
	v_add_co_u32_e32 v3, vcc, v3, v4
	v_addc_co_u32_e32 v6, vcc, 0, v5, vcc
	v_mul_lo_u32 v7, s29, v3
	v_mul_lo_u32 v11, s28, v6
	v_mad_u64_u32 v[4:5], s[0:1], s28, v3, 0
	v_add3_u32 v5, v5, v11, v7
	v_sub_u32_e32 v7, v9, v5
	v_mov_b32_e32 v11, s29
	v_sub_co_u32_e32 v4, vcc, v10, v4
	v_subb_co_u32_e64 v7, s[0:1], v7, v11, vcc
	v_subrev_co_u32_e64 v10, s[0:1], s28, v4
	v_subbrev_co_u32_e64 v7, s[0:1], 0, v7, s[0:1]
	v_cmp_le_u32_e64 s[0:1], s29, v7
	v_cndmask_b32_e64 v11, 0, -1, s[0:1]
	v_cmp_le_u32_e64 s[0:1], s28, v10
	v_cndmask_b32_e64 v10, 0, -1, s[0:1]
	v_cmp_eq_u32_e64 s[0:1], s29, v7
	v_cndmask_b32_e64 v7, v11, v10, s[0:1]
	v_add_co_u32_e64 v10, s[0:1], 2, v3
	v_subb_co_u32_e32 v5, vcc, v9, v5, vcc
	v_addc_co_u32_e64 v11, s[0:1], 0, v6, s[0:1]
	v_cmp_le_u32_e32 vcc, s29, v5
	v_add_co_u32_e64 v12, s[0:1], 1, v3
	v_cndmask_b32_e64 v9, 0, -1, vcc
	v_cmp_le_u32_e32 vcc, s28, v4
	v_addc_co_u32_e64 v13, s[0:1], 0, v6, s[0:1]
	v_cndmask_b32_e64 v4, 0, -1, vcc
	v_cmp_eq_u32_e32 vcc, s29, v5
	v_cmp_ne_u32_e64 s[0:1], 0, v7
	v_cndmask_b32_e32 v4, v9, v4, vcc
	v_cndmask_b32_e64 v7, v13, v11, s[0:1]
	v_cmp_ne_u32_e32 vcc, 0, v4
	v_cndmask_b32_e64 v5, v12, v10, s[0:1]
	v_cndmask_b32_e32 v4, v6, v7, vcc
	v_cndmask_b32_e32 v3, v3, v5, vcc
	v_xor_b32_e32 v6, s26, v8
	v_xor_b32_e32 v5, s27, v8
	;; [unrolled: 1-line block ×4, first 2 shown]
	v_sub_co_u32_e32 v4, vcc, v3, v6
	v_subb_co_u32_e32 v5, vcc, v7, v5, vcc
.LBB52_5:                               ;   in Loop: Header=BB52_3 Depth=1
	s_andn2_saveexec_b64 s[0:1], s[24:25]
	s_cbranch_execz .LBB52_7
; %bb.6:                                ;   in Loop: Header=BB52_3 Depth=1
	s_sub_i32 s16, 0, s33
	v_mul_lo_u32 v3, s16, v24
	v_mul_hi_u32 v3, v24, v3
	v_add_u32_e32 v3, v24, v3
	v_mul_hi_u32 v3, v0, v3
	v_mul_lo_u32 v4, v3, s33
	v_sub_u32_e32 v4, v0, v4
	v_subrev_u32_e32 v5, s33, v4
	v_cmp_le_u32_e32 vcc, s33, v4
	v_cndmask_b32_e32 v4, v4, v5, vcc
	v_add_u32_e32 v5, 1, v3
	v_cndmask_b32_e32 v3, v3, v5, vcc
	v_add_u32_e32 v5, 1, v3
	v_cmp_le_u32_e32 vcc, s33, v4
	v_cndmask_b32_e32 v4, v3, v5, vcc
	v_mov_b32_e32 v5, v2
.LBB52_7:                               ;   in Loop: Header=BB52_3 Depth=1
	s_or_b64 exec, exec, s[0:1]
	v_or_b32_e32 v3, s42, v5
	v_cmp_ne_u64_e32 vcc, 0, v[2:3]
                                        ; implicit-def: $vgpr6_vgpr7
	s_and_saveexec_b64 s[0:1], vcc
	s_xor_b64 s[24:25], exec, s[0:1]
	s_cbranch_execz .LBB52_9
; %bb.8:                                ;   in Loop: Header=BB52_3 Depth=1
	s_add_u32 s0, s41, s42
	s_mov_b32 s26, s42
	s_mov_b32 s27, s42
	s_addc_u32 s1, s42, s42
	s_xor_b64 s[28:29], s[0:1], s[26:27]
	v_cvt_f32_u32_e32 v3, s28
	v_cvt_f32_u32_e32 v6, s29
	s_sub_u32 s0, 0, s28
	s_subb_u32 s1, 0, s29
	v_mac_f32_e32 v3, 0x4f800000, v6
	v_rcp_f32_e32 v3, v3
	v_mul_f32_e32 v3, 0x5f7ffffc, v3
	v_mul_f32_e32 v6, 0x2f800000, v3
	v_trunc_f32_e32 v6, v6
	v_mac_f32_e32 v3, 0xcf800000, v6
	v_cvt_u32_f32_e32 v6, v6
	v_cvt_u32_f32_e32 v3, v3
	v_mul_lo_u32 v7, s0, v6
	v_mul_hi_u32 v9, s0, v3
	v_mul_lo_u32 v8, s1, v3
	v_add_u32_e32 v7, v9, v7
	v_mul_lo_u32 v10, s0, v3
	v_add_u32_e32 v7, v7, v8
	v_mul_lo_u32 v9, v3, v7
	v_mul_hi_u32 v11, v3, v10
	v_mul_hi_u32 v8, v3, v7
	v_add_co_u32_e32 v9, vcc, v11, v9
	v_addc_co_u32_e32 v8, vcc, 0, v8, vcc
	v_mul_hi_u32 v12, v6, v10
	v_mul_lo_u32 v10, v6, v10
	v_add_co_u32_e32 v9, vcc, v9, v10
	v_mul_hi_u32 v11, v6, v7
	v_addc_co_u32_e32 v8, vcc, v8, v12, vcc
	v_addc_co_u32_e32 v9, vcc, 0, v11, vcc
	v_mul_lo_u32 v7, v6, v7
	v_add_co_u32_e32 v7, vcc, v8, v7
	v_addc_co_u32_e32 v8, vcc, 0, v9, vcc
	v_add_co_u32_e32 v3, vcc, v3, v7
	v_addc_co_u32_e32 v6, vcc, v6, v8, vcc
	v_mul_lo_u32 v7, s0, v6
	v_mul_hi_u32 v8, s0, v3
	v_add_u32_e32 v7, v8, v7
	v_mul_lo_u32 v8, s1, v3
	v_add_u32_e32 v7, v7, v8
	v_mul_lo_u32 v9, s0, v3
	v_mul_hi_u32 v10, v6, v9
	v_mul_lo_u32 v11, v6, v9
	v_mul_lo_u32 v13, v3, v7
	v_mul_hi_u32 v9, v3, v9
	v_mul_hi_u32 v12, v3, v7
	v_add_co_u32_e32 v9, vcc, v9, v13
	v_addc_co_u32_e32 v12, vcc, 0, v12, vcc
	v_add_co_u32_e32 v9, vcc, v9, v11
	v_mul_hi_u32 v8, v6, v7
	v_addc_co_u32_e32 v9, vcc, v12, v10, vcc
	v_addc_co_u32_e32 v8, vcc, 0, v8, vcc
	v_mul_lo_u32 v7, v6, v7
	v_add_co_u32_e32 v7, vcc, v9, v7
	v_addc_co_u32_e32 v8, vcc, 0, v8, vcc
	v_add_co_u32_e32 v3, vcc, v3, v7
	v_addc_co_u32_e32 v8, vcc, v6, v8, vcc
	v_ashrrev_i32_e32 v10, 31, v5
	v_add_co_u32_e32 v6, vcc, v4, v10
	v_xor_b32_e32 v11, v6, v10
	v_addc_co_u32_e32 v5, vcc, v5, v10, vcc
	v_mad_u64_u32 v[6:7], s[0:1], v11, v8, 0
	v_mul_hi_u32 v9, v11, v3
	v_xor_b32_e32 v5, v5, v10
	v_add_co_u32_e32 v12, vcc, v9, v6
	v_addc_co_u32_e32 v13, vcc, 0, v7, vcc
	v_mad_u64_u32 v[6:7], s[0:1], v5, v8, 0
	v_mad_u64_u32 v[8:9], s[0:1], v5, v3, 0
	v_add_co_u32_e32 v3, vcc, v12, v8
	v_addc_co_u32_e32 v3, vcc, v13, v9, vcc
	v_addc_co_u32_e32 v7, vcc, 0, v7, vcc
	v_add_co_u32_e32 v3, vcc, v3, v6
	v_addc_co_u32_e32 v8, vcc, 0, v7, vcc
	v_mul_lo_u32 v9, s29, v3
	v_mul_lo_u32 v12, s28, v8
	v_mad_u64_u32 v[6:7], s[0:1], s28, v3, 0
	v_add3_u32 v7, v7, v12, v9
	v_sub_u32_e32 v9, v5, v7
	v_mov_b32_e32 v12, s29
	v_sub_co_u32_e32 v6, vcc, v11, v6
	v_subb_co_u32_e64 v9, s[0:1], v9, v12, vcc
	v_subrev_co_u32_e64 v11, s[0:1], s28, v6
	v_subbrev_co_u32_e64 v9, s[0:1], 0, v9, s[0:1]
	v_cmp_le_u32_e64 s[0:1], s29, v9
	v_cndmask_b32_e64 v12, 0, -1, s[0:1]
	v_cmp_le_u32_e64 s[0:1], s28, v11
	v_cndmask_b32_e64 v11, 0, -1, s[0:1]
	v_cmp_eq_u32_e64 s[0:1], s29, v9
	v_cndmask_b32_e64 v9, v12, v11, s[0:1]
	v_add_co_u32_e64 v11, s[0:1], 2, v3
	v_subb_co_u32_e32 v5, vcc, v5, v7, vcc
	v_addc_co_u32_e64 v12, s[0:1], 0, v8, s[0:1]
	v_cmp_le_u32_e32 vcc, s29, v5
	v_add_co_u32_e64 v13, s[0:1], 1, v3
	v_cndmask_b32_e64 v7, 0, -1, vcc
	v_cmp_le_u32_e32 vcc, s28, v6
	v_addc_co_u32_e64 v14, s[0:1], 0, v8, s[0:1]
	v_cndmask_b32_e64 v6, 0, -1, vcc
	v_cmp_eq_u32_e32 vcc, s29, v5
	v_cmp_ne_u32_e64 s[0:1], 0, v9
	v_cndmask_b32_e32 v5, v7, v6, vcc
	v_cmp_ne_u32_e32 vcc, 0, v5
	v_cndmask_b32_e64 v6, v13, v11, s[0:1]
	v_cndmask_b32_e64 v9, v14, v12, s[0:1]
	v_cndmask_b32_e32 v3, v3, v6, vcc
	v_xor_b32_e32 v6, s26, v10
	v_cndmask_b32_e32 v5, v8, v9, vcc
	v_xor_b32_e32 v7, s27, v10
	v_xor_b32_e32 v3, v3, v6
	v_xor_b32_e32 v5, v5, v7
	v_sub_co_u32_e32 v6, vcc, v3, v6
	v_subb_co_u32_e32 v7, vcc, v5, v7, vcc
.LBB52_9:                               ;   in Loop: Header=BB52_3 Depth=1
	s_andn2_saveexec_b64 s[0:1], s[24:25]
	s_cbranch_execz .LBB52_11
; %bb.10:                               ;   in Loop: Header=BB52_3 Depth=1
	v_cvt_f32_u32_e32 v3, s41
	s_sub_i32 s16, 0, s41
	v_rcp_iflag_f32_e32 v3, v3
	v_mul_f32_e32 v3, 0x4f7ffffe, v3
	v_cvt_u32_f32_e32 v3, v3
	v_mul_lo_u32 v5, s16, v3
	v_mul_hi_u32 v5, v3, v5
	v_add_u32_e32 v3, v3, v5
	v_mul_hi_u32 v3, v4, v3
	v_mul_lo_u32 v5, v3, s41
	v_sub_u32_e32 v5, v4, v5
	v_add_u32_e32 v6, 1, v3
	v_subrev_u32_e32 v7, s41, v5
	v_cmp_le_u32_e32 vcc, s41, v5
	v_cndmask_b32_e32 v5, v5, v7, vcc
	v_cndmask_b32_e32 v3, v3, v6, vcc
	v_add_u32_e32 v6, 1, v3
	v_cmp_le_u32_e32 vcc, s41, v5
	v_cndmask_b32_e32 v6, v3, v6, vcc
	v_mov_b32_e32 v7, v2
.LBB52_11:                              ;   in Loop: Header=BB52_3 Depth=1
	s_or_b64 exec, exec, s[0:1]
	v_mad_u64_u32 v[8:9], s[0:1], v4, s33, 0
	v_sub_co_u32_e32 v26, vcc, v0, v8
	v_mad_u64_u32 v[8:9], s[0:1], v6, s41, 0
	v_sub_co_u32_e32 v25, vcc, v4, v8
	v_sub_u32_e32 v4, v26, v25
	v_ashrrev_i32_e32 v5, 31, v4
	v_cmp_gt_i64_e32 vcc, s[8:9], v[4:5]
	s_and_saveexec_b64 s[24:25], vcc
	s_cbranch_execz .LBB52_2
; %bb.12:                               ;   in Loop: Header=BB52_3 Depth=1
	s_load_dword s49, s[4:5], 0x0
	s_load_dword s0, s[12:13], 0x0
	s_andn2_b64 vcc, exec, s[6:7]
	s_waitcnt lgkmcnt(0)
	v_mul_lo_u32 v4, s49, v26
	v_mad_u64_u32 v[4:5], s[0:1], s0, v25, v[4:5]
	s_cbranch_vccnz .LBB52_57
; %bb.13:                               ;   in Loop: Header=BB52_3 Depth=1
	s_andn2_b64 vcc, exec, s[18:19]
	s_cbranch_vccnz .LBB52_20
; %bb.14:                               ;   in Loop: Header=BB52_3 Depth=1
	s_mov_b32 s36, s48
	s_mov_b32 s16, s45
	s_branch .LBB52_16
.LBB52_15:                              ;   in Loop: Header=BB52_16 Depth=2
	s_or_b64 exec, exec, s[0:1]
	s_add_u32 s0, s43, s26
	s_addc_u32 s1, s44, s27
	s_load_dword s0, s[0:1], 0x0
	v_mul_lo_u32 v3, v6, s37
	v_sub_u32_e32 v3, v8, v3
	s_add_i32 s16, s16, -1
	s_add_i32 s36, s36, -1
	s_cmp_lg_u32 s36, 0
	s_waitcnt lgkmcnt(0)
	v_mad_u64_u32 v[4:5], s[0:1], s0, v3, v[4:5]
	s_cbranch_scc0 .LBB52_21
.LBB52_16:                              ;   Parent Loop BB52_3 Depth=1
                                        ; =>  This Inner Loop Header: Depth=2
	s_lshl_b64 s[26:27], s[16:17], 2
	s_add_u32 s0, s39, s26
	s_addc_u32 s1, s40, s27
	s_load_dword s37, s[0:1], 0x0
	v_pk_mov_b32 v[8:9], v[6:7], v[6:7] op_sel:[0,1]
                                        ; implicit-def: $vgpr6_vgpr7
	s_waitcnt lgkmcnt(0)
	s_ashr_i32 s0, s37, 31
	v_or_b32_e32 v3, s0, v9
	v_cmp_ne_u64_e32 vcc, 0, v[2:3]
	s_and_saveexec_b64 s[28:29], vcc
	s_xor_b64 s[28:29], exec, s[28:29]
	s_cbranch_execz .LBB52_18
; %bb.17:                               ;   in Loop: Header=BB52_16 Depth=2
	s_add_u32 s34, s37, s0
	s_mov_b32 s30, s0
	s_mov_b32 s31, s0
	s_addc_u32 s35, s0, s0
	s_xor_b64 s[34:35], s[34:35], s[30:31]
	v_cvt_f32_u32_e32 v3, s34
	v_cvt_f32_u32_e32 v5, s35
	s_sub_u32 s0, 0, s34
	s_subb_u32 s1, 0, s35
	v_mac_f32_e32 v3, 0x4f800000, v5
	v_rcp_f32_e32 v3, v3
	v_mul_f32_e32 v3, 0x5f7ffffc, v3
	v_mul_f32_e32 v5, 0x2f800000, v3
	v_trunc_f32_e32 v5, v5
	v_mac_f32_e32 v3, 0xcf800000, v5
	v_cvt_u32_f32_e32 v5, v5
	v_cvt_u32_f32_e32 v3, v3
	v_mul_lo_u32 v6, s0, v5
	v_mul_hi_u32 v10, s0, v3
	v_mul_lo_u32 v7, s1, v3
	v_add_u32_e32 v6, v10, v6
	v_mul_lo_u32 v11, s0, v3
	v_add_u32_e32 v6, v6, v7
	v_mul_lo_u32 v10, v3, v6
	v_mul_hi_u32 v12, v3, v11
	v_mul_hi_u32 v7, v3, v6
	v_add_co_u32_e32 v10, vcc, v12, v10
	v_addc_co_u32_e32 v7, vcc, 0, v7, vcc
	v_mul_hi_u32 v13, v5, v11
	v_mul_lo_u32 v11, v5, v11
	v_add_co_u32_e32 v10, vcc, v10, v11
	v_mul_hi_u32 v12, v5, v6
	v_addc_co_u32_e32 v7, vcc, v7, v13, vcc
	v_addc_co_u32_e32 v10, vcc, 0, v12, vcc
	v_mul_lo_u32 v6, v5, v6
	v_add_co_u32_e32 v6, vcc, v7, v6
	v_addc_co_u32_e32 v7, vcc, 0, v10, vcc
	v_add_co_u32_e32 v3, vcc, v3, v6
	v_addc_co_u32_e32 v5, vcc, v5, v7, vcc
	v_mul_lo_u32 v6, s0, v5
	v_mul_hi_u32 v7, s0, v3
	v_add_u32_e32 v6, v7, v6
	v_mul_lo_u32 v7, s1, v3
	v_add_u32_e32 v6, v6, v7
	v_mul_lo_u32 v10, s0, v3
	v_mul_hi_u32 v11, v5, v10
	v_mul_lo_u32 v12, v5, v10
	v_mul_lo_u32 v14, v3, v6
	v_mul_hi_u32 v10, v3, v10
	v_mul_hi_u32 v13, v3, v6
	v_add_co_u32_e32 v10, vcc, v10, v14
	v_addc_co_u32_e32 v13, vcc, 0, v13, vcc
	v_add_co_u32_e32 v10, vcc, v10, v12
	v_mul_hi_u32 v7, v5, v6
	v_addc_co_u32_e32 v10, vcc, v13, v11, vcc
	v_addc_co_u32_e32 v7, vcc, 0, v7, vcc
	v_mul_lo_u32 v6, v5, v6
	v_add_co_u32_e32 v6, vcc, v10, v6
	v_addc_co_u32_e32 v7, vcc, 0, v7, vcc
	v_add_co_u32_e32 v3, vcc, v3, v6
	v_addc_co_u32_e32 v5, vcc, v5, v7, vcc
	v_ashrrev_i32_e32 v12, 31, v9
	v_add_co_u32_e32 v6, vcc, v8, v12
	v_addc_co_u32_e32 v7, vcc, v9, v12, vcc
	v_xor_b32_e32 v13, v6, v12
	v_xor_b32_e32 v9, v7, v12
	v_mad_u64_u32 v[6:7], s[0:1], v13, v5, 0
	v_mul_hi_u32 v10, v13, v3
	v_add_co_u32_e32 v14, vcc, v10, v6
	v_addc_co_u32_e32 v15, vcc, 0, v7, vcc
	v_mad_u64_u32 v[10:11], s[0:1], v9, v3, 0
	v_add_co_u32_e32 v3, vcc, v14, v10
	v_mad_u64_u32 v[6:7], s[0:1], v9, v5, 0
	v_addc_co_u32_e32 v3, vcc, v15, v11, vcc
	v_addc_co_u32_e32 v5, vcc, 0, v7, vcc
	v_add_co_u32_e32 v3, vcc, v3, v6
	v_addc_co_u32_e32 v5, vcc, 0, v5, vcc
	v_mul_lo_u32 v10, s35, v3
	v_mul_lo_u32 v11, s34, v5
	v_mad_u64_u32 v[6:7], s[0:1], s34, v3, 0
	v_add3_u32 v7, v7, v11, v10
	v_sub_u32_e32 v10, v9, v7
	v_mov_b32_e32 v11, s35
	v_sub_co_u32_e32 v6, vcc, v13, v6
	v_subb_co_u32_e64 v10, s[0:1], v10, v11, vcc
	v_subrev_co_u32_e64 v11, s[0:1], s34, v6
	v_subbrev_co_u32_e64 v10, s[0:1], 0, v10, s[0:1]
	v_cmp_le_u32_e64 s[0:1], s35, v10
	v_cndmask_b32_e64 v13, 0, -1, s[0:1]
	v_cmp_le_u32_e64 s[0:1], s34, v11
	v_cndmask_b32_e64 v11, 0, -1, s[0:1]
	v_cmp_eq_u32_e64 s[0:1], s35, v10
	v_cndmask_b32_e64 v10, v13, v11, s[0:1]
	v_add_co_u32_e64 v11, s[0:1], 2, v3
	v_subb_co_u32_e32 v7, vcc, v9, v7, vcc
	v_addc_co_u32_e64 v13, s[0:1], 0, v5, s[0:1]
	v_cmp_le_u32_e32 vcc, s35, v7
	v_add_co_u32_e64 v14, s[0:1], 1, v3
	v_cndmask_b32_e64 v9, 0, -1, vcc
	v_cmp_le_u32_e32 vcc, s34, v6
	v_addc_co_u32_e64 v15, s[0:1], 0, v5, s[0:1]
	v_cndmask_b32_e64 v6, 0, -1, vcc
	v_cmp_eq_u32_e32 vcc, s35, v7
	v_cmp_ne_u32_e64 s[0:1], 0, v10
	v_cndmask_b32_e32 v6, v9, v6, vcc
	v_cmp_ne_u32_e32 vcc, 0, v6
	v_cndmask_b32_e64 v6, v14, v11, s[0:1]
	v_cndmask_b32_e64 v10, v15, v13, s[0:1]
	v_cndmask_b32_e32 v3, v3, v6, vcc
	v_xor_b32_e32 v6, s30, v12
	v_cndmask_b32_e32 v5, v5, v10, vcc
	v_xor_b32_e32 v7, s31, v12
	v_xor_b32_e32 v3, v3, v6
	;; [unrolled: 1-line block ×3, first 2 shown]
	v_sub_co_u32_e32 v6, vcc, v3, v6
	v_subb_co_u32_e32 v7, vcc, v5, v7, vcc
.LBB52_18:                              ;   in Loop: Header=BB52_16 Depth=2
	s_andn2_saveexec_b64 s[0:1], s[28:29]
	s_cbranch_execz .LBB52_15
; %bb.19:                               ;   in Loop: Header=BB52_16 Depth=2
	v_cvt_f32_u32_e32 v3, s37
	s_sub_i32 s28, 0, s37
	v_rcp_iflag_f32_e32 v3, v3
	v_mul_f32_e32 v3, 0x4f7ffffe, v3
	v_cvt_u32_f32_e32 v3, v3
	v_mul_lo_u32 v5, s28, v3
	v_mul_hi_u32 v5, v3, v5
	v_add_u32_e32 v3, v3, v5
	v_mul_hi_u32 v3, v8, v3
	v_mul_lo_u32 v5, v3, s37
	v_sub_u32_e32 v5, v8, v5
	v_add_u32_e32 v6, 1, v3
	v_subrev_u32_e32 v7, s37, v5
	v_cmp_le_u32_e32 vcc, s37, v5
	v_cndmask_b32_e32 v5, v5, v7, vcc
	v_cndmask_b32_e32 v3, v3, v6, vcc
	v_add_u32_e32 v6, 1, v3
	v_cmp_le_u32_e32 vcc, s37, v5
	v_cndmask_b32_e32 v6, v3, v6, vcc
	v_mov_b32_e32 v7, v2
	s_branch .LBB52_15
.LBB52_20:                              ;   in Loop: Header=BB52_3 Depth=1
	s_mov_b32 s16, s45
.LBB52_21:                              ;   in Loop: Header=BB52_3 Depth=1
	s_andn2_b64 vcc, exec, s[20:21]
	s_cbranch_vccnz .LBB52_57
; %bb.22:                               ;   in Loop: Header=BB52_3 Depth=1
	s_add_i32 s26, s16, -7
.LBB52_23:                              ;   Parent Loop BB52_3 Depth=1
                                        ; =>  This Inner Loop Header: Depth=2
	s_add_i32 s16, s26, 7
	s_lshl_b64 s[28:29], s[16:17], 2
	s_add_u32 s0, s39, s28
	s_addc_u32 s1, s40, s29
	s_load_dword s50, s[0:1], 0x0
                                        ; implicit-def: $vgpr8_vgpr9
	s_waitcnt lgkmcnt(0)
	s_ashr_i32 s0, s50, 31
	v_or_b32_e32 v3, s0, v7
	v_cmp_ne_u64_e32 vcc, 0, v[2:3]
	s_and_saveexec_b64 s[30:31], vcc
	s_xor_b64 s[30:31], exec, s[30:31]
	s_cbranch_execz .LBB52_25
; %bb.24:                               ;   in Loop: Header=BB52_23 Depth=2
	s_add_u32 s36, s50, s0
	s_mov_b32 s34, s0
	s_mov_b32 s35, s0
	s_addc_u32 s37, s0, s0
	s_xor_b64 s[36:37], s[36:37], s[34:35]
	v_cvt_f32_u32_e32 v3, s36
	v_cvt_f32_u32_e32 v5, s37
	s_sub_u32 s0, 0, s36
	s_subb_u32 s1, 0, s37
	v_mac_f32_e32 v3, 0x4f800000, v5
	v_rcp_f32_e32 v3, v3
	v_mul_f32_e32 v3, 0x5f7ffffc, v3
	v_mul_f32_e32 v5, 0x2f800000, v3
	v_trunc_f32_e32 v5, v5
	v_mac_f32_e32 v3, 0xcf800000, v5
	v_cvt_u32_f32_e32 v5, v5
	v_cvt_u32_f32_e32 v3, v3
	v_mul_lo_u32 v8, s0, v5
	v_mul_hi_u32 v10, s0, v3
	v_mul_lo_u32 v9, s1, v3
	v_add_u32_e32 v8, v10, v8
	v_mul_lo_u32 v11, s0, v3
	v_add_u32_e32 v8, v8, v9
	v_mul_lo_u32 v10, v3, v8
	v_mul_hi_u32 v12, v3, v11
	v_mul_hi_u32 v9, v3, v8
	v_add_co_u32_e32 v10, vcc, v12, v10
	v_addc_co_u32_e32 v9, vcc, 0, v9, vcc
	v_mul_hi_u32 v13, v5, v11
	v_mul_lo_u32 v11, v5, v11
	v_add_co_u32_e32 v10, vcc, v10, v11
	v_mul_hi_u32 v12, v5, v8
	v_addc_co_u32_e32 v9, vcc, v9, v13, vcc
	v_addc_co_u32_e32 v10, vcc, 0, v12, vcc
	v_mul_lo_u32 v8, v5, v8
	v_add_co_u32_e32 v8, vcc, v9, v8
	v_addc_co_u32_e32 v9, vcc, 0, v10, vcc
	v_add_co_u32_e32 v3, vcc, v3, v8
	v_addc_co_u32_e32 v5, vcc, v5, v9, vcc
	v_mul_lo_u32 v8, s0, v5
	v_mul_hi_u32 v9, s0, v3
	v_add_u32_e32 v8, v9, v8
	v_mul_lo_u32 v9, s1, v3
	v_add_u32_e32 v8, v8, v9
	v_mul_lo_u32 v10, s0, v3
	v_mul_hi_u32 v11, v5, v10
	v_mul_lo_u32 v12, v5, v10
	v_mul_lo_u32 v14, v3, v8
	v_mul_hi_u32 v10, v3, v10
	v_mul_hi_u32 v13, v3, v8
	v_add_co_u32_e32 v10, vcc, v10, v14
	v_addc_co_u32_e32 v13, vcc, 0, v13, vcc
	v_add_co_u32_e32 v10, vcc, v10, v12
	v_mul_hi_u32 v9, v5, v8
	v_addc_co_u32_e32 v10, vcc, v13, v11, vcc
	v_addc_co_u32_e32 v9, vcc, 0, v9, vcc
	v_mul_lo_u32 v8, v5, v8
	v_add_co_u32_e32 v8, vcc, v10, v8
	v_addc_co_u32_e32 v9, vcc, 0, v9, vcc
	v_add_co_u32_e32 v3, vcc, v3, v8
	v_addc_co_u32_e32 v5, vcc, v5, v9, vcc
	v_ashrrev_i32_e32 v12, 31, v7
	v_add_co_u32_e32 v8, vcc, v6, v12
	v_xor_b32_e32 v13, v8, v12
	v_addc_co_u32_e32 v7, vcc, v7, v12, vcc
	v_mad_u64_u32 v[8:9], s[0:1], v13, v5, 0
	v_mul_hi_u32 v10, v13, v3
	v_xor_b32_e32 v7, v7, v12
	v_add_co_u32_e32 v14, vcc, v10, v8
	v_addc_co_u32_e32 v15, vcc, 0, v9, vcc
	v_mad_u64_u32 v[10:11], s[0:1], v7, v3, 0
	v_add_co_u32_e32 v3, vcc, v14, v10
	v_mad_u64_u32 v[8:9], s[0:1], v7, v5, 0
	v_addc_co_u32_e32 v3, vcc, v15, v11, vcc
	v_addc_co_u32_e32 v5, vcc, 0, v9, vcc
	v_add_co_u32_e32 v3, vcc, v3, v8
	v_addc_co_u32_e32 v5, vcc, 0, v5, vcc
	v_mul_lo_u32 v10, s37, v3
	v_mul_lo_u32 v11, s36, v5
	v_mad_u64_u32 v[8:9], s[0:1], s36, v3, 0
	v_add3_u32 v9, v9, v11, v10
	v_sub_u32_e32 v10, v7, v9
	v_mov_b32_e32 v11, s37
	v_sub_co_u32_e32 v8, vcc, v13, v8
	v_subb_co_u32_e64 v10, s[0:1], v10, v11, vcc
	v_subrev_co_u32_e64 v11, s[0:1], s36, v8
	v_subbrev_co_u32_e64 v10, s[0:1], 0, v10, s[0:1]
	v_cmp_le_u32_e64 s[0:1], s37, v10
	v_cndmask_b32_e64 v13, 0, -1, s[0:1]
	v_cmp_le_u32_e64 s[0:1], s36, v11
	v_cndmask_b32_e64 v11, 0, -1, s[0:1]
	v_cmp_eq_u32_e64 s[0:1], s37, v10
	v_cndmask_b32_e64 v10, v13, v11, s[0:1]
	v_add_co_u32_e64 v11, s[0:1], 2, v3
	v_subb_co_u32_e32 v7, vcc, v7, v9, vcc
	v_addc_co_u32_e64 v13, s[0:1], 0, v5, s[0:1]
	v_cmp_le_u32_e32 vcc, s37, v7
	v_add_co_u32_e64 v14, s[0:1], 1, v3
	v_cndmask_b32_e64 v9, 0, -1, vcc
	v_cmp_le_u32_e32 vcc, s36, v8
	v_addc_co_u32_e64 v15, s[0:1], 0, v5, s[0:1]
	v_cndmask_b32_e64 v8, 0, -1, vcc
	v_cmp_eq_u32_e32 vcc, s37, v7
	v_cmp_ne_u32_e64 s[0:1], 0, v10
	v_cndmask_b32_e32 v7, v9, v8, vcc
	v_cmp_ne_u32_e32 vcc, 0, v7
	v_cndmask_b32_e64 v7, v14, v11, s[0:1]
	v_cndmask_b32_e64 v10, v15, v13, s[0:1]
	v_cndmask_b32_e32 v3, v3, v7, vcc
	v_xor_b32_e32 v8, s34, v12
	v_cndmask_b32_e32 v5, v5, v10, vcc
	v_xor_b32_e32 v7, s35, v12
	v_xor_b32_e32 v3, v3, v8
	;; [unrolled: 1-line block ×3, first 2 shown]
	v_sub_co_u32_e32 v8, vcc, v3, v8
	v_subb_co_u32_e32 v9, vcc, v5, v7, vcc
.LBB52_25:                              ;   in Loop: Header=BB52_23 Depth=2
	s_andn2_saveexec_b64 s[0:1], s[30:31]
	s_cbranch_execz .LBB52_27
; %bb.26:                               ;   in Loop: Header=BB52_23 Depth=2
	v_cvt_f32_u32_e32 v3, s50
	s_sub_i32 s16, 0, s50
	v_mov_b32_e32 v9, v2
	v_rcp_iflag_f32_e32 v3, v3
	v_mul_f32_e32 v3, 0x4f7ffffe, v3
	v_cvt_u32_f32_e32 v3, v3
	v_mul_lo_u32 v5, s16, v3
	v_mul_hi_u32 v5, v3, v5
	v_add_u32_e32 v3, v3, v5
	v_mul_hi_u32 v3, v6, v3
	v_mul_lo_u32 v5, v3, s50
	v_sub_u32_e32 v5, v6, v5
	v_add_u32_e32 v7, 1, v3
	v_subrev_u32_e32 v8, s50, v5
	v_cmp_le_u32_e32 vcc, s50, v5
	v_cndmask_b32_e32 v5, v5, v8, vcc
	v_cndmask_b32_e32 v3, v3, v7, vcc
	v_add_u32_e32 v7, 1, v3
	v_cmp_le_u32_e32 vcc, s50, v5
	v_cndmask_b32_e32 v8, v3, v7, vcc
.LBB52_27:                              ;   in Loop: Header=BB52_23 Depth=2
	s_or_b64 exec, exec, s[0:1]
	s_add_u32 s0, s43, s28
	s_addc_u32 s1, s44, s29
	s_add_i32 s16, s26, 6
	s_lshl_b64 s[28:29], s[16:17], 2
	s_add_u32 s30, s39, s28
	s_addc_u32 s31, s40, s29
	s_load_dword s51, s[30:31], 0x0
	s_load_dword s52, s[0:1], 0x0
                                        ; implicit-def: $vgpr10_vgpr11
	s_waitcnt lgkmcnt(0)
	s_ashr_i32 s0, s51, 31
	v_or_b32_e32 v3, s0, v9
	v_cmp_ne_u64_e32 vcc, 0, v[2:3]
	s_and_saveexec_b64 s[30:31], vcc
	s_xor_b64 s[30:31], exec, s[30:31]
	s_cbranch_execz .LBB52_29
; %bb.28:                               ;   in Loop: Header=BB52_23 Depth=2
	s_add_u32 s36, s51, s0
	s_mov_b32 s34, s0
	s_mov_b32 s35, s0
	s_addc_u32 s37, s0, s0
	s_xor_b64 s[36:37], s[36:37], s[34:35]
	v_cvt_f32_u32_e32 v3, s36
	v_cvt_f32_u32_e32 v5, s37
	s_sub_u32 s0, 0, s36
	s_subb_u32 s1, 0, s37
	v_mac_f32_e32 v3, 0x4f800000, v5
	v_rcp_f32_e32 v3, v3
	v_mul_f32_e32 v3, 0x5f7ffffc, v3
	v_mul_f32_e32 v5, 0x2f800000, v3
	v_trunc_f32_e32 v5, v5
	v_mac_f32_e32 v3, 0xcf800000, v5
	v_cvt_u32_f32_e32 v5, v5
	v_cvt_u32_f32_e32 v3, v3
	v_mul_lo_u32 v7, s0, v5
	v_mul_hi_u32 v11, s0, v3
	v_mul_lo_u32 v10, s1, v3
	v_add_u32_e32 v7, v11, v7
	v_mul_lo_u32 v12, s0, v3
	v_add_u32_e32 v7, v7, v10
	v_mul_lo_u32 v11, v3, v7
	v_mul_hi_u32 v13, v3, v12
	v_mul_hi_u32 v10, v3, v7
	v_add_co_u32_e32 v11, vcc, v13, v11
	v_addc_co_u32_e32 v10, vcc, 0, v10, vcc
	v_mul_hi_u32 v14, v5, v12
	v_mul_lo_u32 v12, v5, v12
	v_add_co_u32_e32 v11, vcc, v11, v12
	v_mul_hi_u32 v13, v5, v7
	v_addc_co_u32_e32 v10, vcc, v10, v14, vcc
	v_addc_co_u32_e32 v11, vcc, 0, v13, vcc
	v_mul_lo_u32 v7, v5, v7
	v_add_co_u32_e32 v7, vcc, v10, v7
	v_addc_co_u32_e32 v10, vcc, 0, v11, vcc
	v_add_co_u32_e32 v3, vcc, v3, v7
	v_addc_co_u32_e32 v5, vcc, v5, v10, vcc
	v_mul_lo_u32 v7, s0, v5
	v_mul_hi_u32 v10, s0, v3
	v_add_u32_e32 v7, v10, v7
	v_mul_lo_u32 v10, s1, v3
	v_add_u32_e32 v7, v7, v10
	v_mul_lo_u32 v11, s0, v3
	v_mul_hi_u32 v12, v5, v11
	v_mul_lo_u32 v13, v5, v11
	v_mul_lo_u32 v15, v3, v7
	v_mul_hi_u32 v11, v3, v11
	v_mul_hi_u32 v14, v3, v7
	v_add_co_u32_e32 v11, vcc, v11, v15
	v_addc_co_u32_e32 v14, vcc, 0, v14, vcc
	v_add_co_u32_e32 v11, vcc, v11, v13
	v_mul_hi_u32 v10, v5, v7
	v_addc_co_u32_e32 v11, vcc, v14, v12, vcc
	v_addc_co_u32_e32 v10, vcc, 0, v10, vcc
	v_mul_lo_u32 v7, v5, v7
	v_add_co_u32_e32 v7, vcc, v11, v7
	v_addc_co_u32_e32 v10, vcc, 0, v10, vcc
	v_add_co_u32_e32 v3, vcc, v3, v7
	v_addc_co_u32_e32 v5, vcc, v5, v10, vcc
	v_ashrrev_i32_e32 v7, 31, v9
	v_add_co_u32_e32 v10, vcc, v8, v7
	v_xor_b32_e32 v14, v10, v7
	v_addc_co_u32_e32 v9, vcc, v9, v7, vcc
	v_mad_u64_u32 v[10:11], s[0:1], v14, v5, 0
	v_mul_hi_u32 v12, v14, v3
	v_xor_b32_e32 v9, v9, v7
	v_add_co_u32_e32 v15, vcc, v12, v10
	v_addc_co_u32_e32 v16, vcc, 0, v11, vcc
	v_mad_u64_u32 v[12:13], s[0:1], v9, v3, 0
	v_add_co_u32_e32 v3, vcc, v15, v12
	v_mad_u64_u32 v[10:11], s[0:1], v9, v5, 0
	v_addc_co_u32_e32 v3, vcc, v16, v13, vcc
	v_addc_co_u32_e32 v5, vcc, 0, v11, vcc
	v_add_co_u32_e32 v3, vcc, v3, v10
	v_addc_co_u32_e32 v5, vcc, 0, v5, vcc
	v_mul_lo_u32 v12, s37, v3
	v_mul_lo_u32 v13, s36, v5
	v_mad_u64_u32 v[10:11], s[0:1], s36, v3, 0
	v_add3_u32 v11, v11, v13, v12
	v_sub_u32_e32 v12, v9, v11
	v_mov_b32_e32 v13, s37
	v_sub_co_u32_e32 v10, vcc, v14, v10
	v_subb_co_u32_e64 v12, s[0:1], v12, v13, vcc
	v_subrev_co_u32_e64 v13, s[0:1], s36, v10
	v_subbrev_co_u32_e64 v12, s[0:1], 0, v12, s[0:1]
	v_cmp_le_u32_e64 s[0:1], s37, v12
	v_cndmask_b32_e64 v14, 0, -1, s[0:1]
	v_cmp_le_u32_e64 s[0:1], s36, v13
	v_cndmask_b32_e64 v13, 0, -1, s[0:1]
	v_cmp_eq_u32_e64 s[0:1], s37, v12
	v_cndmask_b32_e64 v12, v14, v13, s[0:1]
	v_add_co_u32_e64 v13, s[0:1], 2, v3
	v_subb_co_u32_e32 v9, vcc, v9, v11, vcc
	v_addc_co_u32_e64 v14, s[0:1], 0, v5, s[0:1]
	v_cmp_le_u32_e32 vcc, s37, v9
	v_add_co_u32_e64 v15, s[0:1], 1, v3
	v_cndmask_b32_e64 v11, 0, -1, vcc
	v_cmp_le_u32_e32 vcc, s36, v10
	v_addc_co_u32_e64 v16, s[0:1], 0, v5, s[0:1]
	v_cndmask_b32_e64 v10, 0, -1, vcc
	v_cmp_eq_u32_e32 vcc, s37, v9
	v_cmp_ne_u32_e64 s[0:1], 0, v12
	v_cndmask_b32_e32 v9, v11, v10, vcc
	v_cmp_ne_u32_e32 vcc, 0, v9
	v_cndmask_b32_e64 v9, v15, v13, s[0:1]
	v_cndmask_b32_e64 v12, v16, v14, s[0:1]
	v_cndmask_b32_e32 v3, v3, v9, vcc
	v_xor_b32_e32 v9, s35, v7
	v_xor_b32_e32 v7, s34, v7
	v_cndmask_b32_e32 v5, v5, v12, vcc
	v_xor_b32_e32 v3, v3, v7
	v_xor_b32_e32 v5, v5, v9
	v_sub_co_u32_e32 v10, vcc, v3, v7
	v_subb_co_u32_e32 v11, vcc, v5, v9, vcc
.LBB52_29:                              ;   in Loop: Header=BB52_23 Depth=2
	s_andn2_saveexec_b64 s[0:1], s[30:31]
	s_cbranch_execz .LBB52_31
; %bb.30:                               ;   in Loop: Header=BB52_23 Depth=2
	v_cvt_f32_u32_e32 v3, s51
	s_sub_i32 s16, 0, s51
	v_mov_b32_e32 v11, v2
	v_rcp_iflag_f32_e32 v3, v3
	v_mul_f32_e32 v3, 0x4f7ffffe, v3
	v_cvt_u32_f32_e32 v3, v3
	v_mul_lo_u32 v5, s16, v3
	v_mul_hi_u32 v5, v3, v5
	v_add_u32_e32 v3, v3, v5
	v_mul_hi_u32 v3, v8, v3
	v_mul_lo_u32 v5, v3, s51
	v_sub_u32_e32 v5, v8, v5
	v_add_u32_e32 v7, 1, v3
	v_subrev_u32_e32 v9, s51, v5
	v_cmp_le_u32_e32 vcc, s51, v5
	v_cndmask_b32_e32 v5, v5, v9, vcc
	v_cndmask_b32_e32 v3, v3, v7, vcc
	v_add_u32_e32 v7, 1, v3
	v_cmp_le_u32_e32 vcc, s51, v5
	v_cndmask_b32_e32 v10, v3, v7, vcc
.LBB52_31:                              ;   in Loop: Header=BB52_23 Depth=2
	s_or_b64 exec, exec, s[0:1]
	s_add_u32 s0, s43, s28
	s_addc_u32 s1, s44, s29
	s_add_i32 s16, s26, 5
	s_lshl_b64 s[28:29], s[16:17], 2
	s_add_u32 s30, s39, s28
	s_addc_u32 s31, s40, s29
	s_load_dword s53, s[30:31], 0x0
	s_load_dword s54, s[0:1], 0x0
                                        ; implicit-def: $vgpr12_vgpr13
	s_waitcnt lgkmcnt(0)
	s_ashr_i32 s0, s53, 31
	v_or_b32_e32 v3, s0, v11
	v_cmp_ne_u64_e32 vcc, 0, v[2:3]
	s_and_saveexec_b64 s[30:31], vcc
	s_xor_b64 s[30:31], exec, s[30:31]
	s_cbranch_execz .LBB52_33
; %bb.32:                               ;   in Loop: Header=BB52_23 Depth=2
	s_add_u32 s36, s53, s0
	s_mov_b32 s34, s0
	s_mov_b32 s35, s0
	s_addc_u32 s37, s0, s0
	s_xor_b64 s[36:37], s[36:37], s[34:35]
	v_cvt_f32_u32_e32 v3, s36
	v_cvt_f32_u32_e32 v5, s37
	s_sub_u32 s0, 0, s36
	s_subb_u32 s1, 0, s37
	v_mac_f32_e32 v3, 0x4f800000, v5
	v_rcp_f32_e32 v3, v3
	v_mul_f32_e32 v3, 0x5f7ffffc, v3
	v_mul_f32_e32 v5, 0x2f800000, v3
	v_trunc_f32_e32 v5, v5
	v_mac_f32_e32 v3, 0xcf800000, v5
	v_cvt_u32_f32_e32 v5, v5
	v_cvt_u32_f32_e32 v3, v3
	v_mul_lo_u32 v7, s0, v5
	v_mul_hi_u32 v12, s0, v3
	v_mul_lo_u32 v9, s1, v3
	v_add_u32_e32 v7, v12, v7
	v_mul_lo_u32 v13, s0, v3
	v_add_u32_e32 v7, v7, v9
	v_mul_lo_u32 v12, v3, v7
	v_mul_hi_u32 v14, v3, v13
	v_mul_hi_u32 v9, v3, v7
	v_add_co_u32_e32 v12, vcc, v14, v12
	v_addc_co_u32_e32 v9, vcc, 0, v9, vcc
	v_mul_hi_u32 v15, v5, v13
	v_mul_lo_u32 v13, v5, v13
	v_add_co_u32_e32 v12, vcc, v12, v13
	v_mul_hi_u32 v14, v5, v7
	v_addc_co_u32_e32 v9, vcc, v9, v15, vcc
	v_addc_co_u32_e32 v12, vcc, 0, v14, vcc
	v_mul_lo_u32 v7, v5, v7
	v_add_co_u32_e32 v7, vcc, v9, v7
	v_addc_co_u32_e32 v9, vcc, 0, v12, vcc
	v_add_co_u32_e32 v3, vcc, v3, v7
	v_addc_co_u32_e32 v5, vcc, v5, v9, vcc
	v_mul_lo_u32 v7, s0, v5
	v_mul_hi_u32 v9, s0, v3
	v_add_u32_e32 v7, v9, v7
	v_mul_lo_u32 v9, s1, v3
	v_add_u32_e32 v7, v7, v9
	v_mul_lo_u32 v12, s0, v3
	v_mul_hi_u32 v13, v5, v12
	v_mul_lo_u32 v14, v5, v12
	v_mul_lo_u32 v16, v3, v7
	v_mul_hi_u32 v12, v3, v12
	v_mul_hi_u32 v15, v3, v7
	v_add_co_u32_e32 v12, vcc, v12, v16
	v_addc_co_u32_e32 v15, vcc, 0, v15, vcc
	v_add_co_u32_e32 v12, vcc, v12, v14
	v_mul_hi_u32 v9, v5, v7
	v_addc_co_u32_e32 v12, vcc, v15, v13, vcc
	v_addc_co_u32_e32 v9, vcc, 0, v9, vcc
	v_mul_lo_u32 v7, v5, v7
	v_add_co_u32_e32 v7, vcc, v12, v7
	v_addc_co_u32_e32 v9, vcc, 0, v9, vcc
	v_add_co_u32_e32 v3, vcc, v3, v7
	v_addc_co_u32_e32 v5, vcc, v5, v9, vcc
	v_ashrrev_i32_e32 v7, 31, v11
	v_add_co_u32_e32 v9, vcc, v10, v7
	v_xor_b32_e32 v9, v9, v7
	v_addc_co_u32_e32 v11, vcc, v11, v7, vcc
	v_mad_u64_u32 v[12:13], s[0:1], v9, v5, 0
	v_mul_hi_u32 v14, v9, v3
	v_xor_b32_e32 v11, v11, v7
	v_add_co_u32_e32 v16, vcc, v14, v12
	v_addc_co_u32_e32 v17, vcc, 0, v13, vcc
	v_mad_u64_u32 v[14:15], s[0:1], v11, v3, 0
	v_add_co_u32_e32 v3, vcc, v16, v14
	v_mad_u64_u32 v[12:13], s[0:1], v11, v5, 0
	v_addc_co_u32_e32 v3, vcc, v17, v15, vcc
	v_addc_co_u32_e32 v5, vcc, 0, v13, vcc
	v_add_co_u32_e32 v3, vcc, v3, v12
	v_addc_co_u32_e32 v5, vcc, 0, v5, vcc
	v_mul_lo_u32 v14, s37, v3
	v_mul_lo_u32 v15, s36, v5
	v_mad_u64_u32 v[12:13], s[0:1], s36, v3, 0
	v_add3_u32 v13, v13, v15, v14
	v_sub_u32_e32 v14, v11, v13
	v_mov_b32_e32 v15, s37
	v_sub_co_u32_e32 v9, vcc, v9, v12
	v_subb_co_u32_e64 v12, s[0:1], v14, v15, vcc
	v_subrev_co_u32_e64 v14, s[0:1], s36, v9
	v_subbrev_co_u32_e64 v12, s[0:1], 0, v12, s[0:1]
	v_cmp_le_u32_e64 s[0:1], s37, v12
	v_cndmask_b32_e64 v15, 0, -1, s[0:1]
	v_cmp_le_u32_e64 s[0:1], s36, v14
	v_cndmask_b32_e64 v14, 0, -1, s[0:1]
	v_cmp_eq_u32_e64 s[0:1], s37, v12
	v_cndmask_b32_e64 v12, v15, v14, s[0:1]
	v_add_co_u32_e64 v14, s[0:1], 2, v3
	v_subb_co_u32_e32 v11, vcc, v11, v13, vcc
	v_addc_co_u32_e64 v15, s[0:1], 0, v5, s[0:1]
	v_cmp_le_u32_e32 vcc, s37, v11
	v_add_co_u32_e64 v16, s[0:1], 1, v3
	v_cndmask_b32_e64 v13, 0, -1, vcc
	v_cmp_le_u32_e32 vcc, s36, v9
	v_addc_co_u32_e64 v17, s[0:1], 0, v5, s[0:1]
	v_cndmask_b32_e64 v9, 0, -1, vcc
	v_cmp_eq_u32_e32 vcc, s37, v11
	v_cmp_ne_u32_e64 s[0:1], 0, v12
	v_cndmask_b32_e32 v9, v13, v9, vcc
	v_cmp_ne_u32_e32 vcc, 0, v9
	v_cndmask_b32_e64 v9, v16, v14, s[0:1]
	v_cndmask_b32_e64 v12, v17, v15, s[0:1]
	v_cndmask_b32_e32 v3, v3, v9, vcc
	v_xor_b32_e32 v9, s35, v7
	v_xor_b32_e32 v7, s34, v7
	v_cndmask_b32_e32 v5, v5, v12, vcc
	v_xor_b32_e32 v3, v3, v7
	v_xor_b32_e32 v5, v5, v9
	v_sub_co_u32_e32 v12, vcc, v3, v7
	v_subb_co_u32_e32 v13, vcc, v5, v9, vcc
.LBB52_33:                              ;   in Loop: Header=BB52_23 Depth=2
	s_andn2_saveexec_b64 s[0:1], s[30:31]
	s_cbranch_execz .LBB52_35
; %bb.34:                               ;   in Loop: Header=BB52_23 Depth=2
	v_cvt_f32_u32_e32 v3, s53
	s_sub_i32 s16, 0, s53
	v_mov_b32_e32 v13, v2
	v_rcp_iflag_f32_e32 v3, v3
	v_mul_f32_e32 v3, 0x4f7ffffe, v3
	v_cvt_u32_f32_e32 v3, v3
	v_mul_lo_u32 v5, s16, v3
	v_mul_hi_u32 v5, v3, v5
	v_add_u32_e32 v3, v3, v5
	v_mul_hi_u32 v3, v10, v3
	v_mul_lo_u32 v5, v3, s53
	v_sub_u32_e32 v5, v10, v5
	v_add_u32_e32 v7, 1, v3
	v_subrev_u32_e32 v9, s53, v5
	v_cmp_le_u32_e32 vcc, s53, v5
	v_cndmask_b32_e32 v5, v5, v9, vcc
	v_cndmask_b32_e32 v3, v3, v7, vcc
	v_add_u32_e32 v7, 1, v3
	v_cmp_le_u32_e32 vcc, s53, v5
	v_cndmask_b32_e32 v12, v3, v7, vcc
.LBB52_35:                              ;   in Loop: Header=BB52_23 Depth=2
	s_or_b64 exec, exec, s[0:1]
	s_add_u32 s0, s43, s28
	s_addc_u32 s1, s44, s29
	s_add_i32 s16, s26, 4
	s_lshl_b64 s[28:29], s[16:17], 2
	s_add_u32 s30, s39, s28
	s_addc_u32 s31, s40, s29
	s_load_dword s55, s[30:31], 0x0
	s_load_dword s56, s[0:1], 0x0
                                        ; implicit-def: $vgpr14_vgpr15
	s_waitcnt lgkmcnt(0)
	s_ashr_i32 s0, s55, 31
	v_or_b32_e32 v3, s0, v13
	v_cmp_ne_u64_e32 vcc, 0, v[2:3]
	s_and_saveexec_b64 s[30:31], vcc
	s_xor_b64 s[30:31], exec, s[30:31]
	s_cbranch_execz .LBB52_37
; %bb.36:                               ;   in Loop: Header=BB52_23 Depth=2
	s_add_u32 s36, s55, s0
	s_mov_b32 s34, s0
	s_mov_b32 s35, s0
	s_addc_u32 s37, s0, s0
	s_xor_b64 s[36:37], s[36:37], s[34:35]
	v_cvt_f32_u32_e32 v3, s36
	v_cvt_f32_u32_e32 v5, s37
	s_sub_u32 s0, 0, s36
	s_subb_u32 s1, 0, s37
	v_mac_f32_e32 v3, 0x4f800000, v5
	v_rcp_f32_e32 v3, v3
	v_mul_f32_e32 v3, 0x5f7ffffc, v3
	v_mul_f32_e32 v5, 0x2f800000, v3
	v_trunc_f32_e32 v5, v5
	v_mac_f32_e32 v3, 0xcf800000, v5
	v_cvt_u32_f32_e32 v5, v5
	v_cvt_u32_f32_e32 v3, v3
	v_mul_lo_u32 v7, s0, v5
	v_mul_hi_u32 v11, s0, v3
	v_mul_lo_u32 v9, s1, v3
	v_add_u32_e32 v7, v11, v7
	v_mul_lo_u32 v14, s0, v3
	v_add_u32_e32 v7, v7, v9
	v_mul_lo_u32 v11, v3, v7
	v_mul_hi_u32 v15, v3, v14
	v_mul_hi_u32 v9, v3, v7
	v_add_co_u32_e32 v11, vcc, v15, v11
	v_addc_co_u32_e32 v9, vcc, 0, v9, vcc
	v_mul_hi_u32 v16, v5, v14
	v_mul_lo_u32 v14, v5, v14
	v_add_co_u32_e32 v11, vcc, v11, v14
	v_mul_hi_u32 v15, v5, v7
	v_addc_co_u32_e32 v9, vcc, v9, v16, vcc
	v_addc_co_u32_e32 v11, vcc, 0, v15, vcc
	v_mul_lo_u32 v7, v5, v7
	v_add_co_u32_e32 v7, vcc, v9, v7
	v_addc_co_u32_e32 v9, vcc, 0, v11, vcc
	v_add_co_u32_e32 v3, vcc, v3, v7
	v_addc_co_u32_e32 v5, vcc, v5, v9, vcc
	v_mul_lo_u32 v7, s0, v5
	v_mul_hi_u32 v9, s0, v3
	v_add_u32_e32 v7, v9, v7
	v_mul_lo_u32 v9, s1, v3
	v_add_u32_e32 v7, v7, v9
	v_mul_lo_u32 v11, s0, v3
	v_mul_hi_u32 v14, v5, v11
	v_mul_lo_u32 v15, v5, v11
	v_mul_lo_u32 v17, v3, v7
	v_mul_hi_u32 v11, v3, v11
	v_mul_hi_u32 v16, v3, v7
	v_add_co_u32_e32 v11, vcc, v11, v17
	v_addc_co_u32_e32 v16, vcc, 0, v16, vcc
	v_add_co_u32_e32 v11, vcc, v11, v15
	v_mul_hi_u32 v9, v5, v7
	v_addc_co_u32_e32 v11, vcc, v16, v14, vcc
	v_addc_co_u32_e32 v9, vcc, 0, v9, vcc
	v_mul_lo_u32 v7, v5, v7
	v_add_co_u32_e32 v7, vcc, v11, v7
	v_addc_co_u32_e32 v9, vcc, 0, v9, vcc
	v_add_co_u32_e32 v3, vcc, v3, v7
	v_addc_co_u32_e32 v5, vcc, v5, v9, vcc
	v_ashrrev_i32_e32 v7, 31, v13
	v_add_co_u32_e32 v9, vcc, v12, v7
	v_xor_b32_e32 v9, v9, v7
	v_addc_co_u32_e32 v11, vcc, v13, v7, vcc
	v_mad_u64_u32 v[14:15], s[0:1], v9, v5, 0
	v_mul_hi_u32 v13, v9, v3
	v_xor_b32_e32 v11, v11, v7
	v_add_co_u32_e32 v13, vcc, v13, v14
	v_addc_co_u32_e32 v18, vcc, 0, v15, vcc
	v_mad_u64_u32 v[16:17], s[0:1], v11, v3, 0
	v_add_co_u32_e32 v3, vcc, v13, v16
	v_mad_u64_u32 v[14:15], s[0:1], v11, v5, 0
	v_addc_co_u32_e32 v3, vcc, v18, v17, vcc
	v_addc_co_u32_e32 v5, vcc, 0, v15, vcc
	v_add_co_u32_e32 v3, vcc, v3, v14
	v_addc_co_u32_e32 v5, vcc, 0, v5, vcc
	v_mul_lo_u32 v13, s37, v3
	v_mul_lo_u32 v16, s36, v5
	v_mad_u64_u32 v[14:15], s[0:1], s36, v3, 0
	v_add3_u32 v13, v15, v16, v13
	v_sub_u32_e32 v15, v11, v13
	v_mov_b32_e32 v16, s37
	v_sub_co_u32_e32 v9, vcc, v9, v14
	v_subb_co_u32_e64 v14, s[0:1], v15, v16, vcc
	v_subrev_co_u32_e64 v15, s[0:1], s36, v9
	v_subbrev_co_u32_e64 v14, s[0:1], 0, v14, s[0:1]
	v_cmp_le_u32_e64 s[0:1], s37, v14
	v_cndmask_b32_e64 v16, 0, -1, s[0:1]
	v_cmp_le_u32_e64 s[0:1], s36, v15
	v_cndmask_b32_e64 v15, 0, -1, s[0:1]
	v_cmp_eq_u32_e64 s[0:1], s37, v14
	v_cndmask_b32_e64 v14, v16, v15, s[0:1]
	v_add_co_u32_e64 v15, s[0:1], 2, v3
	v_subb_co_u32_e32 v11, vcc, v11, v13, vcc
	v_addc_co_u32_e64 v16, s[0:1], 0, v5, s[0:1]
	v_cmp_le_u32_e32 vcc, s37, v11
	v_add_co_u32_e64 v17, s[0:1], 1, v3
	v_cndmask_b32_e64 v13, 0, -1, vcc
	v_cmp_le_u32_e32 vcc, s36, v9
	v_addc_co_u32_e64 v18, s[0:1], 0, v5, s[0:1]
	v_cndmask_b32_e64 v9, 0, -1, vcc
	v_cmp_eq_u32_e32 vcc, s37, v11
	v_cmp_ne_u32_e64 s[0:1], 0, v14
	v_cndmask_b32_e32 v9, v13, v9, vcc
	v_cmp_ne_u32_e32 vcc, 0, v9
	v_cndmask_b32_e64 v9, v17, v15, s[0:1]
	v_cndmask_b32_e64 v14, v18, v16, s[0:1]
	v_cndmask_b32_e32 v3, v3, v9, vcc
	v_xor_b32_e32 v9, s35, v7
	v_xor_b32_e32 v7, s34, v7
	v_cndmask_b32_e32 v5, v5, v14, vcc
	v_xor_b32_e32 v3, v3, v7
	v_xor_b32_e32 v5, v5, v9
	v_sub_co_u32_e32 v14, vcc, v3, v7
	v_subb_co_u32_e32 v15, vcc, v5, v9, vcc
.LBB52_37:                              ;   in Loop: Header=BB52_23 Depth=2
	s_andn2_saveexec_b64 s[0:1], s[30:31]
	s_cbranch_execz .LBB52_39
; %bb.38:                               ;   in Loop: Header=BB52_23 Depth=2
	v_cvt_f32_u32_e32 v3, s55
	s_sub_i32 s16, 0, s55
	v_mov_b32_e32 v15, v2
	v_rcp_iflag_f32_e32 v3, v3
	v_mul_f32_e32 v3, 0x4f7ffffe, v3
	v_cvt_u32_f32_e32 v3, v3
	v_mul_lo_u32 v5, s16, v3
	v_mul_hi_u32 v5, v3, v5
	v_add_u32_e32 v3, v3, v5
	v_mul_hi_u32 v3, v12, v3
	v_mul_lo_u32 v5, v3, s55
	v_sub_u32_e32 v5, v12, v5
	v_add_u32_e32 v7, 1, v3
	v_subrev_u32_e32 v9, s55, v5
	v_cmp_le_u32_e32 vcc, s55, v5
	v_cndmask_b32_e32 v5, v5, v9, vcc
	v_cndmask_b32_e32 v3, v3, v7, vcc
	v_add_u32_e32 v7, 1, v3
	v_cmp_le_u32_e32 vcc, s55, v5
	v_cndmask_b32_e32 v14, v3, v7, vcc
.LBB52_39:                              ;   in Loop: Header=BB52_23 Depth=2
	s_or_b64 exec, exec, s[0:1]
	s_add_u32 s0, s43, s28
	s_addc_u32 s1, s44, s29
	s_add_i32 s16, s26, 3
	s_lshl_b64 s[28:29], s[16:17], 2
	s_add_u32 s30, s39, s28
	s_addc_u32 s31, s40, s29
	s_load_dword s57, s[30:31], 0x0
	s_load_dword s58, s[0:1], 0x0
                                        ; implicit-def: $vgpr16_vgpr17
	s_waitcnt lgkmcnt(0)
	s_ashr_i32 s0, s57, 31
	v_or_b32_e32 v3, s0, v15
	v_cmp_ne_u64_e32 vcc, 0, v[2:3]
	s_and_saveexec_b64 s[30:31], vcc
	s_xor_b64 s[30:31], exec, s[30:31]
	s_cbranch_execz .LBB52_41
; %bb.40:                               ;   in Loop: Header=BB52_23 Depth=2
	s_add_u32 s36, s57, s0
	s_mov_b32 s34, s0
	s_mov_b32 s35, s0
	s_addc_u32 s37, s0, s0
	s_xor_b64 s[36:37], s[36:37], s[34:35]
	v_cvt_f32_u32_e32 v3, s36
	v_cvt_f32_u32_e32 v5, s37
	s_sub_u32 s0, 0, s36
	s_subb_u32 s1, 0, s37
	v_mac_f32_e32 v3, 0x4f800000, v5
	v_rcp_f32_e32 v3, v3
	v_mul_f32_e32 v3, 0x5f7ffffc, v3
	v_mul_f32_e32 v5, 0x2f800000, v3
	v_trunc_f32_e32 v5, v5
	v_mac_f32_e32 v3, 0xcf800000, v5
	v_cvt_u32_f32_e32 v5, v5
	v_cvt_u32_f32_e32 v3, v3
	v_mul_lo_u32 v7, s0, v5
	v_mul_hi_u32 v11, s0, v3
	v_mul_lo_u32 v9, s1, v3
	v_add_u32_e32 v7, v11, v7
	v_mul_lo_u32 v13, s0, v3
	v_add_u32_e32 v7, v7, v9
	v_mul_lo_u32 v11, v3, v7
	v_mul_hi_u32 v16, v3, v13
	v_mul_hi_u32 v9, v3, v7
	v_add_co_u32_e32 v11, vcc, v16, v11
	v_addc_co_u32_e32 v9, vcc, 0, v9, vcc
	v_mul_hi_u32 v17, v5, v13
	v_mul_lo_u32 v13, v5, v13
	v_add_co_u32_e32 v11, vcc, v11, v13
	v_mul_hi_u32 v16, v5, v7
	v_addc_co_u32_e32 v9, vcc, v9, v17, vcc
	v_addc_co_u32_e32 v11, vcc, 0, v16, vcc
	v_mul_lo_u32 v7, v5, v7
	v_add_co_u32_e32 v7, vcc, v9, v7
	v_addc_co_u32_e32 v9, vcc, 0, v11, vcc
	v_add_co_u32_e32 v3, vcc, v3, v7
	v_addc_co_u32_e32 v5, vcc, v5, v9, vcc
	v_mul_lo_u32 v7, s0, v5
	v_mul_hi_u32 v9, s0, v3
	v_add_u32_e32 v7, v9, v7
	v_mul_lo_u32 v9, s1, v3
	v_add_u32_e32 v7, v7, v9
	v_mul_lo_u32 v11, s0, v3
	v_mul_hi_u32 v13, v5, v11
	v_mul_lo_u32 v16, v5, v11
	v_mul_lo_u32 v18, v3, v7
	v_mul_hi_u32 v11, v3, v11
	v_mul_hi_u32 v17, v3, v7
	v_add_co_u32_e32 v11, vcc, v11, v18
	v_addc_co_u32_e32 v17, vcc, 0, v17, vcc
	v_add_co_u32_e32 v11, vcc, v11, v16
	v_mul_hi_u32 v9, v5, v7
	v_addc_co_u32_e32 v11, vcc, v17, v13, vcc
	v_addc_co_u32_e32 v9, vcc, 0, v9, vcc
	v_mul_lo_u32 v7, v5, v7
	v_add_co_u32_e32 v7, vcc, v11, v7
	v_addc_co_u32_e32 v9, vcc, 0, v9, vcc
	v_add_co_u32_e32 v3, vcc, v3, v7
	v_addc_co_u32_e32 v5, vcc, v5, v9, vcc
	v_ashrrev_i32_e32 v7, 31, v15
	v_add_co_u32_e32 v9, vcc, v14, v7
	v_xor_b32_e32 v9, v9, v7
	v_addc_co_u32_e32 v11, vcc, v15, v7, vcc
	v_mad_u64_u32 v[16:17], s[0:1], v9, v5, 0
	v_mul_hi_u32 v13, v9, v3
	v_xor_b32_e32 v11, v11, v7
	v_add_co_u32_e32 v13, vcc, v13, v16
	v_addc_co_u32_e32 v15, vcc, 0, v17, vcc
	v_mad_u64_u32 v[18:19], s[0:1], v11, v3, 0
	v_add_co_u32_e32 v3, vcc, v13, v18
	v_mad_u64_u32 v[16:17], s[0:1], v11, v5, 0
	v_addc_co_u32_e32 v3, vcc, v15, v19, vcc
	v_addc_co_u32_e32 v5, vcc, 0, v17, vcc
	v_add_co_u32_e32 v3, vcc, v3, v16
	v_addc_co_u32_e32 v5, vcc, 0, v5, vcc
	v_mul_lo_u32 v13, s37, v3
	v_mul_lo_u32 v15, s36, v5
	v_mad_u64_u32 v[16:17], s[0:1], s36, v3, 0
	v_add3_u32 v13, v17, v15, v13
	v_sub_u32_e32 v15, v11, v13
	v_mov_b32_e32 v17, s37
	v_sub_co_u32_e32 v9, vcc, v9, v16
	v_subb_co_u32_e64 v15, s[0:1], v15, v17, vcc
	v_subrev_co_u32_e64 v16, s[0:1], s36, v9
	v_subbrev_co_u32_e64 v15, s[0:1], 0, v15, s[0:1]
	v_cmp_le_u32_e64 s[0:1], s37, v15
	v_cndmask_b32_e64 v17, 0, -1, s[0:1]
	v_cmp_le_u32_e64 s[0:1], s36, v16
	v_cndmask_b32_e64 v16, 0, -1, s[0:1]
	v_cmp_eq_u32_e64 s[0:1], s37, v15
	v_cndmask_b32_e64 v15, v17, v16, s[0:1]
	v_add_co_u32_e64 v16, s[0:1], 2, v3
	v_subb_co_u32_e32 v11, vcc, v11, v13, vcc
	v_addc_co_u32_e64 v17, s[0:1], 0, v5, s[0:1]
	v_cmp_le_u32_e32 vcc, s37, v11
	v_add_co_u32_e64 v18, s[0:1], 1, v3
	v_cndmask_b32_e64 v13, 0, -1, vcc
	v_cmp_le_u32_e32 vcc, s36, v9
	v_addc_co_u32_e64 v19, s[0:1], 0, v5, s[0:1]
	v_cndmask_b32_e64 v9, 0, -1, vcc
	v_cmp_eq_u32_e32 vcc, s37, v11
	v_cmp_ne_u32_e64 s[0:1], 0, v15
	v_cndmask_b32_e32 v9, v13, v9, vcc
	v_cmp_ne_u32_e32 vcc, 0, v9
	v_cndmask_b32_e64 v9, v18, v16, s[0:1]
	v_cndmask_b32_e64 v15, v19, v17, s[0:1]
	v_cndmask_b32_e32 v3, v3, v9, vcc
	v_xor_b32_e32 v9, s35, v7
	v_xor_b32_e32 v7, s34, v7
	v_cndmask_b32_e32 v5, v5, v15, vcc
	v_xor_b32_e32 v3, v3, v7
	v_xor_b32_e32 v5, v5, v9
	v_sub_co_u32_e32 v16, vcc, v3, v7
	v_subb_co_u32_e32 v17, vcc, v5, v9, vcc
.LBB52_41:                              ;   in Loop: Header=BB52_23 Depth=2
	s_andn2_saveexec_b64 s[0:1], s[30:31]
	s_cbranch_execz .LBB52_43
; %bb.42:                               ;   in Loop: Header=BB52_23 Depth=2
	v_cvt_f32_u32_e32 v3, s57
	s_sub_i32 s16, 0, s57
	v_mov_b32_e32 v17, v2
	v_rcp_iflag_f32_e32 v3, v3
	v_mul_f32_e32 v3, 0x4f7ffffe, v3
	v_cvt_u32_f32_e32 v3, v3
	v_mul_lo_u32 v5, s16, v3
	v_mul_hi_u32 v5, v3, v5
	v_add_u32_e32 v3, v3, v5
	v_mul_hi_u32 v3, v14, v3
	v_mul_lo_u32 v5, v3, s57
	v_sub_u32_e32 v5, v14, v5
	v_add_u32_e32 v7, 1, v3
	v_subrev_u32_e32 v9, s57, v5
	v_cmp_le_u32_e32 vcc, s57, v5
	v_cndmask_b32_e32 v5, v5, v9, vcc
	v_cndmask_b32_e32 v3, v3, v7, vcc
	v_add_u32_e32 v7, 1, v3
	v_cmp_le_u32_e32 vcc, s57, v5
	v_cndmask_b32_e32 v16, v3, v7, vcc
.LBB52_43:                              ;   in Loop: Header=BB52_23 Depth=2
	s_or_b64 exec, exec, s[0:1]
	s_add_u32 s0, s43, s28
	s_addc_u32 s1, s44, s29
	s_add_i32 s16, s26, 2
	s_lshl_b64 s[28:29], s[16:17], 2
	s_add_u32 s30, s39, s28
	s_addc_u32 s31, s40, s29
	s_load_dword s59, s[30:31], 0x0
	s_load_dword s60, s[0:1], 0x0
                                        ; implicit-def: $vgpr18_vgpr19
	s_waitcnt lgkmcnt(0)
	s_ashr_i32 s0, s59, 31
	v_or_b32_e32 v3, s0, v17
	v_cmp_ne_u64_e32 vcc, 0, v[2:3]
	s_and_saveexec_b64 s[30:31], vcc
	s_xor_b64 s[30:31], exec, s[30:31]
	s_cbranch_execz .LBB52_45
; %bb.44:                               ;   in Loop: Header=BB52_23 Depth=2
	s_add_u32 s36, s59, s0
	s_mov_b32 s34, s0
	s_mov_b32 s35, s0
	s_addc_u32 s37, s0, s0
	s_xor_b64 s[36:37], s[36:37], s[34:35]
	v_cvt_f32_u32_e32 v3, s36
	v_cvt_f32_u32_e32 v5, s37
	s_sub_u32 s0, 0, s36
	s_subb_u32 s1, 0, s37
	v_mac_f32_e32 v3, 0x4f800000, v5
	v_rcp_f32_e32 v3, v3
	v_mul_f32_e32 v3, 0x5f7ffffc, v3
	v_mul_f32_e32 v5, 0x2f800000, v3
	v_trunc_f32_e32 v5, v5
	v_mac_f32_e32 v3, 0xcf800000, v5
	v_cvt_u32_f32_e32 v5, v5
	v_cvt_u32_f32_e32 v3, v3
	v_mul_lo_u32 v7, s0, v5
	v_mul_hi_u32 v11, s0, v3
	v_mul_lo_u32 v9, s1, v3
	v_add_u32_e32 v7, v11, v7
	v_mul_lo_u32 v13, s0, v3
	v_add_u32_e32 v7, v7, v9
	v_mul_lo_u32 v11, v3, v7
	v_mul_hi_u32 v15, v3, v13
	v_mul_hi_u32 v9, v3, v7
	v_add_co_u32_e32 v11, vcc, v15, v11
	v_addc_co_u32_e32 v9, vcc, 0, v9, vcc
	v_mul_hi_u32 v18, v5, v13
	v_mul_lo_u32 v13, v5, v13
	v_add_co_u32_e32 v11, vcc, v11, v13
	v_mul_hi_u32 v15, v5, v7
	v_addc_co_u32_e32 v9, vcc, v9, v18, vcc
	v_addc_co_u32_e32 v11, vcc, 0, v15, vcc
	v_mul_lo_u32 v7, v5, v7
	v_add_co_u32_e32 v7, vcc, v9, v7
	v_addc_co_u32_e32 v9, vcc, 0, v11, vcc
	v_add_co_u32_e32 v3, vcc, v3, v7
	v_addc_co_u32_e32 v5, vcc, v5, v9, vcc
	v_mul_lo_u32 v7, s0, v5
	v_mul_hi_u32 v9, s0, v3
	v_add_u32_e32 v7, v9, v7
	v_mul_lo_u32 v9, s1, v3
	v_add_u32_e32 v7, v7, v9
	v_mul_lo_u32 v11, s0, v3
	v_mul_hi_u32 v13, v5, v11
	v_mul_lo_u32 v15, v5, v11
	v_mul_lo_u32 v19, v3, v7
	v_mul_hi_u32 v11, v3, v11
	v_mul_hi_u32 v18, v3, v7
	v_add_co_u32_e32 v11, vcc, v11, v19
	v_addc_co_u32_e32 v18, vcc, 0, v18, vcc
	v_add_co_u32_e32 v11, vcc, v11, v15
	v_mul_hi_u32 v9, v5, v7
	v_addc_co_u32_e32 v11, vcc, v18, v13, vcc
	v_addc_co_u32_e32 v9, vcc, 0, v9, vcc
	v_mul_lo_u32 v7, v5, v7
	v_add_co_u32_e32 v7, vcc, v11, v7
	v_addc_co_u32_e32 v9, vcc, 0, v9, vcc
	v_add_co_u32_e32 v3, vcc, v3, v7
	v_addc_co_u32_e32 v5, vcc, v5, v9, vcc
	v_ashrrev_i32_e32 v7, 31, v17
	v_add_co_u32_e32 v9, vcc, v16, v7
	v_xor_b32_e32 v9, v9, v7
	v_addc_co_u32_e32 v11, vcc, v17, v7, vcc
	v_mad_u64_u32 v[18:19], s[0:1], v9, v5, 0
	v_mul_hi_u32 v13, v9, v3
	v_xor_b32_e32 v11, v11, v7
	v_add_co_u32_e32 v13, vcc, v13, v18
	v_addc_co_u32_e32 v15, vcc, 0, v19, vcc
	v_mad_u64_u32 v[20:21], s[0:1], v11, v3, 0
	v_add_co_u32_e32 v3, vcc, v13, v20
	v_mad_u64_u32 v[18:19], s[0:1], v11, v5, 0
	v_addc_co_u32_e32 v3, vcc, v15, v21, vcc
	v_addc_co_u32_e32 v5, vcc, 0, v19, vcc
	v_add_co_u32_e32 v3, vcc, v3, v18
	v_addc_co_u32_e32 v5, vcc, 0, v5, vcc
	v_mul_lo_u32 v13, s37, v3
	v_mul_lo_u32 v15, s36, v5
	v_mad_u64_u32 v[18:19], s[0:1], s36, v3, 0
	v_add3_u32 v13, v19, v15, v13
	v_sub_u32_e32 v15, v11, v13
	v_mov_b32_e32 v17, s37
	v_sub_co_u32_e32 v9, vcc, v9, v18
	v_subb_co_u32_e64 v15, s[0:1], v15, v17, vcc
	v_subrev_co_u32_e64 v17, s[0:1], s36, v9
	v_subbrev_co_u32_e64 v15, s[0:1], 0, v15, s[0:1]
	v_cmp_le_u32_e64 s[0:1], s37, v15
	v_cndmask_b32_e64 v18, 0, -1, s[0:1]
	v_cmp_le_u32_e64 s[0:1], s36, v17
	v_cndmask_b32_e64 v17, 0, -1, s[0:1]
	v_cmp_eq_u32_e64 s[0:1], s37, v15
	v_cndmask_b32_e64 v15, v18, v17, s[0:1]
	v_add_co_u32_e64 v17, s[0:1], 2, v3
	v_subb_co_u32_e32 v11, vcc, v11, v13, vcc
	v_addc_co_u32_e64 v18, s[0:1], 0, v5, s[0:1]
	v_cmp_le_u32_e32 vcc, s37, v11
	v_add_co_u32_e64 v19, s[0:1], 1, v3
	v_cndmask_b32_e64 v13, 0, -1, vcc
	v_cmp_le_u32_e32 vcc, s36, v9
	v_addc_co_u32_e64 v20, s[0:1], 0, v5, s[0:1]
	v_cndmask_b32_e64 v9, 0, -1, vcc
	v_cmp_eq_u32_e32 vcc, s37, v11
	v_cmp_ne_u32_e64 s[0:1], 0, v15
	v_cndmask_b32_e32 v9, v13, v9, vcc
	v_cmp_ne_u32_e32 vcc, 0, v9
	v_cndmask_b32_e64 v9, v19, v17, s[0:1]
	v_cndmask_b32_e64 v15, v20, v18, s[0:1]
	v_cndmask_b32_e32 v3, v3, v9, vcc
	v_xor_b32_e32 v9, s35, v7
	v_xor_b32_e32 v7, s34, v7
	v_cndmask_b32_e32 v5, v5, v15, vcc
	v_xor_b32_e32 v3, v3, v7
	v_xor_b32_e32 v5, v5, v9
	v_sub_co_u32_e32 v18, vcc, v3, v7
	v_subb_co_u32_e32 v19, vcc, v5, v9, vcc
.LBB52_45:                              ;   in Loop: Header=BB52_23 Depth=2
	s_andn2_saveexec_b64 s[0:1], s[30:31]
	s_cbranch_execz .LBB52_47
; %bb.46:                               ;   in Loop: Header=BB52_23 Depth=2
	v_cvt_f32_u32_e32 v3, s59
	s_sub_i32 s16, 0, s59
	v_mov_b32_e32 v19, v2
	v_rcp_iflag_f32_e32 v3, v3
	v_mul_f32_e32 v3, 0x4f7ffffe, v3
	v_cvt_u32_f32_e32 v3, v3
	v_mul_lo_u32 v5, s16, v3
	v_mul_hi_u32 v5, v3, v5
	v_add_u32_e32 v3, v3, v5
	v_mul_hi_u32 v3, v16, v3
	v_mul_lo_u32 v5, v3, s59
	v_sub_u32_e32 v5, v16, v5
	v_add_u32_e32 v7, 1, v3
	v_subrev_u32_e32 v9, s59, v5
	v_cmp_le_u32_e32 vcc, s59, v5
	v_cndmask_b32_e32 v5, v5, v9, vcc
	v_cndmask_b32_e32 v3, v3, v7, vcc
	v_add_u32_e32 v7, 1, v3
	v_cmp_le_u32_e32 vcc, s59, v5
	v_cndmask_b32_e32 v18, v3, v7, vcc
.LBB52_47:                              ;   in Loop: Header=BB52_23 Depth=2
	s_or_b64 exec, exec, s[0:1]
	s_add_u32 s0, s43, s28
	s_addc_u32 s1, s44, s29
	s_add_i32 s16, s26, 1
	s_lshl_b64 s[28:29], s[16:17], 2
	s_add_u32 s30, s39, s28
	s_addc_u32 s31, s40, s29
	s_load_dword s16, s[30:31], 0x0
	s_load_dword s61, s[0:1], 0x0
                                        ; implicit-def: $vgpr20_vgpr21
	s_waitcnt lgkmcnt(0)
	s_ashr_i32 s0, s16, 31
	v_or_b32_e32 v3, s0, v19
	v_cmp_ne_u64_e32 vcc, 0, v[2:3]
	s_and_saveexec_b64 s[30:31], vcc
	s_xor_b64 s[30:31], exec, s[30:31]
	s_cbranch_execz .LBB52_49
; %bb.48:                               ;   in Loop: Header=BB52_23 Depth=2
	s_add_u32 s36, s16, s0
	s_mov_b32 s34, s0
	s_mov_b32 s35, s0
	s_addc_u32 s37, s0, s0
	s_xor_b64 s[36:37], s[36:37], s[34:35]
	v_cvt_f32_u32_e32 v3, s36
	v_cvt_f32_u32_e32 v5, s37
	s_sub_u32 s0, 0, s36
	s_subb_u32 s1, 0, s37
	v_mac_f32_e32 v3, 0x4f800000, v5
	v_rcp_f32_e32 v3, v3
	v_mul_f32_e32 v3, 0x5f7ffffc, v3
	v_mul_f32_e32 v5, 0x2f800000, v3
	v_trunc_f32_e32 v5, v5
	v_mac_f32_e32 v3, 0xcf800000, v5
	v_cvt_u32_f32_e32 v5, v5
	v_cvt_u32_f32_e32 v3, v3
	v_mul_lo_u32 v7, s0, v5
	v_mul_hi_u32 v11, s0, v3
	v_mul_lo_u32 v9, s1, v3
	v_add_u32_e32 v7, v11, v7
	v_mul_lo_u32 v13, s0, v3
	v_add_u32_e32 v7, v7, v9
	v_mul_lo_u32 v11, v3, v7
	v_mul_hi_u32 v15, v3, v13
	v_mul_hi_u32 v9, v3, v7
	v_add_co_u32_e32 v11, vcc, v15, v11
	v_addc_co_u32_e32 v9, vcc, 0, v9, vcc
	v_mul_hi_u32 v17, v5, v13
	v_mul_lo_u32 v13, v5, v13
	v_add_co_u32_e32 v11, vcc, v11, v13
	v_mul_hi_u32 v15, v5, v7
	v_addc_co_u32_e32 v9, vcc, v9, v17, vcc
	v_addc_co_u32_e32 v11, vcc, 0, v15, vcc
	v_mul_lo_u32 v7, v5, v7
	v_add_co_u32_e32 v7, vcc, v9, v7
	v_addc_co_u32_e32 v9, vcc, 0, v11, vcc
	v_add_co_u32_e32 v3, vcc, v3, v7
	v_addc_co_u32_e32 v5, vcc, v5, v9, vcc
	v_mul_lo_u32 v7, s0, v5
	v_mul_hi_u32 v9, s0, v3
	v_add_u32_e32 v7, v9, v7
	v_mul_lo_u32 v9, s1, v3
	v_add_u32_e32 v7, v7, v9
	v_mul_lo_u32 v11, s0, v3
	v_mul_hi_u32 v13, v5, v11
	v_mul_lo_u32 v15, v5, v11
	v_mul_lo_u32 v20, v3, v7
	v_mul_hi_u32 v11, v3, v11
	v_mul_hi_u32 v17, v3, v7
	v_add_co_u32_e32 v11, vcc, v11, v20
	v_addc_co_u32_e32 v17, vcc, 0, v17, vcc
	v_add_co_u32_e32 v11, vcc, v11, v15
	v_mul_hi_u32 v9, v5, v7
	v_addc_co_u32_e32 v11, vcc, v17, v13, vcc
	v_addc_co_u32_e32 v9, vcc, 0, v9, vcc
	v_mul_lo_u32 v7, v5, v7
	v_add_co_u32_e32 v7, vcc, v11, v7
	v_addc_co_u32_e32 v9, vcc, 0, v9, vcc
	v_add_co_u32_e32 v3, vcc, v3, v7
	v_addc_co_u32_e32 v5, vcc, v5, v9, vcc
	v_ashrrev_i32_e32 v7, 31, v19
	v_add_co_u32_e32 v9, vcc, v18, v7
	v_xor_b32_e32 v9, v9, v7
	v_addc_co_u32_e32 v11, vcc, v19, v7, vcc
	v_mad_u64_u32 v[20:21], s[0:1], v9, v5, 0
	v_mul_hi_u32 v13, v9, v3
	v_xor_b32_e32 v11, v11, v7
	v_add_co_u32_e32 v13, vcc, v13, v20
	v_addc_co_u32_e32 v15, vcc, 0, v21, vcc
	v_mad_u64_u32 v[22:23], s[0:1], v11, v3, 0
	v_add_co_u32_e32 v3, vcc, v13, v22
	v_mad_u64_u32 v[20:21], s[0:1], v11, v5, 0
	v_addc_co_u32_e32 v3, vcc, v15, v23, vcc
	v_addc_co_u32_e32 v5, vcc, 0, v21, vcc
	v_add_co_u32_e32 v3, vcc, v3, v20
	v_addc_co_u32_e32 v5, vcc, 0, v5, vcc
	v_mul_lo_u32 v13, s37, v3
	v_mul_lo_u32 v15, s36, v5
	v_mad_u64_u32 v[20:21], s[0:1], s36, v3, 0
	v_add3_u32 v13, v21, v15, v13
	v_sub_u32_e32 v15, v11, v13
	v_mov_b32_e32 v17, s37
	v_sub_co_u32_e32 v9, vcc, v9, v20
	v_subb_co_u32_e64 v15, s[0:1], v15, v17, vcc
	v_subrev_co_u32_e64 v17, s[0:1], s36, v9
	v_subbrev_co_u32_e64 v15, s[0:1], 0, v15, s[0:1]
	v_cmp_le_u32_e64 s[0:1], s37, v15
	v_cndmask_b32_e64 v19, 0, -1, s[0:1]
	v_cmp_le_u32_e64 s[0:1], s36, v17
	v_cndmask_b32_e64 v17, 0, -1, s[0:1]
	v_cmp_eq_u32_e64 s[0:1], s37, v15
	v_cndmask_b32_e64 v15, v19, v17, s[0:1]
	v_add_co_u32_e64 v17, s[0:1], 2, v3
	v_subb_co_u32_e32 v11, vcc, v11, v13, vcc
	v_addc_co_u32_e64 v19, s[0:1], 0, v5, s[0:1]
	v_cmp_le_u32_e32 vcc, s37, v11
	v_add_co_u32_e64 v20, s[0:1], 1, v3
	v_cndmask_b32_e64 v13, 0, -1, vcc
	v_cmp_le_u32_e32 vcc, s36, v9
	v_addc_co_u32_e64 v21, s[0:1], 0, v5, s[0:1]
	v_cndmask_b32_e64 v9, 0, -1, vcc
	v_cmp_eq_u32_e32 vcc, s37, v11
	v_cmp_ne_u32_e64 s[0:1], 0, v15
	v_cndmask_b32_e32 v9, v13, v9, vcc
	v_cmp_ne_u32_e32 vcc, 0, v9
	v_cndmask_b32_e64 v9, v20, v17, s[0:1]
	v_cndmask_b32_e64 v15, v21, v19, s[0:1]
	v_cndmask_b32_e32 v3, v3, v9, vcc
	v_xor_b32_e32 v9, s35, v7
	v_xor_b32_e32 v7, s34, v7
	v_cndmask_b32_e32 v5, v5, v15, vcc
	v_xor_b32_e32 v3, v3, v7
	v_xor_b32_e32 v5, v5, v9
	v_sub_co_u32_e32 v20, vcc, v3, v7
	v_subb_co_u32_e32 v21, vcc, v5, v9, vcc
.LBB52_49:                              ;   in Loop: Header=BB52_23 Depth=2
	s_andn2_saveexec_b64 s[0:1], s[30:31]
	s_cbranch_execz .LBB52_51
; %bb.50:                               ;   in Loop: Header=BB52_23 Depth=2
	v_cvt_f32_u32_e32 v3, s16
	s_sub_i32 s27, 0, s16
	v_mov_b32_e32 v21, v2
	v_rcp_iflag_f32_e32 v3, v3
	v_mul_f32_e32 v3, 0x4f7ffffe, v3
	v_cvt_u32_f32_e32 v3, v3
	v_mul_lo_u32 v5, s27, v3
	v_mul_hi_u32 v5, v3, v5
	v_add_u32_e32 v3, v3, v5
	v_mul_hi_u32 v3, v18, v3
	v_mul_lo_u32 v5, v3, s16
	v_sub_u32_e32 v5, v18, v5
	v_add_u32_e32 v7, 1, v3
	v_subrev_u32_e32 v9, s16, v5
	v_cmp_le_u32_e32 vcc, s16, v5
	v_cndmask_b32_e32 v5, v5, v9, vcc
	v_cndmask_b32_e32 v3, v3, v7, vcc
	v_add_u32_e32 v7, 1, v3
	v_cmp_le_u32_e32 vcc, s16, v5
	v_cndmask_b32_e32 v20, v3, v7, vcc
.LBB52_51:                              ;   in Loop: Header=BB52_23 Depth=2
	s_or_b64 exec, exec, s[0:1]
	s_add_u32 s0, s43, s28
	s_mov_b32 s27, s17
	s_addc_u32 s1, s44, s29
	s_lshl_b64 s[28:29], s[26:27], 2
	s_add_u32 s30, s39, s28
	s_addc_u32 s31, s40, s29
	s_load_dword s27, s[30:31], 0x0
	s_load_dword s62, s[0:1], 0x0
                                        ; implicit-def: $vgpr22_vgpr23
	s_waitcnt lgkmcnt(0)
	s_ashr_i32 s0, s27, 31
	v_or_b32_e32 v3, s0, v21
	v_cmp_ne_u64_e32 vcc, 0, v[2:3]
	s_and_saveexec_b64 s[30:31], vcc
	s_xor_b64 s[30:31], exec, s[30:31]
	s_cbranch_execz .LBB52_53
; %bb.52:                               ;   in Loop: Header=BB52_23 Depth=2
	s_add_u32 s36, s27, s0
	s_mov_b32 s34, s0
	s_mov_b32 s35, s0
	s_addc_u32 s37, s0, s0
	s_xor_b64 s[36:37], s[36:37], s[34:35]
	v_cvt_f32_u32_e32 v3, s36
	v_cvt_f32_u32_e32 v5, s37
	s_sub_u32 s0, 0, s36
	s_subb_u32 s1, 0, s37
	v_mac_f32_e32 v3, 0x4f800000, v5
	v_rcp_f32_e32 v3, v3
	v_mul_f32_e32 v3, 0x5f7ffffc, v3
	v_mul_f32_e32 v5, 0x2f800000, v3
	v_trunc_f32_e32 v5, v5
	v_mac_f32_e32 v3, 0xcf800000, v5
	v_cvt_u32_f32_e32 v5, v5
	v_cvt_u32_f32_e32 v3, v3
	v_mul_lo_u32 v7, s0, v5
	v_mul_hi_u32 v11, s0, v3
	v_mul_lo_u32 v9, s1, v3
	v_add_u32_e32 v7, v11, v7
	v_mul_lo_u32 v13, s0, v3
	v_add_u32_e32 v7, v7, v9
	v_mul_lo_u32 v11, v3, v7
	v_mul_hi_u32 v15, v3, v13
	v_mul_hi_u32 v9, v3, v7
	v_add_co_u32_e32 v11, vcc, v15, v11
	v_addc_co_u32_e32 v9, vcc, 0, v9, vcc
	v_mul_hi_u32 v17, v5, v13
	v_mul_lo_u32 v13, v5, v13
	v_add_co_u32_e32 v11, vcc, v11, v13
	v_mul_hi_u32 v15, v5, v7
	v_addc_co_u32_e32 v9, vcc, v9, v17, vcc
	v_addc_co_u32_e32 v11, vcc, 0, v15, vcc
	v_mul_lo_u32 v7, v5, v7
	v_add_co_u32_e32 v7, vcc, v9, v7
	v_addc_co_u32_e32 v9, vcc, 0, v11, vcc
	v_add_co_u32_e32 v3, vcc, v3, v7
	v_addc_co_u32_e32 v5, vcc, v5, v9, vcc
	v_mul_lo_u32 v7, s0, v5
	v_mul_hi_u32 v9, s0, v3
	v_add_u32_e32 v7, v9, v7
	v_mul_lo_u32 v9, s1, v3
	v_add_u32_e32 v7, v7, v9
	v_mul_lo_u32 v11, s0, v3
	v_mul_hi_u32 v13, v5, v11
	v_mul_lo_u32 v15, v5, v11
	v_mul_lo_u32 v19, v3, v7
	v_mul_hi_u32 v11, v3, v11
	v_mul_hi_u32 v17, v3, v7
	v_add_co_u32_e32 v11, vcc, v11, v19
	v_addc_co_u32_e32 v17, vcc, 0, v17, vcc
	v_add_co_u32_e32 v11, vcc, v11, v15
	v_mul_hi_u32 v9, v5, v7
	v_addc_co_u32_e32 v11, vcc, v17, v13, vcc
	v_addc_co_u32_e32 v9, vcc, 0, v9, vcc
	v_mul_lo_u32 v7, v5, v7
	v_add_co_u32_e32 v7, vcc, v11, v7
	v_addc_co_u32_e32 v9, vcc, 0, v9, vcc
	v_add_co_u32_e32 v3, vcc, v3, v7
	v_addc_co_u32_e32 v5, vcc, v5, v9, vcc
	v_ashrrev_i32_e32 v7, 31, v21
	v_add_co_u32_e32 v9, vcc, v20, v7
	v_xor_b32_e32 v9, v9, v7
	v_addc_co_u32_e32 v11, vcc, v21, v7, vcc
	v_mad_u64_u32 v[22:23], s[0:1], v9, v5, 0
	v_mul_hi_u32 v13, v9, v3
	v_xor_b32_e32 v11, v11, v7
	v_add_co_u32_e32 v13, vcc, v13, v22
	v_addc_co_u32_e32 v15, vcc, 0, v23, vcc
	v_mad_u64_u32 v[28:29], s[0:1], v11, v3, 0
	v_add_co_u32_e32 v3, vcc, v13, v28
	v_mad_u64_u32 v[22:23], s[0:1], v11, v5, 0
	v_addc_co_u32_e32 v3, vcc, v15, v29, vcc
	v_addc_co_u32_e32 v5, vcc, 0, v23, vcc
	v_add_co_u32_e32 v3, vcc, v3, v22
	v_addc_co_u32_e32 v5, vcc, 0, v5, vcc
	v_mul_lo_u32 v13, s37, v3
	v_mul_lo_u32 v15, s36, v5
	v_mad_u64_u32 v[22:23], s[0:1], s36, v3, 0
	v_add3_u32 v13, v23, v15, v13
	v_sub_u32_e32 v15, v11, v13
	v_mov_b32_e32 v17, s37
	v_sub_co_u32_e32 v9, vcc, v9, v22
	v_subb_co_u32_e64 v15, s[0:1], v15, v17, vcc
	v_subrev_co_u32_e64 v17, s[0:1], s36, v9
	v_subbrev_co_u32_e64 v15, s[0:1], 0, v15, s[0:1]
	v_cmp_le_u32_e64 s[0:1], s37, v15
	v_cndmask_b32_e64 v19, 0, -1, s[0:1]
	v_cmp_le_u32_e64 s[0:1], s36, v17
	v_cndmask_b32_e64 v17, 0, -1, s[0:1]
	v_cmp_eq_u32_e64 s[0:1], s37, v15
	v_cndmask_b32_e64 v15, v19, v17, s[0:1]
	v_add_co_u32_e64 v17, s[0:1], 2, v3
	v_subb_co_u32_e32 v11, vcc, v11, v13, vcc
	v_addc_co_u32_e64 v19, s[0:1], 0, v5, s[0:1]
	v_cmp_le_u32_e32 vcc, s37, v11
	v_add_co_u32_e64 v21, s[0:1], 1, v3
	v_cndmask_b32_e64 v13, 0, -1, vcc
	v_cmp_le_u32_e32 vcc, s36, v9
	v_addc_co_u32_e64 v22, s[0:1], 0, v5, s[0:1]
	v_cndmask_b32_e64 v9, 0, -1, vcc
	v_cmp_eq_u32_e32 vcc, s37, v11
	v_cmp_ne_u32_e64 s[0:1], 0, v15
	v_cndmask_b32_e32 v9, v13, v9, vcc
	v_cmp_ne_u32_e32 vcc, 0, v9
	v_cndmask_b32_e64 v9, v21, v17, s[0:1]
	v_cndmask_b32_e64 v15, v22, v19, s[0:1]
	v_cndmask_b32_e32 v3, v3, v9, vcc
	v_xor_b32_e32 v9, s35, v7
	v_xor_b32_e32 v7, s34, v7
	v_cndmask_b32_e32 v5, v5, v15, vcc
	v_xor_b32_e32 v3, v3, v7
	v_xor_b32_e32 v5, v5, v9
	v_sub_co_u32_e32 v22, vcc, v3, v7
	v_subb_co_u32_e32 v23, vcc, v5, v9, vcc
.LBB52_53:                              ;   in Loop: Header=BB52_23 Depth=2
	s_andn2_saveexec_b64 s[0:1], s[30:31]
	s_cbranch_execz .LBB52_55
; %bb.54:                               ;   in Loop: Header=BB52_23 Depth=2
	v_cvt_f32_u32_e32 v3, s27
	s_sub_i32 s30, 0, s27
	v_mov_b32_e32 v23, v2
	v_rcp_iflag_f32_e32 v3, v3
	v_mul_f32_e32 v3, 0x4f7ffffe, v3
	v_cvt_u32_f32_e32 v3, v3
	v_mul_lo_u32 v5, s30, v3
	v_mul_hi_u32 v5, v3, v5
	v_add_u32_e32 v3, v3, v5
	v_mul_hi_u32 v3, v20, v3
	v_mul_lo_u32 v5, v3, s27
	v_sub_u32_e32 v5, v20, v5
	v_add_u32_e32 v7, 1, v3
	v_subrev_u32_e32 v9, s27, v5
	v_cmp_le_u32_e32 vcc, s27, v5
	v_cndmask_b32_e32 v5, v5, v9, vcc
	v_cndmask_b32_e32 v3, v3, v7, vcc
	v_add_u32_e32 v7, 1, v3
	v_cmp_le_u32_e32 vcc, s27, v5
	v_cndmask_b32_e32 v22, v3, v7, vcc
.LBB52_55:                              ;   in Loop: Header=BB52_23 Depth=2
	s_or_b64 exec, exec, s[0:1]
	v_mul_lo_u32 v3, v8, s50
	v_mul_lo_u32 v5, v10, s51
	v_sub_u32_e32 v3, v6, v3
	v_sub_u32_e32 v5, v8, v5
	v_mul_lo_u32 v3, s52, v3
	v_mul_lo_u32 v5, s54, v5
	v_add3_u32 v3, v3, v4, v5
	v_mul_lo_u32 v4, v12, s53
	v_mul_lo_u32 v5, v14, s55
	v_sub_u32_e32 v4, v10, v4
	v_sub_u32_e32 v5, v12, v5
	s_add_u32 s0, s43, s28
	v_mul_lo_u32 v4, s56, v4
	v_mul_lo_u32 v5, s58, v5
	s_addc_u32 s1, s44, s29
	v_add3_u32 v3, v4, v3, v5
	v_mul_lo_u32 v4, v16, s57
	v_mul_lo_u32 v5, v18, s59
	s_load_dword s0, s[0:1], 0x0
	v_sub_u32_e32 v4, v14, v4
	v_sub_u32_e32 v5, v16, v5
	v_mul_lo_u32 v4, s60, v4
	v_mul_lo_u32 v5, s61, v5
	v_add3_u32 v3, v4, v3, v5
	v_mul_lo_u32 v4, v20, s16
	v_mul_lo_u32 v5, v22, s27
	v_sub_u32_e32 v4, v18, v4
	v_sub_u32_e32 v5, v20, v5
	v_mul_lo_u32 v4, s62, v4
	s_waitcnt lgkmcnt(0)
	v_mul_lo_u32 v5, s0, v5
	s_add_i32 s26, s26, -8
	s_cmp_eq_u32 s26, -8
	v_add3_u32 v4, v4, v3, v5
	s_cbranch_scc1 .LBB52_57
; %bb.56:                               ;   in Loop: Header=BB52_23 Depth=2
	v_pk_mov_b32 v[6:7], v[22:23], v[22:23] op_sel:[0,1]
	s_branch .LBB52_23
.LBB52_57:                              ;   in Loop: Header=BB52_3 Depth=1
	s_load_dword s16, s[14:15], 0x0
	s_waitcnt lgkmcnt(0)
	v_cmp_gt_i32_e32 vcc, s16, v26
	s_and_b64 exec, exec, vcc
	s_cbranch_execz .LBB52_2
; %bb.58:                               ;   in Loop: Header=BB52_3 Depth=1
	v_ashrrev_i32_e32 v3, 31, v4
	v_mov_b32_e32 v5, s3
	v_add_co_u32_e32 v6, vcc, s2, v4
	v_addc_co_u32_e32 v7, vcc, v5, v3, vcc
	v_add_u32_e32 v3, 1, v26
	v_cmp_gt_i32_e32 vcc, s16, v3
	global_store_byte v[6:7], v2, off
	s_and_b64 exec, exec, vcc
	s_cbranch_execz .LBB52_2
; %bb.59:                               ;   in Loop: Header=BB52_3 Depth=1
	v_sub_u32_e32 v6, v3, v25
	v_ashrrev_i32_e32 v7, 31, v6
	v_cmp_gt_i64_e32 vcc, s[8:9], v[6:7]
	s_and_saveexec_b64 s[0:1], vcc
	s_cbranch_execz .LBB52_61
; %bb.60:                               ;   in Loop: Header=BB52_3 Depth=1
	v_add_u32_e32 v3, s49, v4
	v_ashrrev_i32_e32 v5, 31, v3
	v_mov_b32_e32 v7, s3
	v_add_co_u32_e32 v6, vcc, s2, v3
	v_addc_co_u32_e32 v7, vcc, v7, v5, vcc
	global_store_byte v[6:7], v2, off
.LBB52_61:                              ;   in Loop: Header=BB52_3 Depth=1
	s_or_b64 exec, exec, s[0:1]
	v_add_u32_e32 v3, 2, v26
	v_cmp_gt_i32_e32 vcc, s16, v3
	s_and_b64 exec, exec, vcc
	s_cbranch_execz .LBB52_2
; %bb.62:                               ;   in Loop: Header=BB52_3 Depth=1
	v_sub_u32_e32 v6, v3, v25
	v_ashrrev_i32_e32 v7, 31, v6
	v_cmp_gt_i64_e32 vcc, s[8:9], v[6:7]
	s_and_saveexec_b64 s[0:1], vcc
	s_cbranch_execz .LBB52_64
; %bb.63:                               ;   in Loop: Header=BB52_3 Depth=1
	v_lshl_add_u32 v3, s49, 1, v4
	v_ashrrev_i32_e32 v5, 31, v3
	v_mov_b32_e32 v7, s3
	v_add_co_u32_e32 v6, vcc, s2, v3
	v_addc_co_u32_e32 v7, vcc, v7, v5, vcc
	global_store_byte v[6:7], v2, off
.LBB52_64:                              ;   in Loop: Header=BB52_3 Depth=1
	s_or_b64 exec, exec, s[0:1]
	v_add_u32_e32 v3, 3, v26
	v_cmp_gt_i32_e32 vcc, s16, v3
	s_and_b64 exec, exec, vcc
	s_cbranch_execz .LBB52_2
; %bb.65:                               ;   in Loop: Header=BB52_3 Depth=1
	v_sub_u32_e32 v6, v3, v25
	v_ashrrev_i32_e32 v7, 31, v6
	v_cmp_gt_i64_e32 vcc, s[8:9], v[6:7]
	s_and_b64 exec, exec, vcc
	s_cbranch_execz .LBB52_2
; %bb.66:                               ;   in Loop: Header=BB52_3 Depth=1
	v_mad_u64_u32 v[4:5], s[0:1], s49, 3, v[4:5]
	v_ashrrev_i32_e32 v3, 31, v4
	v_mov_b32_e32 v5, s3
	v_add_co_u32_e32 v4, vcc, s2, v4
	v_addc_co_u32_e32 v5, vcc, v5, v3, vcc
	global_store_byte v[4:5], v2, off
	s_branch .LBB52_2
.LBB52_67:
	s_endpgm
	.section	.rodata,"a",@progbits
	.p2align	6, 0x0
	.amdhsa_kernel _ZN2at6native16triu_tril_kernelIhiLb1ELi4ELb1EEEvNS_4cuda6detail10TensorInfoIT_T0_EENS4_IKS5_S6_EEllS6_
		.amdhsa_group_segment_fixed_size 0
		.amdhsa_private_segment_fixed_size 0
		.amdhsa_kernarg_size 712
		.amdhsa_user_sgpr_count 6
		.amdhsa_user_sgpr_private_segment_buffer 1
		.amdhsa_user_sgpr_dispatch_ptr 0
		.amdhsa_user_sgpr_queue_ptr 0
		.amdhsa_user_sgpr_kernarg_segment_ptr 1
		.amdhsa_user_sgpr_dispatch_id 0
		.amdhsa_user_sgpr_flat_scratch_init 0
		.amdhsa_user_sgpr_kernarg_preload_length 0
		.amdhsa_user_sgpr_kernarg_preload_offset 0
		.amdhsa_user_sgpr_private_segment_size 0
		.amdhsa_uses_dynamic_stack 0
		.amdhsa_system_sgpr_private_segment_wavefront_offset 0
		.amdhsa_system_sgpr_workgroup_id_x 1
		.amdhsa_system_sgpr_workgroup_id_y 0
		.amdhsa_system_sgpr_workgroup_id_z 0
		.amdhsa_system_sgpr_workgroup_info 0
		.amdhsa_system_vgpr_workitem_id 0
		.amdhsa_next_free_vgpr 30
		.amdhsa_next_free_sgpr 63
		.amdhsa_accum_offset 32
		.amdhsa_reserve_vcc 1
		.amdhsa_reserve_flat_scratch 0
		.amdhsa_float_round_mode_32 0
		.amdhsa_float_round_mode_16_64 0
		.amdhsa_float_denorm_mode_32 3
		.amdhsa_float_denorm_mode_16_64 3
		.amdhsa_dx10_clamp 1
		.amdhsa_ieee_mode 1
		.amdhsa_fp16_overflow 0
		.amdhsa_tg_split 0
		.amdhsa_exception_fp_ieee_invalid_op 0
		.amdhsa_exception_fp_denorm_src 0
		.amdhsa_exception_fp_ieee_div_zero 0
		.amdhsa_exception_fp_ieee_overflow 0
		.amdhsa_exception_fp_ieee_underflow 0
		.amdhsa_exception_fp_ieee_inexact 0
		.amdhsa_exception_int_div_zero 0
	.end_amdhsa_kernel
	.section	.text._ZN2at6native16triu_tril_kernelIhiLb1ELi4ELb1EEEvNS_4cuda6detail10TensorInfoIT_T0_EENS4_IKS5_S6_EEllS6_,"axG",@progbits,_ZN2at6native16triu_tril_kernelIhiLb1ELi4ELb1EEEvNS_4cuda6detail10TensorInfoIT_T0_EENS4_IKS5_S6_EEllS6_,comdat
.Lfunc_end52:
	.size	_ZN2at6native16triu_tril_kernelIhiLb1ELi4ELb1EEEvNS_4cuda6detail10TensorInfoIT_T0_EENS4_IKS5_S6_EEllS6_, .Lfunc_end52-_ZN2at6native16triu_tril_kernelIhiLb1ELi4ELb1EEEvNS_4cuda6detail10TensorInfoIT_T0_EENS4_IKS5_S6_EEllS6_
                                        ; -- End function
	.section	.AMDGPU.csdata,"",@progbits
; Kernel info:
; codeLenInByte = 10240
; NumSgprs: 67
; NumVgprs: 30
; NumAgprs: 0
; TotalNumVgprs: 30
; ScratchSize: 0
; MemoryBound: 0
; FloatMode: 240
; IeeeMode: 1
; LDSByteSize: 0 bytes/workgroup (compile time only)
; SGPRBlocks: 8
; VGPRBlocks: 3
; NumSGPRsForWavesPerEU: 67
; NumVGPRsForWavesPerEU: 30
; AccumOffset: 32
; Occupancy: 8
; WaveLimiterHint : 0
; COMPUTE_PGM_RSRC2:SCRATCH_EN: 0
; COMPUTE_PGM_RSRC2:USER_SGPR: 6
; COMPUTE_PGM_RSRC2:TRAP_HANDLER: 0
; COMPUTE_PGM_RSRC2:TGID_X_EN: 1
; COMPUTE_PGM_RSRC2:TGID_Y_EN: 0
; COMPUTE_PGM_RSRC2:TGID_Z_EN: 0
; COMPUTE_PGM_RSRC2:TIDIG_COMP_CNT: 0
; COMPUTE_PGM_RSRC3_GFX90A:ACCUM_OFFSET: 7
; COMPUTE_PGM_RSRC3_GFX90A:TG_SPLIT: 0
	.section	.text._ZN2at6native16triu_tril_kernelIhiLb1ELi4ELb0EEEvNS_4cuda6detail10TensorInfoIT_T0_EENS4_IKS5_S6_EEllS6_,"axG",@progbits,_ZN2at6native16triu_tril_kernelIhiLb1ELi4ELb0EEEvNS_4cuda6detail10TensorInfoIT_T0_EENS4_IKS5_S6_EEllS6_,comdat
	.protected	_ZN2at6native16triu_tril_kernelIhiLb1ELi4ELb0EEEvNS_4cuda6detail10TensorInfoIT_T0_EENS4_IKS5_S6_EEllS6_ ; -- Begin function _ZN2at6native16triu_tril_kernelIhiLb1ELi4ELb0EEEvNS_4cuda6detail10TensorInfoIT_T0_EENS4_IKS5_S6_EEllS6_
	.globl	_ZN2at6native16triu_tril_kernelIhiLb1ELi4ELb0EEEvNS_4cuda6detail10TensorInfoIT_T0_EENS4_IKS5_S6_EEllS6_
	.p2align	8
	.type	_ZN2at6native16triu_tril_kernelIhiLb1ELi4ELb0EEEvNS_4cuda6detail10TensorInfoIT_T0_EENS4_IKS5_S6_EEllS6_,@function
_ZN2at6native16triu_tril_kernelIhiLb1ELi4ELb0EEEvNS_4cuda6detail10TensorInfoIT_T0_EENS4_IKS5_S6_EEllS6_: ; @_ZN2at6native16triu_tril_kernelIhiLb1ELi4ELb0EEEvNS_4cuda6detail10TensorInfoIT_T0_EENS4_IKS5_S6_EEllS6_
; %bb.0:
	s_load_dword s2, s[4:5], 0x1d4
	s_load_dwordx4 s[8:11], s[4:5], 0x1b0
	s_add_u32 s0, s4, 0x1c8
	v_mov_b32_e32 v2, 0
	s_addc_u32 s1, s5, 0
	s_waitcnt lgkmcnt(0)
	s_and_b32 s2, s2, 0xffff
	v_mov_b32_e32 v1, v2
	v_mov_b32_e32 v3, s6
	v_mad_u64_u32 v[0:1], s[6:7], s2, v3, v[0:1]
	v_lshlrev_b64 v[0:1], 2, v[0:1]
	s_mov_b32 s33, 0xffff
	v_cmp_gt_i64_e32 vcc, s[10:11], v[0:1]
	s_and_saveexec_b64 s[6:7], vcc
	s_cbranch_execz .LBB53_58
; %bb.1:
	s_load_dword s20, s[4:5], 0x1a8
	s_add_u32 s38, s4, 0xd8
	s_addc_u32 s39, s5, 0
	s_load_dword s3, s[0:1], 0x0
	s_load_dwordx2 s[6:7], s[4:5], 0xd8
	s_mov_b64 s[26:27], 0
	s_waitcnt lgkmcnt(0)
	s_ashr_i32 s21, s20, 31
	s_lshl_b64 s[0:1], s[20:21], 2
	s_add_u32 s18, s0, -8
	s_addc_u32 s19, s1, -1
	s_add_u32 s0, s38, s18
	s_addc_u32 s1, s39, s19
	s_load_dwordx2 s[12:13], s[0:1], 0x8
	s_load_dword s40, s[4:5], 0x1c0
	s_load_dwordx2 s[16:17], s[0:1], 0x6c
	s_mul_i32 s3, s3, s2
	v_cmp_gt_i64_e64 s[14:15], s[20:21], 2
	s_waitcnt lgkmcnt(0)
	s_ashr_i32 s41, s12, 31
	v_cvt_f32_u32_e32 v3, s40
	s_ashr_i32 s42, s40, 31
	s_add_u32 s43, s4, 0x6c
	s_addc_u32 s44, s5, 0
	v_rcp_iflag_f32_e32 v3, v3
	s_add_u32 s0, s43, s18
	s_addc_u32 s1, s44, s19
	s_load_dwordx2 s[18:19], s[0:1], 0x0
	v_mul_f32_e32 v3, 0x4f7ffffe, v3
	s_load_dwordx2 s[4:5], s[4:5], 0x0
	s_add_i32 s45, s20, -3
	s_lshl_b32 s46, s3, 2
	s_and_b32 s48, s20, 3
	v_cvt_u32_f32_e32 v22, v3
	s_cmp_lg_u32 s48, 2
	s_mov_b32 s21, 0
	s_cselect_b64 s[22:23], -1, 0
	s_cmp_gt_u32 s45, 2
	s_mov_b32 s47, s21
	s_cselect_b64 s[24:25], -1, 0
	s_ashr_i32 s49, s17, 31
	s_mov_b32 s50, s17
	s_waitcnt lgkmcnt(0)
	s_ashr_i32 s51, s19, 31
	s_mov_b32 s52, s19
	s_branch .LBB53_3
.LBB53_2:                               ;   in Loop: Header=BB53_3 Depth=1
	s_or_b64 exec, exec, s[0:1]
	v_mov_b32_e32 v3, s47
	v_add_co_u32_e32 v0, vcc, s46, v0
	v_addc_co_u32_e32 v1, vcc, v1, v3, vcc
	v_cmp_le_i64_e32 vcc, s[10:11], v[0:1]
	s_or_b64 s[26:27], vcc, s[26:27]
	s_andn2_b64 exec, exec, s[26:27]
	s_cbranch_execz .LBB53_58
.LBB53_3:                               ; =>This Loop Header: Depth=1
                                        ;     Child Loop BB53_37 Depth 2
                                        ;     Child Loop BB53_18 Depth 2
	v_or_b32_e32 v3, s42, v1
	v_cmp_ne_u64_e32 vcc, 0, v[2:3]
                                        ; implicit-def: $vgpr4_vgpr5
                                        ; implicit-def: $vgpr14_vgpr15
	s_and_saveexec_b64 s[0:1], vcc
	s_xor_b64 s[28:29], exec, s[0:1]
	s_cbranch_execz .LBB53_5
; %bb.4:                                ;   in Loop: Header=BB53_3 Depth=1
	s_add_u32 s0, s40, s42
	s_mov_b32 s2, s42
	s_mov_b32 s3, s42
	s_addc_u32 s1, s42, s42
	s_xor_b64 s[30:31], s[0:1], s[2:3]
	v_cvt_f32_u32_e32 v3, s30
	v_cvt_f32_u32_e32 v4, s31
	s_sub_u32 s0, 0, s30
	s_subb_u32 s1, 0, s31
	v_mac_f32_e32 v3, 0x4f800000, v4
	v_rcp_f32_e32 v3, v3
	v_mul_f32_e32 v3, 0x5f7ffffc, v3
	v_mul_f32_e32 v4, 0x2f800000, v3
	v_trunc_f32_e32 v4, v4
	v_mac_f32_e32 v3, 0xcf800000, v4
	v_cvt_u32_f32_e32 v4, v4
	v_cvt_u32_f32_e32 v3, v3
	v_mul_lo_u32 v5, s0, v4
	v_mul_hi_u32 v7, s0, v3
	v_mul_lo_u32 v6, s1, v3
	v_add_u32_e32 v5, v7, v5
	v_mul_lo_u32 v8, s0, v3
	v_add_u32_e32 v5, v5, v6
	v_mul_lo_u32 v7, v3, v5
	v_mul_hi_u32 v9, v3, v8
	v_mul_hi_u32 v6, v3, v5
	v_add_co_u32_e32 v7, vcc, v9, v7
	v_addc_co_u32_e32 v6, vcc, 0, v6, vcc
	v_mul_hi_u32 v10, v4, v8
	v_mul_lo_u32 v8, v4, v8
	v_add_co_u32_e32 v7, vcc, v7, v8
	v_mul_hi_u32 v9, v4, v5
	v_addc_co_u32_e32 v6, vcc, v6, v10, vcc
	v_addc_co_u32_e32 v7, vcc, 0, v9, vcc
	v_mul_lo_u32 v5, v4, v5
	v_add_co_u32_e32 v5, vcc, v6, v5
	v_addc_co_u32_e32 v6, vcc, 0, v7, vcc
	v_add_co_u32_e32 v3, vcc, v3, v5
	v_addc_co_u32_e32 v4, vcc, v4, v6, vcc
	v_mul_lo_u32 v5, s0, v4
	v_mul_hi_u32 v6, s0, v3
	v_add_u32_e32 v5, v6, v5
	v_mul_lo_u32 v6, s1, v3
	v_add_u32_e32 v5, v5, v6
	v_mul_lo_u32 v7, s0, v3
	v_mul_hi_u32 v8, v4, v7
	v_mul_lo_u32 v9, v4, v7
	v_mul_lo_u32 v11, v3, v5
	v_mul_hi_u32 v7, v3, v7
	v_mul_hi_u32 v10, v3, v5
	v_add_co_u32_e32 v7, vcc, v7, v11
	v_addc_co_u32_e32 v10, vcc, 0, v10, vcc
	v_add_co_u32_e32 v7, vcc, v7, v9
	v_mul_hi_u32 v6, v4, v5
	v_addc_co_u32_e32 v7, vcc, v10, v8, vcc
	v_addc_co_u32_e32 v6, vcc, 0, v6, vcc
	v_mul_lo_u32 v5, v4, v5
	v_add_co_u32_e32 v5, vcc, v7, v5
	v_addc_co_u32_e32 v6, vcc, 0, v6, vcc
	v_add_co_u32_e32 v3, vcc, v3, v5
	v_addc_co_u32_e32 v6, vcc, v4, v6, vcc
	v_ashrrev_i32_e32 v8, 31, v1
	v_add_co_u32_e32 v4, vcc, v0, v8
	v_addc_co_u32_e32 v5, vcc, v1, v8, vcc
	v_xor_b32_e32 v10, v4, v8
	v_xor_b32_e32 v9, v5, v8
	v_mad_u64_u32 v[4:5], s[0:1], v10, v6, 0
	v_mul_hi_u32 v7, v10, v3
	v_add_co_u32_e32 v11, vcc, v7, v4
	v_addc_co_u32_e32 v12, vcc, 0, v5, vcc
	v_mad_u64_u32 v[4:5], s[0:1], v9, v6, 0
	v_mad_u64_u32 v[6:7], s[0:1], v9, v3, 0
	v_add_co_u32_e32 v3, vcc, v11, v6
	v_addc_co_u32_e32 v3, vcc, v12, v7, vcc
	v_addc_co_u32_e32 v5, vcc, 0, v5, vcc
	v_add_co_u32_e32 v3, vcc, v3, v4
	v_addc_co_u32_e32 v6, vcc, 0, v5, vcc
	v_mul_lo_u32 v7, s31, v3
	v_mul_lo_u32 v11, s30, v6
	v_mad_u64_u32 v[4:5], s[0:1], s30, v3, 0
	v_add3_u32 v5, v5, v11, v7
	v_sub_u32_e32 v7, v9, v5
	v_mov_b32_e32 v11, s31
	v_sub_co_u32_e32 v4, vcc, v10, v4
	v_subb_co_u32_e64 v7, s[0:1], v7, v11, vcc
	v_subrev_co_u32_e64 v10, s[0:1], s30, v4
	v_subbrev_co_u32_e64 v7, s[0:1], 0, v7, s[0:1]
	v_cmp_le_u32_e64 s[0:1], s31, v7
	v_cndmask_b32_e64 v11, 0, -1, s[0:1]
	v_cmp_le_u32_e64 s[0:1], s30, v10
	v_cndmask_b32_e64 v12, 0, -1, s[0:1]
	v_cmp_eq_u32_e64 s[0:1], s31, v7
	v_cndmask_b32_e64 v7, v11, v12, s[0:1]
	v_add_co_u32_e64 v11, s[0:1], 2, v3
	v_addc_co_u32_e64 v12, s[0:1], 0, v6, s[0:1]
	v_add_co_u32_e64 v13, s[0:1], 1, v3
	v_subb_co_u32_e32 v5, vcc, v9, v5, vcc
	v_addc_co_u32_e64 v14, s[0:1], 0, v6, s[0:1]
	v_cmp_le_u32_e32 vcc, s31, v5
	v_cmp_ne_u32_e64 s[0:1], 0, v7
	v_cndmask_b32_e64 v9, 0, -1, vcc
	v_cmp_le_u32_e32 vcc, s30, v4
	v_cndmask_b32_e64 v7, v14, v12, s[0:1]
	v_cndmask_b32_e64 v12, 0, -1, vcc
	v_cmp_eq_u32_e32 vcc, s31, v5
	v_cndmask_b32_e32 v5, v9, v12, vcc
	v_cmp_ne_u32_e32 vcc, 0, v5
	v_cndmask_b32_e32 v5, v6, v7, vcc
	v_cndmask_b32_e64 v6, v13, v11, s[0:1]
	v_cndmask_b32_e32 v3, v3, v6, vcc
	v_xor_b32_e32 v7, s2, v8
	v_xor_b32_e32 v6, s3, v8
	;; [unrolled: 1-line block ×4, first 2 shown]
	v_sub_co_u32_e64 v14, s[2:3], v3, v7
	v_subb_co_u32_e64 v15, s[2:3], v5, v6, s[2:3]
	v_subrev_co_u32_e64 v3, s[2:3], s30, v10
	v_cndmask_b32_e64 v3, v10, v3, s[0:1]
	v_cndmask_b32_e32 v3, v4, v3, vcc
	v_xor_b32_e32 v3, v3, v8
	v_sub_co_u32_e32 v4, vcc, v3, v8
.LBB53_5:                               ;   in Loop: Header=BB53_3 Depth=1
	s_andn2_saveexec_b64 s[2:3], s[28:29]
	s_cbranch_execz .LBB53_7
; %bb.6:                                ;   in Loop: Header=BB53_3 Depth=1
	s_sub_i32 s0, 0, s40
	v_mul_lo_u32 v3, s0, v22
	v_mul_hi_u32 v3, v22, v3
	v_add_u32_e32 v3, v22, v3
	v_mul_hi_u32 v3, v0, v3
	v_mul_lo_u32 v4, v3, s40
	v_sub_u32_e32 v4, v0, v4
	v_subrev_u32_e32 v5, s40, v4
	v_cmp_le_u32_e32 vcc, s40, v4
	v_cndmask_b32_e32 v4, v4, v5, vcc
	v_subrev_u32_e32 v5, s40, v4
	v_cmp_le_u32_e64 s[0:1], s40, v4
	v_cndmask_b32_e64 v4, v4, v5, s[0:1]
	v_add_u32_e32 v5, 1, v3
	v_cndmask_b32_e32 v3, v3, v5, vcc
	v_add_u32_e32 v5, 1, v3
	v_cndmask_b32_e64 v14, v3, v5, s[0:1]
	v_mov_b32_e32 v15, v2
.LBB53_7:                               ;   in Loop: Header=BB53_3 Depth=1
	s_or_b64 exec, exec, s[2:3]
	v_or_b32_e32 v3, s41, v15
	v_cmp_ne_u64_e32 vcc, 0, v[2:3]
                                        ; implicit-def: $vgpr8_vgpr9
	s_and_saveexec_b64 s[0:1], vcc
	s_xor_b64 s[2:3], exec, s[0:1]
	s_cbranch_execz .LBB53_9
; %bb.8:                                ;   in Loop: Header=BB53_3 Depth=1
	s_add_u32 s28, s12, s41
	s_mov_b32 s0, s41
	s_mov_b32 s1, s41
	s_addc_u32 s29, s41, s41
	s_xor_b64 s[28:29], s[28:29], s[0:1]
	v_cvt_f32_u32_e32 v5, s28
	v_cvt_f32_u32_e32 v6, s29
	s_sub_u32 s0, 0, s28
	s_subb_u32 s1, 0, s29
	v_mac_f32_e32 v5, 0x4f800000, v6
	v_rcp_f32_e32 v5, v5
	v_mul_f32_e32 v5, 0x5f7ffffc, v5
	v_mul_f32_e32 v6, 0x2f800000, v5
	v_trunc_f32_e32 v6, v6
	v_mac_f32_e32 v5, 0xcf800000, v6
	v_cvt_u32_f32_e32 v6, v6
	v_cvt_u32_f32_e32 v5, v5
	v_mul_lo_u32 v7, s0, v6
	v_mul_hi_u32 v9, s0, v5
	v_mul_lo_u32 v8, s1, v5
	v_add_u32_e32 v7, v9, v7
	v_mul_lo_u32 v10, s0, v5
	v_add_u32_e32 v7, v7, v8
	v_mul_lo_u32 v9, v5, v7
	v_mul_hi_u32 v11, v5, v10
	v_mul_hi_u32 v8, v5, v7
	v_add_co_u32_e32 v9, vcc, v11, v9
	v_addc_co_u32_e32 v8, vcc, 0, v8, vcc
	v_mul_hi_u32 v12, v6, v10
	v_mul_lo_u32 v10, v6, v10
	v_add_co_u32_e32 v9, vcc, v9, v10
	v_mul_hi_u32 v11, v6, v7
	v_addc_co_u32_e32 v8, vcc, v8, v12, vcc
	v_addc_co_u32_e32 v9, vcc, 0, v11, vcc
	v_mul_lo_u32 v7, v6, v7
	v_add_co_u32_e32 v7, vcc, v8, v7
	v_addc_co_u32_e32 v8, vcc, 0, v9, vcc
	v_add_co_u32_e32 v5, vcc, v5, v7
	v_addc_co_u32_e32 v6, vcc, v6, v8, vcc
	v_mul_lo_u32 v7, s0, v6
	v_mul_hi_u32 v8, s0, v5
	v_add_u32_e32 v7, v8, v7
	v_mul_lo_u32 v8, s1, v5
	v_add_u32_e32 v7, v7, v8
	v_mul_lo_u32 v9, s0, v5
	v_mul_hi_u32 v10, v6, v9
	v_mul_lo_u32 v11, v6, v9
	v_mul_lo_u32 v13, v5, v7
	v_mul_hi_u32 v9, v5, v9
	v_mul_hi_u32 v12, v5, v7
	v_add_co_u32_e32 v9, vcc, v9, v13
	v_addc_co_u32_e32 v12, vcc, 0, v12, vcc
	v_add_co_u32_e32 v9, vcc, v9, v11
	v_mul_hi_u32 v8, v6, v7
	v_addc_co_u32_e32 v9, vcc, v12, v10, vcc
	v_addc_co_u32_e32 v8, vcc, 0, v8, vcc
	v_mul_lo_u32 v7, v6, v7
	v_add_co_u32_e32 v7, vcc, v9, v7
	v_addc_co_u32_e32 v8, vcc, 0, v8, vcc
	v_add_co_u32_e32 v5, vcc, v5, v7
	v_addc_co_u32_e32 v8, vcc, v6, v8, vcc
	v_ashrrev_i32_e32 v10, 31, v15
	v_add_co_u32_e32 v6, vcc, v14, v10
	v_addc_co_u32_e32 v7, vcc, v15, v10, vcc
	v_xor_b32_e32 v12, v6, v10
	v_xor_b32_e32 v11, v7, v10
	v_mad_u64_u32 v[6:7], s[0:1], v12, v8, 0
	v_mul_hi_u32 v9, v12, v5
	v_add_co_u32_e32 v13, vcc, v9, v6
	v_addc_co_u32_e32 v16, vcc, 0, v7, vcc
	v_mad_u64_u32 v[6:7], s[0:1], v11, v8, 0
	v_mad_u64_u32 v[8:9], s[0:1], v11, v5, 0
	v_add_co_u32_e32 v5, vcc, v13, v8
	v_addc_co_u32_e32 v5, vcc, v16, v9, vcc
	v_addc_co_u32_e32 v7, vcc, 0, v7, vcc
	v_add_co_u32_e32 v5, vcc, v5, v6
	v_addc_co_u32_e32 v6, vcc, 0, v7, vcc
	v_mul_lo_u32 v8, s29, v5
	v_mul_lo_u32 v9, s28, v6
	v_mad_u64_u32 v[6:7], s[0:1], s28, v5, 0
	v_add3_u32 v5, v7, v9, v8
	v_sub_u32_e32 v7, v11, v5
	v_mov_b32_e32 v8, s29
	v_sub_co_u32_e32 v6, vcc, v12, v6
	v_subb_co_u32_e64 v7, s[0:1], v7, v8, vcc
	v_subrev_co_u32_e64 v8, s[0:1], s28, v6
	v_subbrev_co_u32_e64 v7, s[0:1], 0, v7, s[0:1]
	v_cmp_le_u32_e64 s[0:1], s29, v7
	v_subb_co_u32_e32 v5, vcc, v11, v5, vcc
	v_cndmask_b32_e64 v9, 0, -1, s[0:1]
	v_cmp_le_u32_e64 s[0:1], s28, v8
	v_cmp_le_u32_e32 vcc, s29, v5
	v_cndmask_b32_e64 v12, 0, -1, s[0:1]
	v_cmp_eq_u32_e64 s[0:1], s29, v7
	v_cndmask_b32_e64 v11, 0, -1, vcc
	v_cmp_le_u32_e32 vcc, s28, v6
	v_cndmask_b32_e64 v7, v9, v12, s[0:1]
	v_cndmask_b32_e64 v12, 0, -1, vcc
	v_cmp_eq_u32_e32 vcc, s29, v5
	v_subrev_co_u32_e64 v9, s[0:1], s28, v8
	v_cndmask_b32_e32 v5, v11, v12, vcc
	v_cmp_ne_u32_e32 vcc, 0, v7
	v_cndmask_b32_e32 v7, v8, v9, vcc
	v_cmp_ne_u32_e32 vcc, 0, v5
	v_cndmask_b32_e32 v5, v6, v7, vcc
	v_xor_b32_e32 v5, v5, v10
	v_sub_co_u32_e32 v8, vcc, v5, v10
.LBB53_9:                               ;   in Loop: Header=BB53_3 Depth=1
	s_andn2_saveexec_b64 s[0:1], s[2:3]
	s_cbranch_execz .LBB53_11
; %bb.10:                               ;   in Loop: Header=BB53_3 Depth=1
	v_cvt_f32_u32_e32 v5, s12
	s_sub_i32 s2, 0, s12
	v_rcp_iflag_f32_e32 v5, v5
	v_mul_f32_e32 v5, 0x4f7ffffe, v5
	v_cvt_u32_f32_e32 v5, v5
	v_mul_lo_u32 v6, s2, v5
	v_mul_hi_u32 v6, v5, v6
	v_add_u32_e32 v5, v5, v6
	v_mul_hi_u32 v5, v14, v5
	v_mul_lo_u32 v5, v5, s12
	v_sub_u32_e32 v5, v14, v5
	v_subrev_u32_e32 v6, s12, v5
	v_cmp_le_u32_e32 vcc, s12, v5
	v_cndmask_b32_e32 v5, v5, v6, vcc
	v_subrev_u32_e32 v6, s12, v5
	v_cmp_le_u32_e32 vcc, s12, v5
	v_cndmask_b32_e32 v8, v5, v6, vcc
.LBB53_11:                              ;   in Loop: Header=BB53_3 Depth=1
	s_or_b64 exec, exec, s[0:1]
	v_mul_lo_u32 v6, s17, v4
	v_mad_u64_u32 v[10:11], s[0:1], s16, v8, v[6:7]
	v_mul_lo_u32 v6, s19, v4
	s_andn2_b64 vcc, exec, s[14:15]
	v_mad_u64_u32 v[6:7], s[0:1], s18, v8, v[6:7]
	s_cbranch_vccnz .LBB53_41
; %bb.12:                               ;   in Loop: Header=BB53_3 Depth=1
	v_cmp_ne_u64_e32 vcc, 0, v[2:3]
                                        ; implicit-def: $vgpr12_vgpr13
	s_and_saveexec_b64 s[0:1], vcc
	s_xor_b64 s[2:3], exec, s[0:1]
	s_cbranch_execz .LBB53_14
; %bb.13:                               ;   in Loop: Header=BB53_3 Depth=1
	s_add_u32 s0, s12, s41
	s_mov_b32 s28, s41
	s_mov_b32 s29, s41
	s_addc_u32 s1, s41, s41
	s_xor_b64 s[30:31], s[0:1], s[28:29]
	v_cvt_f32_u32_e32 v3, s30
	v_cvt_f32_u32_e32 v5, s31
	s_sub_u32 s0, 0, s30
	s_subb_u32 s1, 0, s31
	v_mac_f32_e32 v3, 0x4f800000, v5
	v_rcp_f32_e32 v3, v3
	v_mul_f32_e32 v3, 0x5f7ffffc, v3
	v_mul_f32_e32 v5, 0x2f800000, v3
	v_trunc_f32_e32 v5, v5
	v_mac_f32_e32 v3, 0xcf800000, v5
	v_cvt_u32_f32_e32 v5, v5
	v_cvt_u32_f32_e32 v3, v3
	v_mul_lo_u32 v7, s0, v5
	v_mul_hi_u32 v11, s0, v3
	v_mul_lo_u32 v9, s1, v3
	v_add_u32_e32 v7, v11, v7
	v_mul_lo_u32 v12, s0, v3
	v_add_u32_e32 v7, v7, v9
	v_mul_lo_u32 v11, v3, v7
	v_mul_hi_u32 v13, v3, v12
	v_mul_hi_u32 v9, v3, v7
	v_add_co_u32_e32 v11, vcc, v13, v11
	v_addc_co_u32_e32 v9, vcc, 0, v9, vcc
	v_mul_hi_u32 v16, v5, v12
	v_mul_lo_u32 v12, v5, v12
	v_add_co_u32_e32 v11, vcc, v11, v12
	v_mul_hi_u32 v13, v5, v7
	v_addc_co_u32_e32 v9, vcc, v9, v16, vcc
	v_addc_co_u32_e32 v11, vcc, 0, v13, vcc
	v_mul_lo_u32 v7, v5, v7
	v_add_co_u32_e32 v7, vcc, v9, v7
	v_addc_co_u32_e32 v9, vcc, 0, v11, vcc
	v_add_co_u32_e32 v3, vcc, v3, v7
	v_addc_co_u32_e32 v5, vcc, v5, v9, vcc
	v_mul_lo_u32 v7, s0, v5
	v_mul_hi_u32 v9, s0, v3
	v_add_u32_e32 v7, v9, v7
	v_mul_lo_u32 v9, s1, v3
	v_add_u32_e32 v7, v7, v9
	v_mul_lo_u32 v11, s0, v3
	v_mul_hi_u32 v12, v5, v11
	v_mul_lo_u32 v13, v5, v11
	v_mul_lo_u32 v17, v3, v7
	v_mul_hi_u32 v11, v3, v11
	v_mul_hi_u32 v16, v3, v7
	v_add_co_u32_e32 v11, vcc, v11, v17
	v_addc_co_u32_e32 v16, vcc, 0, v16, vcc
	v_add_co_u32_e32 v11, vcc, v11, v13
	v_mul_hi_u32 v9, v5, v7
	v_addc_co_u32_e32 v11, vcc, v16, v12, vcc
	v_addc_co_u32_e32 v9, vcc, 0, v9, vcc
	v_mul_lo_u32 v7, v5, v7
	v_add_co_u32_e32 v7, vcc, v11, v7
	v_addc_co_u32_e32 v9, vcc, 0, v9, vcc
	v_add_co_u32_e32 v3, vcc, v3, v7
	v_addc_co_u32_e32 v5, vcc, v5, v9, vcc
	v_ashrrev_i32_e32 v7, 31, v15
	v_add_co_u32_e32 v9, vcc, v14, v7
	v_xor_b32_e32 v9, v9, v7
	v_addc_co_u32_e32 v11, vcc, v15, v7, vcc
	v_mad_u64_u32 v[12:13], s[0:1], v9, v5, 0
	v_mul_hi_u32 v14, v9, v3
	v_xor_b32_e32 v11, v11, v7
	v_add_co_u32_e32 v16, vcc, v14, v12
	v_addc_co_u32_e32 v17, vcc, 0, v13, vcc
	v_mad_u64_u32 v[14:15], s[0:1], v11, v3, 0
	v_add_co_u32_e32 v3, vcc, v16, v14
	v_mad_u64_u32 v[12:13], s[0:1], v11, v5, 0
	v_addc_co_u32_e32 v3, vcc, v17, v15, vcc
	v_addc_co_u32_e32 v5, vcc, 0, v13, vcc
	v_add_co_u32_e32 v3, vcc, v3, v12
	v_addc_co_u32_e32 v5, vcc, 0, v5, vcc
	v_mul_lo_u32 v14, s31, v3
	v_mul_lo_u32 v15, s30, v5
	v_mad_u64_u32 v[12:13], s[0:1], s30, v3, 0
	v_add3_u32 v13, v13, v15, v14
	v_sub_u32_e32 v14, v11, v13
	v_mov_b32_e32 v15, s31
	v_sub_co_u32_e32 v9, vcc, v9, v12
	v_subb_co_u32_e64 v12, s[0:1], v14, v15, vcc
	v_subrev_co_u32_e64 v14, s[0:1], s30, v9
	v_subbrev_co_u32_e64 v12, s[0:1], 0, v12, s[0:1]
	v_cmp_le_u32_e64 s[0:1], s31, v12
	v_cndmask_b32_e64 v15, 0, -1, s[0:1]
	v_cmp_le_u32_e64 s[0:1], s30, v14
	v_cndmask_b32_e64 v14, 0, -1, s[0:1]
	v_cmp_eq_u32_e64 s[0:1], s31, v12
	v_cndmask_b32_e64 v12, v15, v14, s[0:1]
	v_add_co_u32_e64 v14, s[0:1], 2, v3
	v_subb_co_u32_e32 v11, vcc, v11, v13, vcc
	v_addc_co_u32_e64 v15, s[0:1], 0, v5, s[0:1]
	v_cmp_le_u32_e32 vcc, s31, v11
	v_add_co_u32_e64 v16, s[0:1], 1, v3
	v_cndmask_b32_e64 v13, 0, -1, vcc
	v_cmp_le_u32_e32 vcc, s30, v9
	v_addc_co_u32_e64 v17, s[0:1], 0, v5, s[0:1]
	v_cndmask_b32_e64 v9, 0, -1, vcc
	v_cmp_eq_u32_e32 vcc, s31, v11
	v_cmp_ne_u32_e64 s[0:1], 0, v12
	v_cndmask_b32_e32 v9, v13, v9, vcc
	v_cmp_ne_u32_e32 vcc, 0, v9
	v_cndmask_b32_e64 v9, v16, v14, s[0:1]
	v_cndmask_b32_e64 v12, v17, v15, s[0:1]
	v_cndmask_b32_e32 v3, v3, v9, vcc
	v_xor_b32_e32 v9, s29, v7
	v_xor_b32_e32 v7, s28, v7
	v_cndmask_b32_e32 v5, v5, v12, vcc
	v_xor_b32_e32 v3, v3, v7
	v_xor_b32_e32 v5, v5, v9
	v_sub_co_u32_e32 v12, vcc, v3, v7
	v_subb_co_u32_e32 v13, vcc, v5, v9, vcc
                                        ; implicit-def: $vgpr14_vgpr15
.LBB53_14:                              ;   in Loop: Header=BB53_3 Depth=1
	s_andn2_saveexec_b64 s[0:1], s[2:3]
	s_cbranch_execz .LBB53_16
; %bb.15:                               ;   in Loop: Header=BB53_3 Depth=1
	v_cvt_f32_u32_e32 v3, s12
	s_sub_i32 s2, 0, s12
	v_mov_b32_e32 v13, v2
	v_rcp_iflag_f32_e32 v3, v3
	v_mul_f32_e32 v3, 0x4f7ffffe, v3
	v_cvt_u32_f32_e32 v3, v3
	v_mul_lo_u32 v5, s2, v3
	v_mul_hi_u32 v5, v3, v5
	v_add_u32_e32 v3, v3, v5
	v_mul_hi_u32 v3, v14, v3
	v_mul_lo_u32 v5, v3, s12
	v_sub_u32_e32 v5, v14, v5
	v_add_u32_e32 v7, 1, v3
	v_subrev_u32_e32 v9, s12, v5
	v_cmp_le_u32_e32 vcc, s12, v5
	v_cndmask_b32_e32 v5, v5, v9, vcc
	v_cndmask_b32_e32 v3, v3, v7, vcc
	v_add_u32_e32 v7, 1, v3
	v_cmp_le_u32_e32 vcc, s12, v5
	v_cndmask_b32_e32 v12, v3, v7, vcc
.LBB53_16:                              ;   in Loop: Header=BB53_3 Depth=1
	s_or_b64 exec, exec, s[0:1]
	s_andn2_b64 vcc, exec, s[22:23]
	s_mov_b32 s53, 1
	s_mov_b32 s20, s45
	s_cbranch_vccz .LBB53_37
.LBB53_17:                              ;   in Loop: Header=BB53_3 Depth=1
	s_and_b64 vcc, exec, s[24:25]
	s_cbranch_vccz .LBB53_41
.LBB53_18:                              ;   Parent Loop BB53_3 Depth=1
                                        ; =>  This Inner Loop Header: Depth=2
	s_lshl_b64 s[2:3], s[20:21], 2
	s_add_u32 s28, s38, s2
	s_addc_u32 s29, s39, s3
	s_load_dword s53, s[28:29], 0x8
                                        ; implicit-def: $vgpr14_vgpr15
	s_waitcnt lgkmcnt(0)
	s_ashr_i32 s0, s53, 31
	v_or_b32_e32 v3, s0, v13
	v_cmp_ne_u64_e32 vcc, 0, v[2:3]
	s_and_saveexec_b64 s[30:31], vcc
	s_xor_b64 s[30:31], exec, s[30:31]
	s_cbranch_execz .LBB53_20
; %bb.19:                               ;   in Loop: Header=BB53_18 Depth=2
	s_add_u32 s36, s53, s0
	s_mov_b32 s34, s0
	s_mov_b32 s35, s0
	s_addc_u32 s37, s0, s0
	s_xor_b64 s[36:37], s[36:37], s[34:35]
	v_cvt_f32_u32_e32 v3, s36
	v_cvt_f32_u32_e32 v5, s37
	s_sub_u32 s0, 0, s36
	s_subb_u32 s1, 0, s37
	v_mac_f32_e32 v3, 0x4f800000, v5
	v_rcp_f32_e32 v3, v3
	v_mul_f32_e32 v3, 0x5f7ffffc, v3
	v_mul_f32_e32 v5, 0x2f800000, v3
	v_trunc_f32_e32 v5, v5
	v_mac_f32_e32 v3, 0xcf800000, v5
	v_cvt_u32_f32_e32 v5, v5
	v_cvt_u32_f32_e32 v3, v3
	v_mul_lo_u32 v7, s0, v5
	v_mul_hi_u32 v11, s0, v3
	v_mul_lo_u32 v9, s1, v3
	v_add_u32_e32 v7, v11, v7
	v_mul_lo_u32 v14, s0, v3
	v_add_u32_e32 v7, v7, v9
	v_mul_lo_u32 v11, v3, v7
	v_mul_hi_u32 v15, v3, v14
	v_mul_hi_u32 v9, v3, v7
	v_add_co_u32_e32 v11, vcc, v15, v11
	v_addc_co_u32_e32 v9, vcc, 0, v9, vcc
	v_mul_hi_u32 v16, v5, v14
	v_mul_lo_u32 v14, v5, v14
	v_add_co_u32_e32 v11, vcc, v11, v14
	v_mul_hi_u32 v15, v5, v7
	v_addc_co_u32_e32 v9, vcc, v9, v16, vcc
	v_addc_co_u32_e32 v11, vcc, 0, v15, vcc
	v_mul_lo_u32 v7, v5, v7
	v_add_co_u32_e32 v7, vcc, v9, v7
	v_addc_co_u32_e32 v9, vcc, 0, v11, vcc
	v_add_co_u32_e32 v3, vcc, v3, v7
	v_addc_co_u32_e32 v5, vcc, v5, v9, vcc
	v_mul_lo_u32 v7, s0, v5
	v_mul_hi_u32 v9, s0, v3
	v_add_u32_e32 v7, v9, v7
	v_mul_lo_u32 v9, s1, v3
	v_add_u32_e32 v7, v7, v9
	v_mul_lo_u32 v11, s0, v3
	v_mul_hi_u32 v14, v5, v11
	v_mul_lo_u32 v15, v5, v11
	v_mul_lo_u32 v17, v3, v7
	v_mul_hi_u32 v11, v3, v11
	v_mul_hi_u32 v16, v3, v7
	v_add_co_u32_e32 v11, vcc, v11, v17
	v_addc_co_u32_e32 v16, vcc, 0, v16, vcc
	v_add_co_u32_e32 v11, vcc, v11, v15
	v_mul_hi_u32 v9, v5, v7
	v_addc_co_u32_e32 v11, vcc, v16, v14, vcc
	v_addc_co_u32_e32 v9, vcc, 0, v9, vcc
	v_mul_lo_u32 v7, v5, v7
	v_add_co_u32_e32 v7, vcc, v11, v7
	v_addc_co_u32_e32 v9, vcc, 0, v9, vcc
	v_add_co_u32_e32 v3, vcc, v3, v7
	v_addc_co_u32_e32 v5, vcc, v5, v9, vcc
	v_ashrrev_i32_e32 v7, 31, v13
	v_add_co_u32_e32 v9, vcc, v12, v7
	v_xor_b32_e32 v9, v9, v7
	v_addc_co_u32_e32 v11, vcc, v13, v7, vcc
	v_mad_u64_u32 v[14:15], s[0:1], v9, v5, 0
	v_mul_hi_u32 v13, v9, v3
	v_xor_b32_e32 v11, v11, v7
	v_add_co_u32_e32 v13, vcc, v13, v14
	v_addc_co_u32_e32 v18, vcc, 0, v15, vcc
	v_mad_u64_u32 v[16:17], s[0:1], v11, v3, 0
	v_add_co_u32_e32 v3, vcc, v13, v16
	v_mad_u64_u32 v[14:15], s[0:1], v11, v5, 0
	v_addc_co_u32_e32 v3, vcc, v18, v17, vcc
	v_addc_co_u32_e32 v5, vcc, 0, v15, vcc
	v_add_co_u32_e32 v3, vcc, v3, v14
	v_addc_co_u32_e32 v5, vcc, 0, v5, vcc
	v_mul_lo_u32 v13, s37, v3
	v_mul_lo_u32 v16, s36, v5
	v_mad_u64_u32 v[14:15], s[0:1], s36, v3, 0
	v_add3_u32 v13, v15, v16, v13
	v_sub_u32_e32 v15, v11, v13
	v_mov_b32_e32 v16, s37
	v_sub_co_u32_e32 v9, vcc, v9, v14
	v_subb_co_u32_e64 v14, s[0:1], v15, v16, vcc
	v_subrev_co_u32_e64 v15, s[0:1], s36, v9
	v_subbrev_co_u32_e64 v14, s[0:1], 0, v14, s[0:1]
	v_cmp_le_u32_e64 s[0:1], s37, v14
	v_cndmask_b32_e64 v16, 0, -1, s[0:1]
	v_cmp_le_u32_e64 s[0:1], s36, v15
	v_cndmask_b32_e64 v15, 0, -1, s[0:1]
	v_cmp_eq_u32_e64 s[0:1], s37, v14
	v_cndmask_b32_e64 v14, v16, v15, s[0:1]
	v_add_co_u32_e64 v15, s[0:1], 2, v3
	v_subb_co_u32_e32 v11, vcc, v11, v13, vcc
	v_addc_co_u32_e64 v16, s[0:1], 0, v5, s[0:1]
	v_cmp_le_u32_e32 vcc, s37, v11
	v_add_co_u32_e64 v17, s[0:1], 1, v3
	v_cndmask_b32_e64 v13, 0, -1, vcc
	v_cmp_le_u32_e32 vcc, s36, v9
	v_addc_co_u32_e64 v18, s[0:1], 0, v5, s[0:1]
	v_cndmask_b32_e64 v9, 0, -1, vcc
	v_cmp_eq_u32_e32 vcc, s37, v11
	v_cmp_ne_u32_e64 s[0:1], 0, v14
	v_cndmask_b32_e32 v9, v13, v9, vcc
	v_cmp_ne_u32_e32 vcc, 0, v9
	v_cndmask_b32_e64 v9, v17, v15, s[0:1]
	v_cndmask_b32_e64 v14, v18, v16, s[0:1]
	v_cndmask_b32_e32 v3, v3, v9, vcc
	v_xor_b32_e32 v9, s35, v7
	v_xor_b32_e32 v7, s34, v7
	v_cndmask_b32_e32 v5, v5, v14, vcc
	v_xor_b32_e32 v3, v3, v7
	v_xor_b32_e32 v5, v5, v9
	v_sub_co_u32_e32 v14, vcc, v3, v7
	v_subb_co_u32_e32 v15, vcc, v5, v9, vcc
.LBB53_20:                              ;   in Loop: Header=BB53_18 Depth=2
	s_andn2_saveexec_b64 s[0:1], s[30:31]
	s_cbranch_execz .LBB53_22
; %bb.21:                               ;   in Loop: Header=BB53_18 Depth=2
	v_cvt_f32_u32_e32 v3, s53
	s_sub_i32 s30, 0, s53
	v_mov_b32_e32 v15, v2
	v_rcp_iflag_f32_e32 v3, v3
	v_mul_f32_e32 v3, 0x4f7ffffe, v3
	v_cvt_u32_f32_e32 v3, v3
	v_mul_lo_u32 v5, s30, v3
	v_mul_hi_u32 v5, v3, v5
	v_add_u32_e32 v3, v3, v5
	v_mul_hi_u32 v3, v12, v3
	v_mul_lo_u32 v5, v3, s53
	v_sub_u32_e32 v5, v12, v5
	v_add_u32_e32 v7, 1, v3
	v_subrev_u32_e32 v9, s53, v5
	v_cmp_le_u32_e32 vcc, s53, v5
	v_cndmask_b32_e32 v5, v5, v9, vcc
	v_cndmask_b32_e32 v3, v3, v7, vcc
	v_add_u32_e32 v7, 1, v3
	v_cmp_le_u32_e32 vcc, s53, v5
	v_cndmask_b32_e32 v14, v3, v7, vcc
.LBB53_22:                              ;   in Loop: Header=BB53_18 Depth=2
	s_or_b64 exec, exec, s[0:1]
	s_add_u32 s0, s43, s2
	s_addc_u32 s1, s44, s3
	s_add_i32 s2, s20, -1
	s_mov_b32 s3, s21
	s_lshl_b64 s[30:31], s[2:3], 2
	s_add_u32 s2, s38, s30
	s_addc_u32 s3, s39, s31
	s_load_dword s54, s[2:3], 0x8
	s_load_dword s55, s[28:29], 0x6c
	;; [unrolled: 1-line block ×3, first 2 shown]
                                        ; implicit-def: $vgpr16_vgpr17
	s_waitcnt lgkmcnt(0)
	s_ashr_i32 s0, s54, 31
	v_or_b32_e32 v3, s0, v15
	v_cmp_ne_u64_e32 vcc, 0, v[2:3]
	s_and_saveexec_b64 s[28:29], vcc
	s_xor_b64 s[28:29], exec, s[28:29]
	s_cbranch_execz .LBB53_24
; %bb.23:                               ;   in Loop: Header=BB53_18 Depth=2
	s_add_u32 s36, s54, s0
	s_mov_b32 s34, s0
	s_mov_b32 s35, s0
	s_addc_u32 s37, s0, s0
	s_xor_b64 s[36:37], s[36:37], s[34:35]
	v_cvt_f32_u32_e32 v3, s36
	v_cvt_f32_u32_e32 v5, s37
	s_sub_u32 s0, 0, s36
	s_subb_u32 s1, 0, s37
	v_mac_f32_e32 v3, 0x4f800000, v5
	v_rcp_f32_e32 v3, v3
	v_mul_f32_e32 v3, 0x5f7ffffc, v3
	v_mul_f32_e32 v5, 0x2f800000, v3
	v_trunc_f32_e32 v5, v5
	v_mac_f32_e32 v3, 0xcf800000, v5
	v_cvt_u32_f32_e32 v5, v5
	v_cvt_u32_f32_e32 v3, v3
	v_mul_lo_u32 v7, s0, v5
	v_mul_hi_u32 v11, s0, v3
	v_mul_lo_u32 v9, s1, v3
	v_add_u32_e32 v7, v11, v7
	v_mul_lo_u32 v13, s0, v3
	v_add_u32_e32 v7, v7, v9
	v_mul_lo_u32 v11, v3, v7
	v_mul_hi_u32 v16, v3, v13
	v_mul_hi_u32 v9, v3, v7
	v_add_co_u32_e32 v11, vcc, v16, v11
	v_addc_co_u32_e32 v9, vcc, 0, v9, vcc
	v_mul_hi_u32 v17, v5, v13
	v_mul_lo_u32 v13, v5, v13
	v_add_co_u32_e32 v11, vcc, v11, v13
	v_mul_hi_u32 v16, v5, v7
	v_addc_co_u32_e32 v9, vcc, v9, v17, vcc
	v_addc_co_u32_e32 v11, vcc, 0, v16, vcc
	v_mul_lo_u32 v7, v5, v7
	v_add_co_u32_e32 v7, vcc, v9, v7
	v_addc_co_u32_e32 v9, vcc, 0, v11, vcc
	v_add_co_u32_e32 v3, vcc, v3, v7
	v_addc_co_u32_e32 v5, vcc, v5, v9, vcc
	v_mul_lo_u32 v7, s0, v5
	v_mul_hi_u32 v9, s0, v3
	v_add_u32_e32 v7, v9, v7
	v_mul_lo_u32 v9, s1, v3
	v_add_u32_e32 v7, v7, v9
	v_mul_lo_u32 v11, s0, v3
	v_mul_hi_u32 v13, v5, v11
	v_mul_lo_u32 v16, v5, v11
	v_mul_lo_u32 v18, v3, v7
	v_mul_hi_u32 v11, v3, v11
	v_mul_hi_u32 v17, v3, v7
	v_add_co_u32_e32 v11, vcc, v11, v18
	v_addc_co_u32_e32 v17, vcc, 0, v17, vcc
	v_add_co_u32_e32 v11, vcc, v11, v16
	v_mul_hi_u32 v9, v5, v7
	v_addc_co_u32_e32 v11, vcc, v17, v13, vcc
	v_addc_co_u32_e32 v9, vcc, 0, v9, vcc
	v_mul_lo_u32 v7, v5, v7
	v_add_co_u32_e32 v7, vcc, v11, v7
	v_addc_co_u32_e32 v9, vcc, 0, v9, vcc
	v_add_co_u32_e32 v3, vcc, v3, v7
	v_addc_co_u32_e32 v5, vcc, v5, v9, vcc
	v_ashrrev_i32_e32 v7, 31, v15
	v_add_co_u32_e32 v9, vcc, v14, v7
	v_xor_b32_e32 v9, v9, v7
	v_addc_co_u32_e32 v11, vcc, v15, v7, vcc
	v_mad_u64_u32 v[16:17], s[0:1], v9, v5, 0
	v_mul_hi_u32 v13, v9, v3
	v_xor_b32_e32 v11, v11, v7
	v_add_co_u32_e32 v13, vcc, v13, v16
	v_addc_co_u32_e32 v15, vcc, 0, v17, vcc
	v_mad_u64_u32 v[18:19], s[0:1], v11, v3, 0
	v_add_co_u32_e32 v3, vcc, v13, v18
	v_mad_u64_u32 v[16:17], s[0:1], v11, v5, 0
	v_addc_co_u32_e32 v3, vcc, v15, v19, vcc
	v_addc_co_u32_e32 v5, vcc, 0, v17, vcc
	v_add_co_u32_e32 v3, vcc, v3, v16
	v_addc_co_u32_e32 v5, vcc, 0, v5, vcc
	v_mul_lo_u32 v13, s37, v3
	v_mul_lo_u32 v15, s36, v5
	v_mad_u64_u32 v[16:17], s[0:1], s36, v3, 0
	v_add3_u32 v13, v17, v15, v13
	v_sub_u32_e32 v15, v11, v13
	v_mov_b32_e32 v17, s37
	v_sub_co_u32_e32 v9, vcc, v9, v16
	v_subb_co_u32_e64 v15, s[0:1], v15, v17, vcc
	v_subrev_co_u32_e64 v16, s[0:1], s36, v9
	v_subbrev_co_u32_e64 v15, s[0:1], 0, v15, s[0:1]
	v_cmp_le_u32_e64 s[0:1], s37, v15
	v_cndmask_b32_e64 v17, 0, -1, s[0:1]
	v_cmp_le_u32_e64 s[0:1], s36, v16
	v_cndmask_b32_e64 v16, 0, -1, s[0:1]
	v_cmp_eq_u32_e64 s[0:1], s37, v15
	v_cndmask_b32_e64 v15, v17, v16, s[0:1]
	v_add_co_u32_e64 v16, s[0:1], 2, v3
	v_subb_co_u32_e32 v11, vcc, v11, v13, vcc
	v_addc_co_u32_e64 v17, s[0:1], 0, v5, s[0:1]
	v_cmp_le_u32_e32 vcc, s37, v11
	v_add_co_u32_e64 v18, s[0:1], 1, v3
	v_cndmask_b32_e64 v13, 0, -1, vcc
	v_cmp_le_u32_e32 vcc, s36, v9
	v_addc_co_u32_e64 v19, s[0:1], 0, v5, s[0:1]
	v_cndmask_b32_e64 v9, 0, -1, vcc
	v_cmp_eq_u32_e32 vcc, s37, v11
	v_cmp_ne_u32_e64 s[0:1], 0, v15
	v_cndmask_b32_e32 v9, v13, v9, vcc
	v_cmp_ne_u32_e32 vcc, 0, v9
	v_cndmask_b32_e64 v9, v18, v16, s[0:1]
	v_cndmask_b32_e64 v15, v19, v17, s[0:1]
	v_cndmask_b32_e32 v3, v3, v9, vcc
	v_xor_b32_e32 v9, s35, v7
	v_xor_b32_e32 v7, s34, v7
	v_cndmask_b32_e32 v5, v5, v15, vcc
	v_xor_b32_e32 v3, v3, v7
	v_xor_b32_e32 v5, v5, v9
	v_sub_co_u32_e32 v16, vcc, v3, v7
	v_subb_co_u32_e32 v17, vcc, v5, v9, vcc
.LBB53_24:                              ;   in Loop: Header=BB53_18 Depth=2
	s_andn2_saveexec_b64 s[0:1], s[28:29]
	s_cbranch_execz .LBB53_26
; %bb.25:                               ;   in Loop: Header=BB53_18 Depth=2
	v_cvt_f32_u32_e32 v3, s54
	s_sub_i32 s28, 0, s54
	v_mov_b32_e32 v17, v2
	v_rcp_iflag_f32_e32 v3, v3
	v_mul_f32_e32 v3, 0x4f7ffffe, v3
	v_cvt_u32_f32_e32 v3, v3
	v_mul_lo_u32 v5, s28, v3
	v_mul_hi_u32 v5, v3, v5
	v_add_u32_e32 v3, v3, v5
	v_mul_hi_u32 v3, v14, v3
	v_mul_lo_u32 v5, v3, s54
	v_sub_u32_e32 v5, v14, v5
	v_add_u32_e32 v7, 1, v3
	v_subrev_u32_e32 v9, s54, v5
	v_cmp_le_u32_e32 vcc, s54, v5
	v_cndmask_b32_e32 v5, v5, v9, vcc
	v_cndmask_b32_e32 v3, v3, v7, vcc
	v_add_u32_e32 v7, 1, v3
	v_cmp_le_u32_e32 vcc, s54, v5
	v_cndmask_b32_e32 v16, v3, v7, vcc
.LBB53_26:                              ;   in Loop: Header=BB53_18 Depth=2
	s_or_b64 exec, exec, s[0:1]
	s_add_u32 s0, s43, s30
	s_addc_u32 s1, s44, s31
	s_add_i32 s28, s20, -2
	s_mov_b32 s29, s21
	s_lshl_b64 s[28:29], s[28:29], 2
	s_add_u32 s30, s38, s28
	s_addc_u32 s31, s39, s29
	s_load_dword s57, s[30:31], 0x8
	s_load_dword s59, s[2:3], 0x6c
	;; [unrolled: 1-line block ×3, first 2 shown]
                                        ; implicit-def: $vgpr18_vgpr19
	s_waitcnt lgkmcnt(0)
	s_ashr_i32 s0, s57, 31
	v_or_b32_e32 v3, s0, v17
	v_cmp_ne_u64_e32 vcc, 0, v[2:3]
	s_and_saveexec_b64 s[2:3], vcc
	s_xor_b64 s[2:3], exec, s[2:3]
	s_cbranch_execz .LBB53_28
; %bb.27:                               ;   in Loop: Header=BB53_18 Depth=2
	s_add_u32 s36, s57, s0
	s_mov_b32 s34, s0
	s_mov_b32 s35, s0
	s_addc_u32 s37, s0, s0
	s_xor_b64 s[36:37], s[36:37], s[34:35]
	v_cvt_f32_u32_e32 v3, s36
	v_cvt_f32_u32_e32 v5, s37
	s_sub_u32 s0, 0, s36
	s_subb_u32 s1, 0, s37
	v_mac_f32_e32 v3, 0x4f800000, v5
	v_rcp_f32_e32 v3, v3
	v_mul_f32_e32 v3, 0x5f7ffffc, v3
	v_mul_f32_e32 v5, 0x2f800000, v3
	v_trunc_f32_e32 v5, v5
	v_mac_f32_e32 v3, 0xcf800000, v5
	v_cvt_u32_f32_e32 v5, v5
	v_cvt_u32_f32_e32 v3, v3
	v_mul_lo_u32 v7, s0, v5
	v_mul_hi_u32 v11, s0, v3
	v_mul_lo_u32 v9, s1, v3
	v_add_u32_e32 v7, v11, v7
	v_mul_lo_u32 v13, s0, v3
	v_add_u32_e32 v7, v7, v9
	v_mul_lo_u32 v11, v3, v7
	v_mul_hi_u32 v15, v3, v13
	v_mul_hi_u32 v9, v3, v7
	v_add_co_u32_e32 v11, vcc, v15, v11
	v_addc_co_u32_e32 v9, vcc, 0, v9, vcc
	v_mul_hi_u32 v18, v5, v13
	v_mul_lo_u32 v13, v5, v13
	v_add_co_u32_e32 v11, vcc, v11, v13
	v_mul_hi_u32 v15, v5, v7
	v_addc_co_u32_e32 v9, vcc, v9, v18, vcc
	v_addc_co_u32_e32 v11, vcc, 0, v15, vcc
	v_mul_lo_u32 v7, v5, v7
	v_add_co_u32_e32 v7, vcc, v9, v7
	v_addc_co_u32_e32 v9, vcc, 0, v11, vcc
	v_add_co_u32_e32 v3, vcc, v3, v7
	v_addc_co_u32_e32 v5, vcc, v5, v9, vcc
	v_mul_lo_u32 v7, s0, v5
	v_mul_hi_u32 v9, s0, v3
	v_add_u32_e32 v7, v9, v7
	v_mul_lo_u32 v9, s1, v3
	v_add_u32_e32 v7, v7, v9
	v_mul_lo_u32 v11, s0, v3
	v_mul_hi_u32 v13, v5, v11
	v_mul_lo_u32 v15, v5, v11
	v_mul_lo_u32 v19, v3, v7
	v_mul_hi_u32 v11, v3, v11
	v_mul_hi_u32 v18, v3, v7
	v_add_co_u32_e32 v11, vcc, v11, v19
	v_addc_co_u32_e32 v18, vcc, 0, v18, vcc
	v_add_co_u32_e32 v11, vcc, v11, v15
	v_mul_hi_u32 v9, v5, v7
	v_addc_co_u32_e32 v11, vcc, v18, v13, vcc
	v_addc_co_u32_e32 v9, vcc, 0, v9, vcc
	v_mul_lo_u32 v7, v5, v7
	v_add_co_u32_e32 v7, vcc, v11, v7
	v_addc_co_u32_e32 v9, vcc, 0, v9, vcc
	v_add_co_u32_e32 v3, vcc, v3, v7
	v_addc_co_u32_e32 v5, vcc, v5, v9, vcc
	v_ashrrev_i32_e32 v7, 31, v17
	v_add_co_u32_e32 v9, vcc, v16, v7
	v_xor_b32_e32 v9, v9, v7
	v_addc_co_u32_e32 v11, vcc, v17, v7, vcc
	v_mad_u64_u32 v[18:19], s[0:1], v9, v5, 0
	v_mul_hi_u32 v13, v9, v3
	v_xor_b32_e32 v11, v11, v7
	v_add_co_u32_e32 v13, vcc, v13, v18
	v_addc_co_u32_e32 v15, vcc, 0, v19, vcc
	v_mad_u64_u32 v[20:21], s[0:1], v11, v3, 0
	v_add_co_u32_e32 v3, vcc, v13, v20
	v_mad_u64_u32 v[18:19], s[0:1], v11, v5, 0
	v_addc_co_u32_e32 v3, vcc, v15, v21, vcc
	v_addc_co_u32_e32 v5, vcc, 0, v19, vcc
	v_add_co_u32_e32 v3, vcc, v3, v18
	v_addc_co_u32_e32 v5, vcc, 0, v5, vcc
	v_mul_lo_u32 v13, s37, v3
	v_mul_lo_u32 v15, s36, v5
	v_mad_u64_u32 v[18:19], s[0:1], s36, v3, 0
	v_add3_u32 v13, v19, v15, v13
	v_sub_u32_e32 v15, v11, v13
	v_mov_b32_e32 v17, s37
	v_sub_co_u32_e32 v9, vcc, v9, v18
	v_subb_co_u32_e64 v15, s[0:1], v15, v17, vcc
	v_subrev_co_u32_e64 v17, s[0:1], s36, v9
	v_subbrev_co_u32_e64 v15, s[0:1], 0, v15, s[0:1]
	v_cmp_le_u32_e64 s[0:1], s37, v15
	v_cndmask_b32_e64 v18, 0, -1, s[0:1]
	v_cmp_le_u32_e64 s[0:1], s36, v17
	v_cndmask_b32_e64 v17, 0, -1, s[0:1]
	v_cmp_eq_u32_e64 s[0:1], s37, v15
	v_cndmask_b32_e64 v15, v18, v17, s[0:1]
	v_add_co_u32_e64 v17, s[0:1], 2, v3
	v_subb_co_u32_e32 v11, vcc, v11, v13, vcc
	v_addc_co_u32_e64 v18, s[0:1], 0, v5, s[0:1]
	v_cmp_le_u32_e32 vcc, s37, v11
	v_add_co_u32_e64 v19, s[0:1], 1, v3
	v_cndmask_b32_e64 v13, 0, -1, vcc
	v_cmp_le_u32_e32 vcc, s36, v9
	v_addc_co_u32_e64 v20, s[0:1], 0, v5, s[0:1]
	v_cndmask_b32_e64 v9, 0, -1, vcc
	v_cmp_eq_u32_e32 vcc, s37, v11
	v_cmp_ne_u32_e64 s[0:1], 0, v15
	v_cndmask_b32_e32 v9, v13, v9, vcc
	v_cmp_ne_u32_e32 vcc, 0, v9
	v_cndmask_b32_e64 v9, v19, v17, s[0:1]
	v_cndmask_b32_e64 v15, v20, v18, s[0:1]
	v_cndmask_b32_e32 v3, v3, v9, vcc
	v_xor_b32_e32 v9, s35, v7
	v_xor_b32_e32 v7, s34, v7
	v_cndmask_b32_e32 v5, v5, v15, vcc
	v_xor_b32_e32 v3, v3, v7
	v_xor_b32_e32 v5, v5, v9
	v_sub_co_u32_e32 v18, vcc, v3, v7
	v_subb_co_u32_e32 v19, vcc, v5, v9, vcc
.LBB53_28:                              ;   in Loop: Header=BB53_18 Depth=2
	s_andn2_saveexec_b64 s[0:1], s[2:3]
	s_cbranch_execz .LBB53_30
; %bb.29:                               ;   in Loop: Header=BB53_18 Depth=2
	v_cvt_f32_u32_e32 v3, s57
	s_sub_i32 s2, 0, s57
	v_mov_b32_e32 v19, v2
	v_rcp_iflag_f32_e32 v3, v3
	v_mul_f32_e32 v3, 0x4f7ffffe, v3
	v_cvt_u32_f32_e32 v3, v3
	v_mul_lo_u32 v5, s2, v3
	v_mul_hi_u32 v5, v3, v5
	v_add_u32_e32 v3, v3, v5
	v_mul_hi_u32 v3, v16, v3
	v_mul_lo_u32 v5, v3, s57
	v_sub_u32_e32 v5, v16, v5
	v_add_u32_e32 v7, 1, v3
	v_subrev_u32_e32 v9, s57, v5
	v_cmp_le_u32_e32 vcc, s57, v5
	v_cndmask_b32_e32 v5, v5, v9, vcc
	v_cndmask_b32_e32 v3, v3, v7, vcc
	v_add_u32_e32 v7, 1, v3
	v_cmp_le_u32_e32 vcc, s57, v5
	v_cndmask_b32_e32 v18, v3, v7, vcc
.LBB53_30:                              ;   in Loop: Header=BB53_18 Depth=2
	s_or_b64 exec, exec, s[0:1]
	s_add_u32 s0, s43, s28
	s_addc_u32 s1, s44, s29
	s_add_i32 s2, s20, -3
	s_mov_b32 s3, s21
	s_lshl_b64 s[2:3], s[2:3], 2
	s_add_u32 s28, s38, s2
	s_addc_u32 s29, s39, s3
	s_load_dword s60, s[28:29], 0x8
	s_load_dword s61, s[30:31], 0x6c
	;; [unrolled: 1-line block ×3, first 2 shown]
                                        ; implicit-def: $vgpr20_vgpr21
	s_waitcnt lgkmcnt(0)
	s_ashr_i32 s0, s60, 31
	v_or_b32_e32 v3, s0, v19
	v_cmp_ne_u64_e32 vcc, 0, v[2:3]
	s_and_saveexec_b64 s[30:31], vcc
	s_xor_b64 s[30:31], exec, s[30:31]
	s_cbranch_execz .LBB53_32
; %bb.31:                               ;   in Loop: Header=BB53_18 Depth=2
	s_add_u32 s36, s60, s0
	s_mov_b32 s34, s0
	s_mov_b32 s35, s0
	s_addc_u32 s37, s0, s0
	s_xor_b64 s[36:37], s[36:37], s[34:35]
	v_cvt_f32_u32_e32 v3, s36
	v_cvt_f32_u32_e32 v5, s37
	s_sub_u32 s0, 0, s36
	s_subb_u32 s1, 0, s37
	v_mac_f32_e32 v3, 0x4f800000, v5
	v_rcp_f32_e32 v3, v3
	v_mul_f32_e32 v3, 0x5f7ffffc, v3
	v_mul_f32_e32 v5, 0x2f800000, v3
	v_trunc_f32_e32 v5, v5
	v_mac_f32_e32 v3, 0xcf800000, v5
	v_cvt_u32_f32_e32 v5, v5
	v_cvt_u32_f32_e32 v3, v3
	v_mul_lo_u32 v7, s0, v5
	v_mul_hi_u32 v11, s0, v3
	v_mul_lo_u32 v9, s1, v3
	v_add_u32_e32 v7, v11, v7
	v_mul_lo_u32 v13, s0, v3
	v_add_u32_e32 v7, v7, v9
	v_mul_lo_u32 v11, v3, v7
	v_mul_hi_u32 v15, v3, v13
	v_mul_hi_u32 v9, v3, v7
	v_add_co_u32_e32 v11, vcc, v15, v11
	v_addc_co_u32_e32 v9, vcc, 0, v9, vcc
	v_mul_hi_u32 v17, v5, v13
	v_mul_lo_u32 v13, v5, v13
	v_add_co_u32_e32 v11, vcc, v11, v13
	v_mul_hi_u32 v15, v5, v7
	v_addc_co_u32_e32 v9, vcc, v9, v17, vcc
	v_addc_co_u32_e32 v11, vcc, 0, v15, vcc
	v_mul_lo_u32 v7, v5, v7
	v_add_co_u32_e32 v7, vcc, v9, v7
	v_addc_co_u32_e32 v9, vcc, 0, v11, vcc
	v_add_co_u32_e32 v3, vcc, v3, v7
	v_addc_co_u32_e32 v5, vcc, v5, v9, vcc
	v_mul_lo_u32 v7, s0, v5
	v_mul_hi_u32 v9, s0, v3
	v_add_u32_e32 v7, v9, v7
	v_mul_lo_u32 v9, s1, v3
	v_add_u32_e32 v7, v7, v9
	v_mul_lo_u32 v11, s0, v3
	v_mul_hi_u32 v13, v5, v11
	v_mul_lo_u32 v15, v5, v11
	v_mul_lo_u32 v20, v3, v7
	v_mul_hi_u32 v11, v3, v11
	v_mul_hi_u32 v17, v3, v7
	v_add_co_u32_e32 v11, vcc, v11, v20
	v_addc_co_u32_e32 v17, vcc, 0, v17, vcc
	v_add_co_u32_e32 v11, vcc, v11, v15
	v_mul_hi_u32 v9, v5, v7
	v_addc_co_u32_e32 v11, vcc, v17, v13, vcc
	v_addc_co_u32_e32 v9, vcc, 0, v9, vcc
	v_mul_lo_u32 v7, v5, v7
	v_add_co_u32_e32 v7, vcc, v11, v7
	v_addc_co_u32_e32 v9, vcc, 0, v9, vcc
	v_add_co_u32_e32 v3, vcc, v3, v7
	v_addc_co_u32_e32 v5, vcc, v5, v9, vcc
	v_ashrrev_i32_e32 v7, 31, v19
	v_add_co_u32_e32 v9, vcc, v18, v7
	v_xor_b32_e32 v9, v9, v7
	v_addc_co_u32_e32 v11, vcc, v19, v7, vcc
	v_mad_u64_u32 v[20:21], s[0:1], v9, v5, 0
	v_mul_hi_u32 v13, v9, v3
	v_xor_b32_e32 v11, v11, v7
	v_add_co_u32_e32 v13, vcc, v13, v20
	v_addc_co_u32_e32 v15, vcc, 0, v21, vcc
	v_mad_u64_u32 v[24:25], s[0:1], v11, v3, 0
	v_add_co_u32_e32 v3, vcc, v13, v24
	v_mad_u64_u32 v[20:21], s[0:1], v11, v5, 0
	v_addc_co_u32_e32 v3, vcc, v15, v25, vcc
	v_addc_co_u32_e32 v5, vcc, 0, v21, vcc
	v_add_co_u32_e32 v3, vcc, v3, v20
	v_addc_co_u32_e32 v5, vcc, 0, v5, vcc
	v_mul_lo_u32 v13, s37, v3
	v_mul_lo_u32 v15, s36, v5
	v_mad_u64_u32 v[20:21], s[0:1], s36, v3, 0
	v_add3_u32 v13, v21, v15, v13
	v_sub_u32_e32 v15, v11, v13
	v_mov_b32_e32 v17, s37
	v_sub_co_u32_e32 v9, vcc, v9, v20
	v_subb_co_u32_e64 v15, s[0:1], v15, v17, vcc
	v_subrev_co_u32_e64 v17, s[0:1], s36, v9
	v_subbrev_co_u32_e64 v15, s[0:1], 0, v15, s[0:1]
	v_cmp_le_u32_e64 s[0:1], s37, v15
	v_cndmask_b32_e64 v19, 0, -1, s[0:1]
	v_cmp_le_u32_e64 s[0:1], s36, v17
	v_cndmask_b32_e64 v17, 0, -1, s[0:1]
	v_cmp_eq_u32_e64 s[0:1], s37, v15
	v_cndmask_b32_e64 v15, v19, v17, s[0:1]
	v_add_co_u32_e64 v17, s[0:1], 2, v3
	v_subb_co_u32_e32 v11, vcc, v11, v13, vcc
	v_addc_co_u32_e64 v19, s[0:1], 0, v5, s[0:1]
	v_cmp_le_u32_e32 vcc, s37, v11
	v_add_co_u32_e64 v20, s[0:1], 1, v3
	v_cndmask_b32_e64 v13, 0, -1, vcc
	v_cmp_le_u32_e32 vcc, s36, v9
	v_addc_co_u32_e64 v21, s[0:1], 0, v5, s[0:1]
	v_cndmask_b32_e64 v9, 0, -1, vcc
	v_cmp_eq_u32_e32 vcc, s37, v11
	v_cmp_ne_u32_e64 s[0:1], 0, v15
	v_cndmask_b32_e32 v9, v13, v9, vcc
	v_cmp_ne_u32_e32 vcc, 0, v9
	v_cndmask_b32_e64 v9, v20, v17, s[0:1]
	v_cndmask_b32_e64 v15, v21, v19, s[0:1]
	v_cndmask_b32_e32 v3, v3, v9, vcc
	v_xor_b32_e32 v9, s35, v7
	v_xor_b32_e32 v7, s34, v7
	v_cndmask_b32_e32 v5, v5, v15, vcc
	v_xor_b32_e32 v3, v3, v7
	v_xor_b32_e32 v5, v5, v9
	v_sub_co_u32_e32 v20, vcc, v3, v7
	v_subb_co_u32_e32 v21, vcc, v5, v9, vcc
.LBB53_32:                              ;   in Loop: Header=BB53_18 Depth=2
	s_andn2_saveexec_b64 s[0:1], s[30:31]
	s_cbranch_execz .LBB53_34
; %bb.33:                               ;   in Loop: Header=BB53_18 Depth=2
	v_cvt_f32_u32_e32 v3, s60
	s_sub_i32 s30, 0, s60
	v_mov_b32_e32 v21, v2
	v_rcp_iflag_f32_e32 v3, v3
	v_mul_f32_e32 v3, 0x4f7ffffe, v3
	v_cvt_u32_f32_e32 v3, v3
	v_mul_lo_u32 v5, s30, v3
	v_mul_hi_u32 v5, v3, v5
	v_add_u32_e32 v3, v3, v5
	v_mul_hi_u32 v3, v18, v3
	v_mul_lo_u32 v5, v3, s60
	v_sub_u32_e32 v5, v18, v5
	v_add_u32_e32 v7, 1, v3
	v_subrev_u32_e32 v9, s60, v5
	v_cmp_le_u32_e32 vcc, s60, v5
	v_cndmask_b32_e32 v5, v5, v9, vcc
	v_cndmask_b32_e32 v3, v3, v7, vcc
	v_add_u32_e32 v7, 1, v3
	v_cmp_le_u32_e32 vcc, s60, v5
	v_cndmask_b32_e32 v20, v3, v7, vcc
.LBB53_34:                              ;   in Loop: Header=BB53_18 Depth=2
	s_or_b64 exec, exec, s[0:1]
	s_add_u32 s0, s43, s2
	v_mul_lo_u32 v3, v14, s53
	v_mul_lo_u32 v7, v16, s54
	s_load_dword s2, s[28:29], 0x6c
	s_addc_u32 s1, s44, s3
	s_load_dword s0, s[0:1], 0x0
	v_sub_u32_e32 v3, v12, v3
	v_sub_u32_e32 v7, v14, v7
	v_mul_lo_u32 v5, s55, v3
	v_mul_lo_u32 v3, s56, v3
	v_mul_lo_u32 v9, s59, v7
	v_mul_lo_u32 v7, s58, v7
	v_add3_u32 v5, v5, v10, v9
	v_add3_u32 v3, v3, v6, v7
	v_mul_lo_u32 v6, v18, s57
	v_mul_lo_u32 v9, v20, s60
	v_sub_u32_e32 v6, v16, v6
	v_sub_u32_e32 v9, v18, v9
	v_mul_lo_u32 v7, s61, v6
	s_waitcnt lgkmcnt(0)
	v_mul_lo_u32 v10, s2, v9
	v_mul_lo_u32 v6, s62, v6
	v_add3_u32 v10, v7, v5, v10
	v_mul_lo_u32 v5, s0, v9
	s_add_i32 s20, s20, -4
	s_cmp_eq_u32 s20, -1
	v_add3_u32 v6, v6, v3, v5
	s_cbranch_scc1 .LBB53_41
; %bb.35:                               ;   in Loop: Header=BB53_18 Depth=2
	v_pk_mov_b32 v[12:13], v[20:21], v[20:21] op_sel:[0,1]
	s_branch .LBB53_18
.LBB53_36:                              ;   in Loop: Header=BB53_37 Depth=2
	s_or_b64 exec, exec, s[0:1]
	s_load_dword s28, s[28:29], 0x6c
	s_add_u32 s0, s43, s2
	s_addc_u32 s1, s44, s3
	s_load_dword s2, s[0:1], 0x0
	v_mul_lo_u32 v3, v12, s54
	v_sub_u32_e32 v3, v14, v3
	s_waitcnt lgkmcnt(0)
	v_mad_u64_u32 v[10:11], s[0:1], s28, v3, v[10:11]
	s_add_i32 s20, s20, -1
	s_xor_b32 s0, s48, s53
	s_add_i32 s53, s53, 1
	s_cmp_lg_u32 s0, 2
	v_mad_u64_u32 v[6:7], s[0:1], s2, v3, v[6:7]
	s_cbranch_scc0 .LBB53_17
.LBB53_37:                              ;   Parent Loop BB53_3 Depth=1
                                        ; =>  This Inner Loop Header: Depth=2
	s_lshl_b64 s[2:3], s[20:21], 2
	s_add_u32 s28, s38, s2
	s_addc_u32 s29, s39, s3
	s_load_dword s54, s[28:29], 0x8
	v_pk_mov_b32 v[14:15], v[12:13], v[12:13] op_sel:[0,1]
                                        ; implicit-def: $vgpr12_vgpr13
	s_waitcnt lgkmcnt(0)
	s_ashr_i32 s0, s54, 31
	v_or_b32_e32 v3, s0, v15
	v_cmp_ne_u64_e32 vcc, 0, v[2:3]
	s_and_saveexec_b64 s[30:31], vcc
	s_xor_b64 s[30:31], exec, s[30:31]
	s_cbranch_execz .LBB53_39
; %bb.38:                               ;   in Loop: Header=BB53_37 Depth=2
	s_add_u32 s36, s54, s0
	s_mov_b32 s34, s0
	s_mov_b32 s35, s0
	s_addc_u32 s37, s0, s0
	s_xor_b64 s[36:37], s[36:37], s[34:35]
	v_cvt_f32_u32_e32 v3, s36
	v_cvt_f32_u32_e32 v5, s37
	s_sub_u32 s0, 0, s36
	s_subb_u32 s1, 0, s37
	v_mac_f32_e32 v3, 0x4f800000, v5
	v_rcp_f32_e32 v3, v3
	v_mul_f32_e32 v3, 0x5f7ffffc, v3
	v_mul_f32_e32 v5, 0x2f800000, v3
	v_trunc_f32_e32 v5, v5
	v_mac_f32_e32 v3, 0xcf800000, v5
	v_cvt_u32_f32_e32 v5, v5
	v_cvt_u32_f32_e32 v3, v3
	v_mul_lo_u32 v7, s0, v5
	v_mul_hi_u32 v11, s0, v3
	v_mul_lo_u32 v9, s1, v3
	v_add_u32_e32 v7, v11, v7
	v_mul_lo_u32 v12, s0, v3
	v_add_u32_e32 v7, v7, v9
	v_mul_lo_u32 v11, v3, v7
	v_mul_hi_u32 v13, v3, v12
	v_mul_hi_u32 v9, v3, v7
	v_add_co_u32_e32 v11, vcc, v13, v11
	v_addc_co_u32_e32 v9, vcc, 0, v9, vcc
	v_mul_hi_u32 v16, v5, v12
	v_mul_lo_u32 v12, v5, v12
	v_add_co_u32_e32 v11, vcc, v11, v12
	v_mul_hi_u32 v13, v5, v7
	v_addc_co_u32_e32 v9, vcc, v9, v16, vcc
	v_addc_co_u32_e32 v11, vcc, 0, v13, vcc
	v_mul_lo_u32 v7, v5, v7
	v_add_co_u32_e32 v7, vcc, v9, v7
	v_addc_co_u32_e32 v9, vcc, 0, v11, vcc
	v_add_co_u32_e32 v3, vcc, v3, v7
	v_addc_co_u32_e32 v5, vcc, v5, v9, vcc
	v_mul_lo_u32 v7, s0, v5
	v_mul_hi_u32 v9, s0, v3
	v_add_u32_e32 v7, v9, v7
	v_mul_lo_u32 v9, s1, v3
	v_add_u32_e32 v7, v7, v9
	v_mul_lo_u32 v11, s0, v3
	v_mul_hi_u32 v12, v5, v11
	v_mul_lo_u32 v13, v5, v11
	v_mul_lo_u32 v17, v3, v7
	v_mul_hi_u32 v11, v3, v11
	v_mul_hi_u32 v16, v3, v7
	v_add_co_u32_e32 v11, vcc, v11, v17
	v_addc_co_u32_e32 v16, vcc, 0, v16, vcc
	v_add_co_u32_e32 v11, vcc, v11, v13
	v_mul_hi_u32 v9, v5, v7
	v_addc_co_u32_e32 v11, vcc, v16, v12, vcc
	v_addc_co_u32_e32 v9, vcc, 0, v9, vcc
	v_mul_lo_u32 v7, v5, v7
	v_add_co_u32_e32 v7, vcc, v11, v7
	v_addc_co_u32_e32 v9, vcc, 0, v9, vcc
	v_add_co_u32_e32 v3, vcc, v3, v7
	v_addc_co_u32_e32 v5, vcc, v5, v9, vcc
	v_ashrrev_i32_e32 v7, 31, v15
	v_add_co_u32_e32 v9, vcc, v14, v7
	v_xor_b32_e32 v9, v9, v7
	v_addc_co_u32_e32 v11, vcc, v15, v7, vcc
	v_mad_u64_u32 v[12:13], s[0:1], v9, v5, 0
	v_mul_hi_u32 v15, v9, v3
	v_xor_b32_e32 v11, v11, v7
	v_add_co_u32_e32 v15, vcc, v15, v12
	v_addc_co_u32_e32 v18, vcc, 0, v13, vcc
	v_mad_u64_u32 v[16:17], s[0:1], v11, v3, 0
	v_add_co_u32_e32 v3, vcc, v15, v16
	v_mad_u64_u32 v[12:13], s[0:1], v11, v5, 0
	v_addc_co_u32_e32 v3, vcc, v18, v17, vcc
	v_addc_co_u32_e32 v5, vcc, 0, v13, vcc
	v_add_co_u32_e32 v3, vcc, v3, v12
	v_addc_co_u32_e32 v5, vcc, 0, v5, vcc
	v_mul_lo_u32 v15, s37, v3
	v_mul_lo_u32 v16, s36, v5
	v_mad_u64_u32 v[12:13], s[0:1], s36, v3, 0
	v_add3_u32 v13, v13, v16, v15
	v_sub_u32_e32 v15, v11, v13
	v_mov_b32_e32 v16, s37
	v_sub_co_u32_e32 v9, vcc, v9, v12
	v_subb_co_u32_e64 v12, s[0:1], v15, v16, vcc
	v_subrev_co_u32_e64 v15, s[0:1], s36, v9
	v_subbrev_co_u32_e64 v12, s[0:1], 0, v12, s[0:1]
	v_cmp_le_u32_e64 s[0:1], s37, v12
	v_cndmask_b32_e64 v16, 0, -1, s[0:1]
	v_cmp_le_u32_e64 s[0:1], s36, v15
	v_cndmask_b32_e64 v15, 0, -1, s[0:1]
	v_cmp_eq_u32_e64 s[0:1], s37, v12
	v_cndmask_b32_e64 v12, v16, v15, s[0:1]
	v_add_co_u32_e64 v15, s[0:1], 2, v3
	v_subb_co_u32_e32 v11, vcc, v11, v13, vcc
	v_addc_co_u32_e64 v16, s[0:1], 0, v5, s[0:1]
	v_cmp_le_u32_e32 vcc, s37, v11
	v_add_co_u32_e64 v17, s[0:1], 1, v3
	v_cndmask_b32_e64 v13, 0, -1, vcc
	v_cmp_le_u32_e32 vcc, s36, v9
	v_addc_co_u32_e64 v18, s[0:1], 0, v5, s[0:1]
	v_cndmask_b32_e64 v9, 0, -1, vcc
	v_cmp_eq_u32_e32 vcc, s37, v11
	v_cmp_ne_u32_e64 s[0:1], 0, v12
	v_cndmask_b32_e32 v9, v13, v9, vcc
	v_cmp_ne_u32_e32 vcc, 0, v9
	v_cndmask_b32_e64 v9, v17, v15, s[0:1]
	v_cndmask_b32_e64 v12, v18, v16, s[0:1]
	v_cndmask_b32_e32 v3, v3, v9, vcc
	v_xor_b32_e32 v9, s35, v7
	v_xor_b32_e32 v7, s34, v7
	v_cndmask_b32_e32 v5, v5, v12, vcc
	v_xor_b32_e32 v3, v3, v7
	v_xor_b32_e32 v5, v5, v9
	v_sub_co_u32_e32 v12, vcc, v3, v7
	v_subb_co_u32_e32 v13, vcc, v5, v9, vcc
.LBB53_39:                              ;   in Loop: Header=BB53_37 Depth=2
	s_andn2_saveexec_b64 s[0:1], s[30:31]
	s_cbranch_execz .LBB53_36
; %bb.40:                               ;   in Loop: Header=BB53_37 Depth=2
	v_cvt_f32_u32_e32 v3, s54
	s_sub_i32 s30, 0, s54
	v_mov_b32_e32 v13, v2
	v_rcp_iflag_f32_e32 v3, v3
	v_mul_f32_e32 v3, 0x4f7ffffe, v3
	v_cvt_u32_f32_e32 v3, v3
	v_mul_lo_u32 v5, s30, v3
	v_mul_hi_u32 v5, v3, v5
	v_add_u32_e32 v3, v3, v5
	v_mul_hi_u32 v3, v14, v3
	v_mul_lo_u32 v5, v3, s54
	v_sub_u32_e32 v5, v14, v5
	v_add_u32_e32 v7, 1, v3
	v_subrev_u32_e32 v9, s54, v5
	v_cmp_le_u32_e32 vcc, s54, v5
	v_cndmask_b32_e32 v5, v5, v9, vcc
	v_cndmask_b32_e32 v3, v3, v7, vcc
	v_add_u32_e32 v7, 1, v3
	v_cmp_le_u32_e32 vcc, s54, v5
	v_cndmask_b32_e32 v12, v3, v7, vcc
	s_branch .LBB53_36
.LBB53_41:                              ;   in Loop: Header=BB53_3 Depth=1
	v_mov_b32_e32 v3, v4
	v_sub_u32_e32 v4, v4, v8
	v_add_u32_e32 v4, 4, v4
	v_ashrrev_i32_e32 v5, 31, v4
	v_cmp_le_i64_e32 vcc, s[8:9], v[4:5]
                                        ; implicit-def: $vgpr7
	s_and_saveexec_b64 s[0:1], vcc
	s_xor_b64 s[0:1], exec, s[0:1]
	s_cbranch_execnz .LBB53_44
; %bb.42:                               ;   in Loop: Header=BB53_3 Depth=1
	s_andn2_saveexec_b64 s[0:1], s[0:1]
	s_cbranch_execnz .LBB53_53
.LBB53_43:                              ;   in Loop: Header=BB53_3 Depth=1
	s_or_b64 exec, exec, s[0:1]
	v_cmp_gt_i32_e32 vcc, s13, v3
	s_and_saveexec_b64 s[0:1], vcc
	s_cbranch_execz .LBB53_2
	s_branch .LBB53_54
.LBB53_44:                              ;   in Loop: Header=BB53_3 Depth=1
	v_cmp_gt_i32_e32 vcc, s13, v3
	v_mov_b32_e32 v7, 0
	s_and_saveexec_b64 s[2:3], vcc
	s_cbranch_execz .LBB53_52
; %bb.45:                               ;   in Loop: Header=BB53_3 Depth=1
	v_ashrrev_i32_e32 v5, 31, v10
	v_mov_b32_e32 v7, s7
	v_add_co_u32_e32 v4, vcc, s6, v10
	v_addc_co_u32_e32 v5, vcc, v7, v5, vcc
	global_load_ubyte v7, v[4:5], off
	v_add_u32_e32 v9, 1, v3
	v_cmp_gt_i32_e32 vcc, s13, v9
	s_and_saveexec_b64 s[28:29], vcc
	s_xor_b64 s[28:29], exec, s[28:29]
	s_cbranch_execz .LBB53_51
; %bb.46:                               ;   in Loop: Header=BB53_3 Depth=1
	v_mov_b32_e32 v9, s49
	v_add_co_u32_e32 v4, vcc, s50, v4
	v_addc_co_u32_e32 v5, vcc, v5, v9, vcc
	global_load_ubyte v4, v[4:5], off
	v_add_u32_e32 v5, 2, v3
	v_cmp_gt_i32_e32 vcc, s13, v5
	s_waitcnt vmcnt(0)
	v_lshlrev_b16_e32 v4, 8, v4
	v_or_b32_e32 v4, v7, v4
	v_and_b32_e32 v7, 0xffff, v4
	s_and_saveexec_b64 s[30:31], vcc
	s_xor_b64 s[30:31], exec, s[30:31]
	s_cbranch_execz .LBB53_50
; %bb.47:                               ;   in Loop: Header=BB53_3 Depth=1
	s_add_i32 s20, s50, s50
	v_add_u32_e32 v4, s20, v10
	v_ashrrev_i32_e32 v5, 31, v4
	v_mov_b32_e32 v9, s7
	v_add_co_u32_e32 v10, vcc, s6, v4
	v_addc_co_u32_e32 v11, vcc, v9, v5, vcc
	global_load_ubyte v5, v[10:11], off
	v_add_u32_e32 v9, 3, v3
	v_cmp_gt_i32_e32 vcc, s13, v9
	s_waitcnt vmcnt(0)
	v_lshl_or_b32 v7, v5, 16, v7
	s_and_saveexec_b64 s[34:35], vcc
	s_xor_b64 s[34:35], exec, s[34:35]
	s_cbranch_execz .LBB53_49
; %bb.48:                               ;   in Loop: Header=BB53_3 Depth=1
	v_add_u32_e32 v4, s50, v4
	v_ashrrev_i32_e32 v5, 31, v4
	v_mov_b32_e32 v9, s7
	v_add_co_u32_e32 v4, vcc, s6, v4
	v_addc_co_u32_e32 v5, vcc, v9, v5, vcc
	global_load_ubyte v4, v[4:5], off
	s_waitcnt vmcnt(0)
	v_lshlrev_b16_e32 v4, 8, v4
	v_or_b32_sdwa v4, v7, v4 dst_sel:WORD_1 dst_unused:UNUSED_PAD src0_sel:WORD_1 src1_sel:DWORD
	v_and_or_b32 v7, v7, s33, v4
.LBB53_49:                              ;   in Loop: Header=BB53_3 Depth=1
	s_or_b64 exec, exec, s[34:35]
.LBB53_50:                              ;   in Loop: Header=BB53_3 Depth=1
	s_or_b64 exec, exec, s[30:31]
.LBB53_51:                              ;   in Loop: Header=BB53_3 Depth=1
	s_or_b64 exec, exec, s[28:29]
.LBB53_52:                              ;   in Loop: Header=BB53_3 Depth=1
	s_or_b64 exec, exec, s[2:3]
	v_sub_u32_e32 v4, v3, v8
	v_ashrrev_i32_e32 v5, 31, v4
	v_add_u32_e32 v8, 1, v4
	v_cmp_le_i64_e32 vcc, s[8:9], v[4:5]
	v_ashrrev_i32_e32 v9, 31, v8
	s_waitcnt vmcnt(0)
	v_cndmask_b32_e32 v11, 0, v7, vcc
	v_cmp_le_i64_e32 vcc, s[8:9], v[8:9]
	v_add_u32_e32 v8, 2, v4
	v_lshrrev_b32_e32 v5, 8, v7
	v_ashrrev_i32_e32 v9, 31, v8
	v_add_u32_e32 v4, 3, v4
	v_lshrrev_b32_e32 v10, 16, v7
	v_cndmask_b32_e32 v12, 0, v5, vcc
	v_cmp_le_i64_e32 vcc, s[8:9], v[8:9]
	v_ashrrev_i32_e32 v5, 31, v4
	v_cndmask_b32_e32 v8, 0, v10, vcc
	v_lshrrev_b32_e32 v7, 24, v7
	v_cmp_le_i64_e32 vcc, s[8:9], v[4:5]
	v_cndmask_b32_e32 v4, 0, v7, vcc
	v_lshlrev_b16_e32 v5, 8, v12
	v_lshlrev_b16_e32 v4, 8, v4
	v_or_b32_sdwa v5, v11, v5 dst_sel:DWORD dst_unused:UNUSED_PAD src0_sel:BYTE_0 src1_sel:DWORD
	v_or_b32_sdwa v4, v8, v4 dst_sel:WORD_1 dst_unused:UNUSED_PAD src0_sel:BYTE_0 src1_sel:DWORD
	v_or_b32_sdwa v7, v5, v4 dst_sel:DWORD dst_unused:UNUSED_PAD src0_sel:WORD_0 src1_sel:DWORD
	s_andn2_saveexec_b64 s[0:1], s[0:1]
	s_cbranch_execz .LBB53_43
.LBB53_53:                              ;   in Loop: Header=BB53_3 Depth=1
	v_mov_b32_e32 v7, 0
	s_or_b64 exec, exec, s[0:1]
	v_cmp_gt_i32_e32 vcc, s13, v3
	s_and_saveexec_b64 s[0:1], vcc
	s_cbranch_execz .LBB53_2
.LBB53_54:                              ;   in Loop: Header=BB53_3 Depth=1
	v_ashrrev_i32_e32 v5, 31, v6
	v_mov_b32_e32 v8, s5
	v_add_co_u32_e32 v4, vcc, s4, v6
	v_addc_co_u32_e32 v5, vcc, v8, v5, vcc
	v_add_u32_e32 v8, 1, v3
	v_cmp_gt_i32_e32 vcc, s13, v8
	global_store_byte v[4:5], v7, off
	s_and_saveexec_b64 s[2:3], vcc
	s_xor_b64 s[2:3], exec, s[2:3]
	s_cbranch_execz .LBB53_2
; %bb.55:                               ;   in Loop: Header=BB53_3 Depth=1
	v_mov_b32_e32 v9, s51
	v_add_co_u32_e32 v4, vcc, s52, v4
	v_lshrrev_b32_e32 v8, 8, v7
	v_addc_co_u32_e32 v5, vcc, v5, v9, vcc
	global_store_byte v[4:5], v8, off
	v_add_u32_e32 v4, 2, v3
	v_cmp_gt_i32_e32 vcc, s13, v4
	s_and_saveexec_b64 s[2:3], vcc
	s_xor_b64 s[2:3], exec, s[2:3]
	s_cbranch_execz .LBB53_2
; %bb.56:                               ;   in Loop: Header=BB53_3 Depth=1
	s_add_i32 s2, s52, s52
	v_add_u32_e32 v4, s2, v6
	v_ashrrev_i32_e32 v5, 31, v4
	v_mov_b32_e32 v6, s5
	v_add_co_u32_e32 v8, vcc, s4, v4
	v_addc_co_u32_e32 v9, vcc, v6, v5, vcc
	v_add_u32_e32 v3, 3, v3
	v_cmp_gt_i32_e32 vcc, s13, v3
	global_store_byte_d16_hi v[8:9], v7, off
	s_and_saveexec_b64 s[2:3], vcc
	s_xor_b64 s[2:3], exec, s[2:3]
	s_cbranch_execz .LBB53_2
; %bb.57:                               ;   in Loop: Header=BB53_3 Depth=1
	v_add_u32_e32 v4, s52, v4
	v_ashrrev_i32_e32 v5, 31, v4
	v_mov_b32_e32 v6, s5
	v_add_co_u32_e32 v4, vcc, s4, v4
	v_lshrrev_b32_e32 v3, 24, v7
	v_addc_co_u32_e32 v5, vcc, v6, v5, vcc
	global_store_byte v[4:5], v3, off
	s_branch .LBB53_2
.LBB53_58:
	s_endpgm
	.section	.rodata,"a",@progbits
	.p2align	6, 0x0
	.amdhsa_kernel _ZN2at6native16triu_tril_kernelIhiLb1ELi4ELb0EEEvNS_4cuda6detail10TensorInfoIT_T0_EENS4_IKS5_S6_EEllS6_
		.amdhsa_group_segment_fixed_size 0
		.amdhsa_private_segment_fixed_size 0
		.amdhsa_kernarg_size 712
		.amdhsa_user_sgpr_count 6
		.amdhsa_user_sgpr_private_segment_buffer 1
		.amdhsa_user_sgpr_dispatch_ptr 0
		.amdhsa_user_sgpr_queue_ptr 0
		.amdhsa_user_sgpr_kernarg_segment_ptr 1
		.amdhsa_user_sgpr_dispatch_id 0
		.amdhsa_user_sgpr_flat_scratch_init 0
		.amdhsa_user_sgpr_kernarg_preload_length 0
		.amdhsa_user_sgpr_kernarg_preload_offset 0
		.amdhsa_user_sgpr_private_segment_size 0
		.amdhsa_uses_dynamic_stack 0
		.amdhsa_system_sgpr_private_segment_wavefront_offset 0
		.amdhsa_system_sgpr_workgroup_id_x 1
		.amdhsa_system_sgpr_workgroup_id_y 0
		.amdhsa_system_sgpr_workgroup_id_z 0
		.amdhsa_system_sgpr_workgroup_info 0
		.amdhsa_system_vgpr_workitem_id 0
		.amdhsa_next_free_vgpr 26
		.amdhsa_next_free_sgpr 63
		.amdhsa_accum_offset 28
		.amdhsa_reserve_vcc 1
		.amdhsa_reserve_flat_scratch 0
		.amdhsa_float_round_mode_32 0
		.amdhsa_float_round_mode_16_64 0
		.amdhsa_float_denorm_mode_32 3
		.amdhsa_float_denorm_mode_16_64 3
		.amdhsa_dx10_clamp 1
		.amdhsa_ieee_mode 1
		.amdhsa_fp16_overflow 0
		.amdhsa_tg_split 0
		.amdhsa_exception_fp_ieee_invalid_op 0
		.amdhsa_exception_fp_denorm_src 0
		.amdhsa_exception_fp_ieee_div_zero 0
		.amdhsa_exception_fp_ieee_overflow 0
		.amdhsa_exception_fp_ieee_underflow 0
		.amdhsa_exception_fp_ieee_inexact 0
		.amdhsa_exception_int_div_zero 0
	.end_amdhsa_kernel
	.section	.text._ZN2at6native16triu_tril_kernelIhiLb1ELi4ELb0EEEvNS_4cuda6detail10TensorInfoIT_T0_EENS4_IKS5_S6_EEllS6_,"axG",@progbits,_ZN2at6native16triu_tril_kernelIhiLb1ELi4ELb0EEEvNS_4cuda6detail10TensorInfoIT_T0_EENS4_IKS5_S6_EEllS6_,comdat
.Lfunc_end53:
	.size	_ZN2at6native16triu_tril_kernelIhiLb1ELi4ELb0EEEvNS_4cuda6detail10TensorInfoIT_T0_EENS4_IKS5_S6_EEllS6_, .Lfunc_end53-_ZN2at6native16triu_tril_kernelIhiLb1ELi4ELb0EEEvNS_4cuda6detail10TensorInfoIT_T0_EENS4_IKS5_S6_EEllS6_
                                        ; -- End function
	.section	.AMDGPU.csdata,"",@progbits
; Kernel info:
; codeLenInByte = 7960
; NumSgprs: 67
; NumVgprs: 26
; NumAgprs: 0
; TotalNumVgprs: 26
; ScratchSize: 0
; MemoryBound: 0
; FloatMode: 240
; IeeeMode: 1
; LDSByteSize: 0 bytes/workgroup (compile time only)
; SGPRBlocks: 8
; VGPRBlocks: 3
; NumSGPRsForWavesPerEU: 67
; NumVGPRsForWavesPerEU: 26
; AccumOffset: 28
; Occupancy: 8
; WaveLimiterHint : 0
; COMPUTE_PGM_RSRC2:SCRATCH_EN: 0
; COMPUTE_PGM_RSRC2:USER_SGPR: 6
; COMPUTE_PGM_RSRC2:TRAP_HANDLER: 0
; COMPUTE_PGM_RSRC2:TGID_X_EN: 1
; COMPUTE_PGM_RSRC2:TGID_Y_EN: 0
; COMPUTE_PGM_RSRC2:TGID_Z_EN: 0
; COMPUTE_PGM_RSRC2:TIDIG_COMP_CNT: 0
; COMPUTE_PGM_RSRC3_GFX90A:ACCUM_OFFSET: 6
; COMPUTE_PGM_RSRC3_GFX90A:TG_SPLIT: 0
	.section	.text._ZN2at6native16triu_tril_kernelIhlLb1ELi4ELb1EEEvNS_4cuda6detail10TensorInfoIT_T0_EENS4_IKS5_S6_EEllS6_,"axG",@progbits,_ZN2at6native16triu_tril_kernelIhlLb1ELi4ELb1EEEvNS_4cuda6detail10TensorInfoIT_T0_EENS4_IKS5_S6_EEllS6_,comdat
	.protected	_ZN2at6native16triu_tril_kernelIhlLb1ELi4ELb1EEEvNS_4cuda6detail10TensorInfoIT_T0_EENS4_IKS5_S6_EEllS6_ ; -- Begin function _ZN2at6native16triu_tril_kernelIhlLb1ELi4ELb1EEEvNS_4cuda6detail10TensorInfoIT_T0_EENS4_IKS5_S6_EEllS6_
	.globl	_ZN2at6native16triu_tril_kernelIhlLb1ELi4ELb1EEEvNS_4cuda6detail10TensorInfoIT_T0_EENS4_IKS5_S6_EEllS6_
	.p2align	8
	.type	_ZN2at6native16triu_tril_kernelIhlLb1ELi4ELb1EEEvNS_4cuda6detail10TensorInfoIT_T0_EENS4_IKS5_S6_EEllS6_,@function
_ZN2at6native16triu_tril_kernelIhlLb1ELi4ELb1EEEvNS_4cuda6detail10TensorInfoIT_T0_EENS4_IKS5_S6_EEllS6_: ; @_ZN2at6native16triu_tril_kernelIhlLb1ELi4ELb1EEEvNS_4cuda6detail10TensorInfoIT_T0_EENS4_IKS5_S6_EEllS6_
; %bb.0:
	s_load_dword s2, s[4:5], 0x364
	s_load_dwordx4 s[8:11], s[4:5], 0x340
	s_add_u32 s0, s4, 0x358
	v_mov_b32_e32 v2, 0
	s_addc_u32 s1, s5, 0
	s_waitcnt lgkmcnt(0)
	s_and_b32 s12, s2, 0xffff
	v_mov_b32_e32 v1, v2
	v_mov_b32_e32 v3, s6
	v_mad_u64_u32 v[0:1], s[2:3], s12, v3, v[0:1]
	v_lshlrev_b64 v[0:1], 2, v[0:1]
	v_cmp_gt_i64_e32 vcc, s[10:11], v[0:1]
	s_and_saveexec_b64 s[2:3], vcc
	s_cbranch_execz .LBB54_27
; %bb.1:
	s_load_dword s13, s[0:1], 0x0
	s_load_dword s18, s[4:5], 0x338
	s_load_dwordx2 s[2:3], s[4:5], 0x350
	s_load_dwordx2 s[6:7], s[4:5], 0x0
	s_mov_b32 s48, 0
	s_waitcnt lgkmcnt(0)
	s_mul_i32 s20, s13, s12
	s_ashr_i32 s19, s18, 31
	s_add_u32 s24, s4, 0x1a8
	s_addc_u32 s25, s5, 0
	s_lshl_b64 s[0:1], s[18:19], 3
	s_add_u32 s16, s0, -16
	s_addc_u32 s17, s1, -1
	s_add_u32 s14, s24, s16
	s_addc_u32 s15, s25, s17
	v_cmp_gt_i64_e64 s[12:13], s[18:19], 2
	s_add_u32 s19, s0, -8
	s_addc_u32 s21, s1, -1
	s_add_u32 s26, s4, 0xd0
	s_addc_u32 s27, s5, 0
	s_add_u32 s4, s26, s19
	v_cvt_f32_u32_e32 v3, s2
	s_addc_u32 s5, s27, s21
	s_add_u32 s16, s26, s16
	s_addc_u32 s17, s27, s17
	s_add_i32 s0, s18, -3
	s_ashr_i32 s1, s0, 31
	v_rcp_iflag_f32_e32 v3, v3
	s_add_u32 s18, s24, s19
	s_addc_u32 s19, s25, s21
	s_lshl_b32 s33, s20, 2
	s_lshl_b64 s[22:23], s[0:1], 3
	s_add_u32 s20, s26, s22
	s_load_dwordx2 s[14:15], s[14:15], 0x0
	s_addc_u32 s21, s27, s23
	v_mul_f32_e32 v3, 0x4f7ffffe, v3
	s_add_u32 s22, s24, s22
	v_cvt_u32_f32_e32 v12, v3
	s_addc_u32 s23, s25, s23
	s_add_u32 s24, s0, 1
	s_addc_u32 s25, s1, 0
	s_mov_b64 s[26:27], 0
	s_branch .LBB54_3
.LBB54_2:                               ;   in Loop: Header=BB54_3 Depth=1
	s_or_b64 exec, exec, s[28:29]
	v_mov_b32_e32 v3, s48
	v_add_co_u32_e32 v0, vcc, s33, v0
	v_addc_co_u32_e32 v1, vcc, v1, v3, vcc
	v_cmp_le_i64_e32 vcc, s[10:11], v[0:1]
	s_or_b64 s[26:27], vcc, s[26:27]
	s_andn2_b64 exec, exec, s[26:27]
	s_cbranch_execz .LBB54_27
.LBB54_3:                               ; =>This Loop Header: Depth=1
                                        ;     Child Loop BB54_23 Depth 2
	v_or_b32_e32 v3, s3, v1
	v_cmp_ne_u64_e32 vcc, 0, v[2:3]
                                        ; implicit-def: $vgpr8_vgpr9
	s_and_saveexec_b64 s[0:1], vcc
	s_xor_b64 s[28:29], exec, s[0:1]
	s_cbranch_execz .LBB54_5
; %bb.4:                                ;   in Loop: Header=BB54_3 Depth=1
	s_ashr_i32 s30, s3, 31
	s_add_u32 s0, s2, s30
	s_mov_b32 s31, s30
	s_addc_u32 s1, s3, s30
	s_xor_b64 s[34:35], s[0:1], s[30:31]
	v_cvt_f32_u32_e32 v3, s34
	v_cvt_f32_u32_e32 v4, s35
	s_sub_u32 s0, 0, s34
	s_subb_u32 s1, 0, s35
	v_mac_f32_e32 v3, 0x4f800000, v4
	v_rcp_f32_e32 v3, v3
	v_mul_f32_e32 v3, 0x5f7ffffc, v3
	v_mul_f32_e32 v4, 0x2f800000, v3
	v_trunc_f32_e32 v4, v4
	v_mac_f32_e32 v3, 0xcf800000, v4
	v_cvt_u32_f32_e32 v4, v4
	v_cvt_u32_f32_e32 v3, v3
	v_mul_lo_u32 v5, s0, v4
	v_mul_hi_u32 v7, s0, v3
	v_mul_lo_u32 v6, s1, v3
	v_add_u32_e32 v5, v7, v5
	v_mul_lo_u32 v8, s0, v3
	v_add_u32_e32 v5, v5, v6
	v_mul_lo_u32 v7, v3, v5
	v_mul_hi_u32 v9, v3, v8
	v_mul_hi_u32 v6, v3, v5
	v_add_co_u32_e32 v7, vcc, v9, v7
	v_addc_co_u32_e32 v6, vcc, 0, v6, vcc
	v_mul_hi_u32 v10, v4, v8
	v_mul_lo_u32 v8, v4, v8
	v_add_co_u32_e32 v7, vcc, v7, v8
	v_mul_hi_u32 v9, v4, v5
	v_addc_co_u32_e32 v6, vcc, v6, v10, vcc
	v_addc_co_u32_e32 v7, vcc, 0, v9, vcc
	v_mul_lo_u32 v5, v4, v5
	v_add_co_u32_e32 v5, vcc, v6, v5
	v_addc_co_u32_e32 v6, vcc, 0, v7, vcc
	v_add_co_u32_e32 v3, vcc, v3, v5
	v_addc_co_u32_e32 v4, vcc, v4, v6, vcc
	v_mul_lo_u32 v5, s0, v4
	v_mul_hi_u32 v6, s0, v3
	v_add_u32_e32 v5, v6, v5
	v_mul_lo_u32 v6, s1, v3
	v_add_u32_e32 v5, v5, v6
	v_mul_lo_u32 v7, s0, v3
	v_mul_hi_u32 v8, v4, v7
	v_mul_lo_u32 v9, v4, v7
	v_mul_lo_u32 v11, v3, v5
	v_mul_hi_u32 v7, v3, v7
	v_mul_hi_u32 v10, v3, v5
	v_add_co_u32_e32 v7, vcc, v7, v11
	v_addc_co_u32_e32 v10, vcc, 0, v10, vcc
	v_add_co_u32_e32 v7, vcc, v7, v9
	v_mul_hi_u32 v6, v4, v5
	v_addc_co_u32_e32 v7, vcc, v10, v8, vcc
	v_addc_co_u32_e32 v6, vcc, 0, v6, vcc
	v_mul_lo_u32 v5, v4, v5
	v_add_co_u32_e32 v5, vcc, v7, v5
	v_addc_co_u32_e32 v6, vcc, 0, v6, vcc
	v_add_co_u32_e32 v3, vcc, v3, v5
	v_addc_co_u32_e32 v6, vcc, v4, v6, vcc
	v_ashrrev_i32_e32 v8, 31, v1
	v_add_co_u32_e32 v4, vcc, v0, v8
	v_addc_co_u32_e32 v5, vcc, v1, v8, vcc
	v_xor_b32_e32 v10, v4, v8
	v_xor_b32_e32 v9, v5, v8
	v_mad_u64_u32 v[4:5], s[0:1], v10, v6, 0
	v_mul_hi_u32 v7, v10, v3
	v_add_co_u32_e32 v11, vcc, v7, v4
	v_addc_co_u32_e32 v13, vcc, 0, v5, vcc
	v_mad_u64_u32 v[4:5], s[0:1], v9, v6, 0
	v_mad_u64_u32 v[6:7], s[0:1], v9, v3, 0
	v_add_co_u32_e32 v3, vcc, v11, v6
	v_addc_co_u32_e32 v3, vcc, v13, v7, vcc
	v_addc_co_u32_e32 v5, vcc, 0, v5, vcc
	v_add_co_u32_e32 v3, vcc, v3, v4
	v_addc_co_u32_e32 v6, vcc, 0, v5, vcc
	v_mul_lo_u32 v7, s35, v3
	v_mul_lo_u32 v11, s34, v6
	v_mad_u64_u32 v[4:5], s[0:1], s34, v3, 0
	v_add3_u32 v5, v5, v11, v7
	v_sub_u32_e32 v7, v9, v5
	v_mov_b32_e32 v11, s35
	v_sub_co_u32_e32 v4, vcc, v10, v4
	v_subb_co_u32_e64 v7, s[0:1], v7, v11, vcc
	v_subrev_co_u32_e64 v10, s[0:1], s34, v4
	v_subbrev_co_u32_e64 v7, s[0:1], 0, v7, s[0:1]
	v_cmp_le_u32_e64 s[0:1], s35, v7
	v_cndmask_b32_e64 v11, 0, -1, s[0:1]
	v_cmp_le_u32_e64 s[0:1], s34, v10
	v_cndmask_b32_e64 v10, 0, -1, s[0:1]
	v_cmp_eq_u32_e64 s[0:1], s35, v7
	v_cndmask_b32_e64 v7, v11, v10, s[0:1]
	v_add_co_u32_e64 v10, s[0:1], 2, v3
	v_subb_co_u32_e32 v5, vcc, v9, v5, vcc
	v_addc_co_u32_e64 v11, s[0:1], 0, v6, s[0:1]
	v_cmp_le_u32_e32 vcc, s35, v5
	v_add_co_u32_e64 v13, s[0:1], 1, v3
	v_cndmask_b32_e64 v9, 0, -1, vcc
	v_cmp_le_u32_e32 vcc, s34, v4
	v_addc_co_u32_e64 v14, s[0:1], 0, v6, s[0:1]
	v_cndmask_b32_e64 v4, 0, -1, vcc
	v_cmp_eq_u32_e32 vcc, s35, v5
	v_cmp_ne_u32_e64 s[0:1], 0, v7
	v_cndmask_b32_e32 v4, v9, v4, vcc
	v_cmp_ne_u32_e32 vcc, 0, v4
	v_cndmask_b32_e64 v5, v13, v10, s[0:1]
	v_cndmask_b32_e64 v7, v14, v11, s[0:1]
	v_cndmask_b32_e32 v3, v3, v5, vcc
	v_xor_b32_e32 v5, s30, v8
	v_cndmask_b32_e32 v4, v6, v7, vcc
	v_xor_b32_e32 v3, v3, v5
	v_xor_b32_e32 v4, v4, v5
	v_sub_co_u32_e32 v8, vcc, v3, v5
	v_subb_co_u32_e32 v9, vcc, v4, v5, vcc
.LBB54_5:                               ;   in Loop: Header=BB54_3 Depth=1
	s_andn2_saveexec_b64 s[0:1], s[28:29]
	s_cbranch_execz .LBB54_7
; %bb.6:                                ;   in Loop: Header=BB54_3 Depth=1
	s_sub_i32 s28, 0, s2
	v_mul_lo_u32 v3, s28, v12
	v_mul_hi_u32 v3, v12, v3
	v_add_u32_e32 v3, v12, v3
	v_mul_hi_u32 v3, v0, v3
	v_mul_lo_u32 v4, v3, s2
	v_sub_u32_e32 v4, v0, v4
	v_subrev_u32_e32 v5, s2, v4
	v_cmp_le_u32_e32 vcc, s2, v4
	v_cndmask_b32_e32 v4, v4, v5, vcc
	v_add_u32_e32 v5, 1, v3
	v_cndmask_b32_e32 v3, v3, v5, vcc
	v_add_u32_e32 v5, 1, v3
	v_cmp_le_u32_e32 vcc, s2, v4
	v_cndmask_b32_e32 v8, v3, v5, vcc
	v_mov_b32_e32 v9, v2
.LBB54_7:                               ;   in Loop: Header=BB54_3 Depth=1
	s_or_b64 exec, exec, s[0:1]
	s_waitcnt lgkmcnt(0)
	v_or_b32_e32 v3, s15, v9
	v_cmp_ne_u64_e32 vcc, 0, v[2:3]
                                        ; implicit-def: $vgpr6_vgpr7
	s_and_saveexec_b64 s[0:1], vcc
	s_xor_b64 s[28:29], exec, s[0:1]
	s_cbranch_execz .LBB54_9
; %bb.8:                                ;   in Loop: Header=BB54_3 Depth=1
	s_ashr_i32 s30, s15, 31
	s_add_u32 s0, s14, s30
	s_mov_b32 s31, s30
	s_addc_u32 s1, s15, s30
	s_xor_b64 s[34:35], s[0:1], s[30:31]
	v_cvt_f32_u32_e32 v3, s34
	v_cvt_f32_u32_e32 v4, s35
	s_sub_u32 s0, 0, s34
	s_subb_u32 s1, 0, s35
	v_mac_f32_e32 v3, 0x4f800000, v4
	v_rcp_f32_e32 v3, v3
	v_mul_f32_e32 v3, 0x5f7ffffc, v3
	v_mul_f32_e32 v4, 0x2f800000, v3
	v_trunc_f32_e32 v4, v4
	v_mac_f32_e32 v3, 0xcf800000, v4
	v_cvt_u32_f32_e32 v4, v4
	v_cvt_u32_f32_e32 v3, v3
	v_mul_lo_u32 v5, s0, v4
	v_mul_hi_u32 v7, s0, v3
	v_mul_lo_u32 v6, s1, v3
	v_add_u32_e32 v5, v7, v5
	v_mul_lo_u32 v10, s0, v3
	v_add_u32_e32 v5, v5, v6
	v_mul_lo_u32 v7, v3, v5
	v_mul_hi_u32 v11, v3, v10
	v_mul_hi_u32 v6, v3, v5
	v_add_co_u32_e32 v7, vcc, v11, v7
	v_addc_co_u32_e32 v6, vcc, 0, v6, vcc
	v_mul_hi_u32 v13, v4, v10
	v_mul_lo_u32 v10, v4, v10
	v_add_co_u32_e32 v7, vcc, v7, v10
	v_mul_hi_u32 v11, v4, v5
	v_addc_co_u32_e32 v6, vcc, v6, v13, vcc
	v_addc_co_u32_e32 v7, vcc, 0, v11, vcc
	v_mul_lo_u32 v5, v4, v5
	v_add_co_u32_e32 v5, vcc, v6, v5
	v_addc_co_u32_e32 v6, vcc, 0, v7, vcc
	v_add_co_u32_e32 v3, vcc, v3, v5
	v_addc_co_u32_e32 v4, vcc, v4, v6, vcc
	v_mul_lo_u32 v5, s0, v4
	v_mul_hi_u32 v6, s0, v3
	v_add_u32_e32 v5, v6, v5
	v_mul_lo_u32 v6, s1, v3
	v_add_u32_e32 v5, v5, v6
	v_mul_lo_u32 v7, s0, v3
	v_mul_hi_u32 v10, v4, v7
	v_mul_lo_u32 v11, v4, v7
	v_mul_lo_u32 v14, v3, v5
	v_mul_hi_u32 v7, v3, v7
	v_mul_hi_u32 v13, v3, v5
	v_add_co_u32_e32 v7, vcc, v7, v14
	v_addc_co_u32_e32 v13, vcc, 0, v13, vcc
	v_add_co_u32_e32 v7, vcc, v7, v11
	v_mul_hi_u32 v6, v4, v5
	v_addc_co_u32_e32 v7, vcc, v13, v10, vcc
	v_addc_co_u32_e32 v6, vcc, 0, v6, vcc
	v_mul_lo_u32 v5, v4, v5
	v_add_co_u32_e32 v5, vcc, v7, v5
	v_addc_co_u32_e32 v6, vcc, 0, v6, vcc
	v_add_co_u32_e32 v3, vcc, v3, v5
	v_addc_co_u32_e32 v6, vcc, v4, v6, vcc
	v_ashrrev_i32_e32 v10, 31, v9
	v_add_co_u32_e32 v4, vcc, v8, v10
	v_addc_co_u32_e32 v5, vcc, v9, v10, vcc
	v_xor_b32_e32 v13, v4, v10
	v_xor_b32_e32 v11, v5, v10
	v_mad_u64_u32 v[4:5], s[0:1], v13, v6, 0
	v_mul_hi_u32 v7, v13, v3
	v_add_co_u32_e32 v14, vcc, v7, v4
	v_addc_co_u32_e32 v15, vcc, 0, v5, vcc
	v_mad_u64_u32 v[4:5], s[0:1], v11, v6, 0
	v_mad_u64_u32 v[6:7], s[0:1], v11, v3, 0
	v_add_co_u32_e32 v3, vcc, v14, v6
	v_addc_co_u32_e32 v3, vcc, v15, v7, vcc
	v_addc_co_u32_e32 v5, vcc, 0, v5, vcc
	v_add_co_u32_e32 v3, vcc, v3, v4
	v_addc_co_u32_e32 v6, vcc, 0, v5, vcc
	v_mul_lo_u32 v7, s35, v3
	v_mul_lo_u32 v14, s34, v6
	v_mad_u64_u32 v[4:5], s[0:1], s34, v3, 0
	v_add3_u32 v5, v5, v14, v7
	v_sub_u32_e32 v7, v11, v5
	v_mov_b32_e32 v14, s35
	v_sub_co_u32_e32 v4, vcc, v13, v4
	v_subb_co_u32_e64 v7, s[0:1], v7, v14, vcc
	v_subrev_co_u32_e64 v13, s[0:1], s34, v4
	v_subbrev_co_u32_e64 v7, s[0:1], 0, v7, s[0:1]
	v_cmp_le_u32_e64 s[0:1], s35, v7
	v_cndmask_b32_e64 v14, 0, -1, s[0:1]
	v_cmp_le_u32_e64 s[0:1], s34, v13
	v_cndmask_b32_e64 v13, 0, -1, s[0:1]
	v_cmp_eq_u32_e64 s[0:1], s35, v7
	v_cndmask_b32_e64 v7, v14, v13, s[0:1]
	v_add_co_u32_e64 v13, s[0:1], 2, v3
	v_subb_co_u32_e32 v5, vcc, v11, v5, vcc
	v_addc_co_u32_e64 v14, s[0:1], 0, v6, s[0:1]
	v_cmp_le_u32_e32 vcc, s35, v5
	v_add_co_u32_e64 v15, s[0:1], 1, v3
	v_cndmask_b32_e64 v11, 0, -1, vcc
	v_cmp_le_u32_e32 vcc, s34, v4
	v_addc_co_u32_e64 v16, s[0:1], 0, v6, s[0:1]
	v_cndmask_b32_e64 v4, 0, -1, vcc
	v_cmp_eq_u32_e32 vcc, s35, v5
	v_cmp_ne_u32_e64 s[0:1], 0, v7
	v_cndmask_b32_e32 v4, v11, v4, vcc
	v_cmp_ne_u32_e32 vcc, 0, v4
	v_cndmask_b32_e64 v5, v15, v13, s[0:1]
	v_cndmask_b32_e64 v7, v16, v14, s[0:1]
	v_cndmask_b32_e32 v3, v3, v5, vcc
	v_xor_b32_e32 v5, s30, v10
	v_cndmask_b32_e32 v4, v6, v7, vcc
	v_xor_b32_e32 v3, v3, v5
	v_xor_b32_e32 v4, v4, v5
	v_sub_co_u32_e32 v6, vcc, v3, v5
	v_subb_co_u32_e32 v7, vcc, v4, v5, vcc
.LBB54_9:                               ;   in Loop: Header=BB54_3 Depth=1
	s_andn2_saveexec_b64 s[0:1], s[28:29]
	s_cbranch_execz .LBB54_11
; %bb.10:                               ;   in Loop: Header=BB54_3 Depth=1
	v_cvt_f32_u32_e32 v3, s14
	s_sub_i32 s28, 0, s14
	v_mov_b32_e32 v7, v2
	v_rcp_iflag_f32_e32 v3, v3
	v_mul_f32_e32 v3, 0x4f7ffffe, v3
	v_cvt_u32_f32_e32 v3, v3
	v_mul_lo_u32 v4, s28, v3
	v_mul_hi_u32 v4, v3, v4
	v_add_u32_e32 v3, v3, v4
	v_mul_hi_u32 v3, v8, v3
	v_mul_lo_u32 v4, v3, s14
	v_sub_u32_e32 v4, v8, v4
	v_add_u32_e32 v5, 1, v3
	v_subrev_u32_e32 v6, s14, v4
	v_cmp_le_u32_e32 vcc, s14, v4
	v_cndmask_b32_e32 v4, v4, v6, vcc
	v_cndmask_b32_e32 v3, v3, v5, vcc
	v_add_u32_e32 v5, 1, v3
	v_cmp_le_u32_e32 vcc, s14, v4
	v_cndmask_b32_e32 v6, v3, v5, vcc
.LBB54_11:                              ;   in Loop: Header=BB54_3 Depth=1
	s_or_b64 exec, exec, s[0:1]
	v_mul_lo_u32 v3, v9, s2
	v_mul_lo_u32 v10, v8, s3
	v_mad_u64_u32 v[4:5], s[0:1], v8, s2, 0
	v_add3_u32 v3, v5, v10, v3
	v_sub_co_u32_e32 v4, vcc, v0, v4
	v_subb_co_u32_e32 v5, vcc, v1, v3, vcc
	v_mul_lo_u32 v3, v7, s14
	v_mul_lo_u32 v13, v6, s15
	v_mad_u64_u32 v[10:11], s[0:1], v6, s14, 0
	v_add3_u32 v3, v11, v13, v3
	v_sub_co_u32_e32 v13, vcc, v8, v10
	v_subb_co_u32_e32 v14, vcc, v9, v3, vcc
	v_sub_co_u32_e32 v8, vcc, v4, v13
	v_subb_co_u32_e32 v9, vcc, v5, v14, vcc
	v_cmp_gt_i64_e32 vcc, s[8:9], v[8:9]
	s_and_saveexec_b64 s[28:29], vcc
	s_cbranch_execz .LBB54_2
; %bb.12:                               ;   in Loop: Header=BB54_3 Depth=1
	s_load_dwordx2 s[30:31], s[4:5], 0x0
	s_load_dwordx2 s[0:1], s[16:17], 0x0
	s_and_b64 vcc, exec, s[12:13]
	s_mov_b64 s[36:37], s[22:23]
	s_mov_b64 s[38:39], s[20:21]
	s_waitcnt lgkmcnt(0)
	v_mul_lo_u32 v3, s31, v4
	v_mul_lo_u32 v10, s30, v5
	v_mad_u64_u32 v[8:9], s[34:35], s30, v4, 0
	v_add3_u32 v9, v9, v10, v3
	v_mad_u64_u32 v[8:9], s[34:35], s0, v13, v[8:9]
	v_mul_lo_u32 v3, s0, v14
	v_mul_lo_u32 v10, s1, v13
	v_add3_u32 v9, v10, v9, v3
	s_mov_b64 s[34:35], s[24:25]
	s_cbranch_vccnz .LBB54_23
.LBB54_13:                              ;   in Loop: Header=BB54_3 Depth=1
	s_load_dwordx2 s[0:1], s[18:19], 0x0
	s_waitcnt lgkmcnt(0)
	v_cmp_gt_i64_e32 vcc, s[0:1], v[4:5]
	s_and_b64 exec, exec, vcc
	s_cbranch_execz .LBB54_2
; %bb.14:                               ;   in Loop: Header=BB54_3 Depth=1
	v_mov_b32_e32 v3, s7
	v_add_co_u32_e32 v6, vcc, s6, v8
	v_addc_co_u32_e32 v7, vcc, v3, v9, vcc
	v_add_co_u32_e32 v8, vcc, 1, v4
	v_addc_co_u32_e32 v9, vcc, 0, v5, vcc
	v_cmp_gt_i64_e32 vcc, s[0:1], v[8:9]
	global_store_byte v[6:7], v2, off
	s_and_b64 exec, exec, vcc
	s_cbranch_execz .LBB54_2
; %bb.15:                               ;   in Loop: Header=BB54_3 Depth=1
	v_sub_co_u32_e32 v8, vcc, v8, v13
	v_subb_co_u32_e32 v9, vcc, v9, v14, vcc
	v_cmp_gt_i64_e32 vcc, s[8:9], v[8:9]
	s_and_saveexec_b64 s[34:35], vcc
	s_cbranch_execz .LBB54_17
; %bb.16:                               ;   in Loop: Header=BB54_3 Depth=1
	v_mov_b32_e32 v3, s31
	v_add_co_u32_e32 v8, vcc, s30, v6
	v_addc_co_u32_e32 v9, vcc, v7, v3, vcc
	global_store_byte v[8:9], v2, off
.LBB54_17:                              ;   in Loop: Header=BB54_3 Depth=1
	s_or_b64 exec, exec, s[34:35]
	v_add_co_u32_e32 v8, vcc, 2, v4
	v_addc_co_u32_e32 v9, vcc, 0, v5, vcc
	v_cmp_gt_i64_e32 vcc, s[0:1], v[8:9]
	s_and_b64 exec, exec, vcc
	s_cbranch_execz .LBB54_2
; %bb.18:                               ;   in Loop: Header=BB54_3 Depth=1
	v_sub_co_u32_e32 v8, vcc, v8, v13
	v_subb_co_u32_e32 v9, vcc, v9, v14, vcc
	v_cmp_gt_i64_e32 vcc, s[8:9], v[8:9]
	s_and_saveexec_b64 s[34:35], vcc
	s_cbranch_execz .LBB54_20
; %bb.19:                               ;   in Loop: Header=BB54_3 Depth=1
	s_lshl_b64 s[36:37], s[30:31], 1
	v_mov_b32_e32 v3, s37
	v_add_co_u32_e32 v8, vcc, s36, v6
	v_addc_co_u32_e32 v9, vcc, v7, v3, vcc
	global_store_byte v[8:9], v2, off
.LBB54_20:                              ;   in Loop: Header=BB54_3 Depth=1
	s_or_b64 exec, exec, s[34:35]
	v_add_co_u32_e32 v4, vcc, 3, v4
	v_addc_co_u32_e32 v5, vcc, 0, v5, vcc
	v_cmp_gt_i64_e32 vcc, s[0:1], v[4:5]
	v_sub_co_u32_e64 v4, s[0:1], v4, v13
	v_subb_co_u32_e64 v5, s[0:1], v5, v14, s[0:1]
	v_cmp_gt_i64_e64 s[0:1], s[8:9], v[4:5]
	s_and_b64 s[0:1], vcc, s[0:1]
	s_and_b64 exec, exec, s[0:1]
	s_cbranch_execz .LBB54_2
; %bb.21:                               ;   in Loop: Header=BB54_3 Depth=1
	v_mad_u64_u32 v[4:5], s[0:1], s30, 3, v[6:7]
	v_mov_b32_e32 v6, v5
	v_mad_u64_u32 v[6:7], s[0:1], s31, 3, v[6:7]
	v_mov_b32_e32 v5, v6
	global_store_byte v[4:5], v2, off
	s_branch .LBB54_2
.LBB54_22:                              ;   in Loop: Header=BB54_23 Depth=2
	s_or_b64 exec, exec, s[0:1]
	v_mad_u64_u32 v[16:17], s[0:1], v10, s40, 0
	s_load_dwordx2 s[0:1], s[38:39], 0x0
	s_add_u32 s38, s38, -8
	s_addc_u32 s39, s39, -1
	v_mul_lo_u32 v3, v11, s40
	v_mul_lo_u32 v15, v10, s41
	s_add_u32 s36, s36, -8
	v_add3_u32 v3, v17, v15, v3
	v_sub_co_u32_e32 v6, vcc, v6, v16
	s_addc_u32 s37, s37, -1
	v_subb_co_u32_e32 v3, vcc, v7, v3, vcc
	s_add_u32 s34, s34, -1
	s_waitcnt lgkmcnt(0)
	v_mul_lo_u32 v3, s0, v3
	v_mul_lo_u32 v7, s1, v6
	v_mad_u64_u32 v[8:9], s[0:1], s0, v6, v[8:9]
	s_addc_u32 s35, s35, -1
	v_cmp_lt_i64_e64 s[0:1], s[34:35], 1
	v_add3_u32 v9, v7, v9, v3
	s_and_b64 vcc, exec, s[0:1]
	v_pk_mov_b32 v[6:7], v[10:11], v[10:11] op_sel:[0,1]
	s_cbranch_vccnz .LBB54_13
.LBB54_23:                              ;   Parent Loop BB54_3 Depth=1
                                        ; =>  This Inner Loop Header: Depth=2
	s_load_dwordx2 s[40:41], s[36:37], 0x0
                                        ; implicit-def: $vgpr10_vgpr11
	s_waitcnt lgkmcnt(0)
	v_or_b32_e32 v3, s41, v7
	v_cmp_ne_u64_e32 vcc, 0, v[2:3]
	s_and_saveexec_b64 s[0:1], vcc
	s_xor_b64 s[42:43], exec, s[0:1]
	s_cbranch_execz .LBB54_25
; %bb.24:                               ;   in Loop: Header=BB54_23 Depth=2
	s_ashr_i32 s44, s41, 31
	s_add_u32 s0, s40, s44
	s_mov_b32 s45, s44
	s_addc_u32 s1, s41, s44
	s_xor_b64 s[46:47], s[0:1], s[44:45]
	v_cvt_f32_u32_e32 v3, s46
	v_cvt_f32_u32_e32 v10, s47
	s_sub_u32 s0, 0, s46
	s_subb_u32 s1, 0, s47
	v_mac_f32_e32 v3, 0x4f800000, v10
	v_rcp_f32_e32 v3, v3
	v_mul_f32_e32 v3, 0x5f7ffffc, v3
	v_mul_f32_e32 v10, 0x2f800000, v3
	v_trunc_f32_e32 v10, v10
	v_mac_f32_e32 v3, 0xcf800000, v10
	v_cvt_u32_f32_e32 v10, v10
	v_cvt_u32_f32_e32 v3, v3
	v_mul_lo_u32 v11, s0, v10
	v_mul_hi_u32 v16, s0, v3
	v_mul_lo_u32 v15, s1, v3
	v_add_u32_e32 v11, v16, v11
	v_mul_lo_u32 v17, s0, v3
	v_add_u32_e32 v11, v11, v15
	v_mul_lo_u32 v16, v3, v11
	v_mul_hi_u32 v18, v3, v17
	v_mul_hi_u32 v15, v3, v11
	v_add_co_u32_e32 v16, vcc, v18, v16
	v_addc_co_u32_e32 v15, vcc, 0, v15, vcc
	v_mul_hi_u32 v19, v10, v17
	v_mul_lo_u32 v17, v10, v17
	v_add_co_u32_e32 v16, vcc, v16, v17
	v_mul_hi_u32 v18, v10, v11
	v_addc_co_u32_e32 v15, vcc, v15, v19, vcc
	v_addc_co_u32_e32 v16, vcc, 0, v18, vcc
	v_mul_lo_u32 v11, v10, v11
	v_add_co_u32_e32 v11, vcc, v15, v11
	v_addc_co_u32_e32 v15, vcc, 0, v16, vcc
	v_add_co_u32_e32 v3, vcc, v3, v11
	v_addc_co_u32_e32 v10, vcc, v10, v15, vcc
	v_mul_lo_u32 v11, s0, v10
	v_mul_hi_u32 v15, s0, v3
	v_add_u32_e32 v11, v15, v11
	v_mul_lo_u32 v15, s1, v3
	v_add_u32_e32 v11, v11, v15
	v_mul_lo_u32 v16, s0, v3
	v_mul_hi_u32 v17, v10, v16
	v_mul_lo_u32 v18, v10, v16
	v_mul_lo_u32 v20, v3, v11
	v_mul_hi_u32 v16, v3, v16
	v_mul_hi_u32 v19, v3, v11
	v_add_co_u32_e32 v16, vcc, v16, v20
	v_addc_co_u32_e32 v19, vcc, 0, v19, vcc
	v_add_co_u32_e32 v16, vcc, v16, v18
	v_mul_hi_u32 v15, v10, v11
	v_addc_co_u32_e32 v16, vcc, v19, v17, vcc
	v_addc_co_u32_e32 v15, vcc, 0, v15, vcc
	v_mul_lo_u32 v11, v10, v11
	v_add_co_u32_e32 v11, vcc, v16, v11
	v_addc_co_u32_e32 v15, vcc, 0, v15, vcc
	v_add_co_u32_e32 v3, vcc, v3, v11
	v_addc_co_u32_e32 v15, vcc, v10, v15, vcc
	v_ashrrev_i32_e32 v18, 31, v7
	v_add_co_u32_e32 v10, vcc, v6, v18
	v_addc_co_u32_e32 v11, vcc, v7, v18, vcc
	v_xor_b32_e32 v20, v10, v18
	v_xor_b32_e32 v19, v11, v18
	v_mad_u64_u32 v[10:11], s[0:1], v20, v15, 0
	v_mul_hi_u32 v16, v20, v3
	v_add_co_u32_e32 v21, vcc, v16, v10
	v_addc_co_u32_e32 v22, vcc, 0, v11, vcc
	v_mad_u64_u32 v[16:17], s[0:1], v19, v3, 0
	v_add_co_u32_e32 v3, vcc, v21, v16
	v_mad_u64_u32 v[10:11], s[0:1], v19, v15, 0
	v_addc_co_u32_e32 v3, vcc, v22, v17, vcc
	v_addc_co_u32_e32 v11, vcc, 0, v11, vcc
	v_add_co_u32_e32 v3, vcc, v3, v10
	v_addc_co_u32_e32 v15, vcc, 0, v11, vcc
	v_mul_lo_u32 v16, s47, v3
	v_mul_lo_u32 v17, s46, v15
	v_mad_u64_u32 v[10:11], s[0:1], s46, v3, 0
	v_add3_u32 v11, v11, v17, v16
	v_sub_u32_e32 v16, v19, v11
	v_mov_b32_e32 v17, s47
	v_sub_co_u32_e32 v10, vcc, v20, v10
	v_subb_co_u32_e64 v16, s[0:1], v16, v17, vcc
	v_subrev_co_u32_e64 v17, s[0:1], s46, v10
	v_subbrev_co_u32_e64 v16, s[0:1], 0, v16, s[0:1]
	v_cmp_le_u32_e64 s[0:1], s47, v16
	v_cndmask_b32_e64 v20, 0, -1, s[0:1]
	v_cmp_le_u32_e64 s[0:1], s46, v17
	v_cndmask_b32_e64 v17, 0, -1, s[0:1]
	v_cmp_eq_u32_e64 s[0:1], s47, v16
	v_cndmask_b32_e64 v16, v20, v17, s[0:1]
	v_add_co_u32_e64 v17, s[0:1], 2, v3
	v_subb_co_u32_e32 v11, vcc, v19, v11, vcc
	v_addc_co_u32_e64 v20, s[0:1], 0, v15, s[0:1]
	v_cmp_le_u32_e32 vcc, s47, v11
	v_add_co_u32_e64 v21, s[0:1], 1, v3
	v_cndmask_b32_e64 v19, 0, -1, vcc
	v_cmp_le_u32_e32 vcc, s46, v10
	v_addc_co_u32_e64 v22, s[0:1], 0, v15, s[0:1]
	v_cndmask_b32_e64 v10, 0, -1, vcc
	v_cmp_eq_u32_e32 vcc, s47, v11
	v_cmp_ne_u32_e64 s[0:1], 0, v16
	v_cndmask_b32_e32 v10, v19, v10, vcc
	v_cmp_ne_u32_e32 vcc, 0, v10
	v_cndmask_b32_e64 v11, v21, v17, s[0:1]
	v_cndmask_b32_e64 v16, v22, v20, s[0:1]
	v_cndmask_b32_e32 v3, v3, v11, vcc
	v_xor_b32_e32 v11, s44, v18
	v_cndmask_b32_e32 v10, v15, v16, vcc
	v_xor_b32_e32 v3, v3, v11
	v_xor_b32_e32 v15, v10, v11
	v_sub_co_u32_e32 v10, vcc, v3, v11
	v_subb_co_u32_e32 v11, vcc, v15, v11, vcc
.LBB54_25:                              ;   in Loop: Header=BB54_23 Depth=2
	s_andn2_saveexec_b64 s[0:1], s[42:43]
	s_cbranch_execz .LBB54_22
; %bb.26:                               ;   in Loop: Header=BB54_23 Depth=2
	v_cvt_f32_u32_e32 v3, s40
	s_sub_i32 s42, 0, s40
	v_rcp_iflag_f32_e32 v3, v3
	v_mul_f32_e32 v3, 0x4f7ffffe, v3
	v_cvt_u32_f32_e32 v3, v3
	v_mul_lo_u32 v10, s42, v3
	v_mul_hi_u32 v10, v3, v10
	v_add_u32_e32 v3, v3, v10
	v_mul_hi_u32 v3, v6, v3
	v_mul_lo_u32 v10, v3, s40
	v_sub_u32_e32 v10, v6, v10
	v_add_u32_e32 v11, 1, v3
	v_subrev_u32_e32 v15, s40, v10
	v_cmp_le_u32_e32 vcc, s40, v10
	v_cndmask_b32_e32 v10, v10, v15, vcc
	v_cndmask_b32_e32 v3, v3, v11, vcc
	v_add_u32_e32 v11, 1, v3
	v_cmp_le_u32_e32 vcc, s40, v10
	v_cndmask_b32_e32 v10, v3, v11, vcc
	v_mov_b32_e32 v11, v2
	s_branch .LBB54_22
.LBB54_27:
	s_endpgm
	.section	.rodata,"a",@progbits
	.p2align	6, 0x0
	.amdhsa_kernel _ZN2at6native16triu_tril_kernelIhlLb1ELi4ELb1EEEvNS_4cuda6detail10TensorInfoIT_T0_EENS4_IKS5_S6_EEllS6_
		.amdhsa_group_segment_fixed_size 0
		.amdhsa_private_segment_fixed_size 0
		.amdhsa_kernarg_size 1112
		.amdhsa_user_sgpr_count 6
		.amdhsa_user_sgpr_private_segment_buffer 1
		.amdhsa_user_sgpr_dispatch_ptr 0
		.amdhsa_user_sgpr_queue_ptr 0
		.amdhsa_user_sgpr_kernarg_segment_ptr 1
		.amdhsa_user_sgpr_dispatch_id 0
		.amdhsa_user_sgpr_flat_scratch_init 0
		.amdhsa_user_sgpr_kernarg_preload_length 0
		.amdhsa_user_sgpr_kernarg_preload_offset 0
		.amdhsa_user_sgpr_private_segment_size 0
		.amdhsa_uses_dynamic_stack 0
		.amdhsa_system_sgpr_private_segment_wavefront_offset 0
		.amdhsa_system_sgpr_workgroup_id_x 1
		.amdhsa_system_sgpr_workgroup_id_y 0
		.amdhsa_system_sgpr_workgroup_id_z 0
		.amdhsa_system_sgpr_workgroup_info 0
		.amdhsa_system_vgpr_workitem_id 0
		.amdhsa_next_free_vgpr 23
		.amdhsa_next_free_sgpr 49
		.amdhsa_accum_offset 24
		.amdhsa_reserve_vcc 1
		.amdhsa_reserve_flat_scratch 0
		.amdhsa_float_round_mode_32 0
		.amdhsa_float_round_mode_16_64 0
		.amdhsa_float_denorm_mode_32 3
		.amdhsa_float_denorm_mode_16_64 3
		.amdhsa_dx10_clamp 1
		.amdhsa_ieee_mode 1
		.amdhsa_fp16_overflow 0
		.amdhsa_tg_split 0
		.amdhsa_exception_fp_ieee_invalid_op 0
		.amdhsa_exception_fp_denorm_src 0
		.amdhsa_exception_fp_ieee_div_zero 0
		.amdhsa_exception_fp_ieee_overflow 0
		.amdhsa_exception_fp_ieee_underflow 0
		.amdhsa_exception_fp_ieee_inexact 0
		.amdhsa_exception_int_div_zero 0
	.end_amdhsa_kernel
	.section	.text._ZN2at6native16triu_tril_kernelIhlLb1ELi4ELb1EEEvNS_4cuda6detail10TensorInfoIT_T0_EENS4_IKS5_S6_EEllS6_,"axG",@progbits,_ZN2at6native16triu_tril_kernelIhlLb1ELi4ELb1EEEvNS_4cuda6detail10TensorInfoIT_T0_EENS4_IKS5_S6_EEllS6_,comdat
.Lfunc_end54:
	.size	_ZN2at6native16triu_tril_kernelIhlLb1ELi4ELb1EEEvNS_4cuda6detail10TensorInfoIT_T0_EENS4_IKS5_S6_EEllS6_, .Lfunc_end54-_ZN2at6native16triu_tril_kernelIhlLb1ELi4ELb1EEEvNS_4cuda6detail10TensorInfoIT_T0_EENS4_IKS5_S6_EEllS6_
                                        ; -- End function
	.section	.AMDGPU.csdata,"",@progbits
; Kernel info:
; codeLenInByte = 3320
; NumSgprs: 53
; NumVgprs: 23
; NumAgprs: 0
; TotalNumVgprs: 23
; ScratchSize: 0
; MemoryBound: 0
; FloatMode: 240
; IeeeMode: 1
; LDSByteSize: 0 bytes/workgroup (compile time only)
; SGPRBlocks: 6
; VGPRBlocks: 2
; NumSGPRsForWavesPerEU: 53
; NumVGPRsForWavesPerEU: 23
; AccumOffset: 24
; Occupancy: 8
; WaveLimiterHint : 0
; COMPUTE_PGM_RSRC2:SCRATCH_EN: 0
; COMPUTE_PGM_RSRC2:USER_SGPR: 6
; COMPUTE_PGM_RSRC2:TRAP_HANDLER: 0
; COMPUTE_PGM_RSRC2:TGID_X_EN: 1
; COMPUTE_PGM_RSRC2:TGID_Y_EN: 0
; COMPUTE_PGM_RSRC2:TGID_Z_EN: 0
; COMPUTE_PGM_RSRC2:TIDIG_COMP_CNT: 0
; COMPUTE_PGM_RSRC3_GFX90A:ACCUM_OFFSET: 5
; COMPUTE_PGM_RSRC3_GFX90A:TG_SPLIT: 0
	.section	.text._ZN2at6native16triu_tril_kernelIhlLb1ELi4ELb0EEEvNS_4cuda6detail10TensorInfoIT_T0_EENS4_IKS5_S6_EEllS6_,"axG",@progbits,_ZN2at6native16triu_tril_kernelIhlLb1ELi4ELb0EEEvNS_4cuda6detail10TensorInfoIT_T0_EENS4_IKS5_S6_EEllS6_,comdat
	.protected	_ZN2at6native16triu_tril_kernelIhlLb1ELi4ELb0EEEvNS_4cuda6detail10TensorInfoIT_T0_EENS4_IKS5_S6_EEllS6_ ; -- Begin function _ZN2at6native16triu_tril_kernelIhlLb1ELi4ELb0EEEvNS_4cuda6detail10TensorInfoIT_T0_EENS4_IKS5_S6_EEllS6_
	.globl	_ZN2at6native16triu_tril_kernelIhlLb1ELi4ELb0EEEvNS_4cuda6detail10TensorInfoIT_T0_EENS4_IKS5_S6_EEllS6_
	.p2align	8
	.type	_ZN2at6native16triu_tril_kernelIhlLb1ELi4ELb0EEEvNS_4cuda6detail10TensorInfoIT_T0_EENS4_IKS5_S6_EEllS6_,@function
_ZN2at6native16triu_tril_kernelIhlLb1ELi4ELb0EEEvNS_4cuda6detail10TensorInfoIT_T0_EENS4_IKS5_S6_EEllS6_: ; @_ZN2at6native16triu_tril_kernelIhlLb1ELi4ELb0EEEvNS_4cuda6detail10TensorInfoIT_T0_EENS4_IKS5_S6_EEllS6_
; %bb.0:
	s_load_dword s2, s[4:5], 0x364
	s_load_dwordx4 s[8:11], s[4:5], 0x340
	s_add_u32 s0, s4, 0x358
	v_mov_b32_e32 v2, 0
	s_addc_u32 s1, s5, 0
	s_waitcnt lgkmcnt(0)
	s_and_b32 s7, s2, 0xffff
	v_mov_b32_e32 v1, v2
	v_mov_b32_e32 v3, s6
	v_mad_u64_u32 v[0:1], s[2:3], s7, v3, v[0:1]
	v_lshlrev_b64 v[0:1], 2, v[0:1]
	s_mov_b32 s33, 0xffff
	v_cmp_gt_i64_e32 vcc, s[10:11], v[0:1]
	s_and_saveexec_b64 s[2:3], vcc
	s_cbranch_execz .LBB55_32
; %bb.1:
	s_load_dword s6, s[0:1], 0x0
	s_load_dwordx2 s[2:3], s[4:5], 0x350
	s_load_dword s26, s[4:5], 0x338
	s_add_u32 s12, s4, 0x1a0
	s_addc_u32 s13, s5, 0
	s_waitcnt lgkmcnt(0)
	s_mul_i32 s28, s6, s7
	v_cvt_f32_u32_e32 v3, s2
	s_ashr_i32 s27, s26, 31
	s_add_u32 s30, s4, 0x1a8
	s_addc_u32 s31, s5, 0
	s_lshl_b64 s[0:1], s[26:27], 3
	s_add_u32 s22, s0, -16
	s_addc_u32 s23, s1, -1
	s_add_u32 s0, s30, s22
	s_addc_u32 s1, s31, s23
	s_add_u32 s20, s12, s22
	s_addc_u32 s21, s13, s23
	v_cmp_gt_i64_e64 s[24:25], s[26:27], 2
	s_add_u32 s27, s4, 0xd0
	s_addc_u32 s34, s5, 0
	s_load_dwordx4 s[12:15], s[0:1], 0x0
	s_load_dwordx4 s[16:19], s[20:21], 0xd0
	s_add_u32 s0, s27, s22
	s_addc_u32 s1, s34, s23
	s_load_dwordx2 s[6:7], s[4:5], 0x1a0
	s_load_dwordx4 s[20:23], s[0:1], 0x0
	v_rcp_iflag_f32_e32 v3, v3
	s_load_dwordx2 s[4:5], s[4:5], 0x0
	s_add_i32 s0, s26, -3
	s_ashr_i32 s1, s0, 31
	s_lshl_b32 s50, s28, 2
	s_lshl_b64 s[28:29], s[0:1], 3
	s_add_u32 s26, s27, s28
	s_addc_u32 s27, s34, s29
	v_mul_f32_e32 v3, 0x4f7ffffe, v3
	s_add_u32 s28, s30, s28
	v_cvt_u32_f32_e32 v14, v3
	s_addc_u32 s29, s31, s29
	s_add_u32 s30, s0, 1
	s_mov_b32 s51, 0
	s_addc_u32 s31, s1, 0
	s_mov_b64 s[34:35], 0
	s_branch .LBB55_3
.LBB55_2:                               ;   in Loop: Header=BB55_3 Depth=1
	s_or_b64 exec, exec, s[0:1]
	v_mov_b32_e32 v3, s51
	v_add_co_u32_e32 v0, vcc, s50, v0
	v_addc_co_u32_e32 v1, vcc, v1, v3, vcc
	v_cmp_le_i64_e32 vcc, s[10:11], v[0:1]
	s_or_b64 s[34:35], vcc, s[34:35]
	s_andn2_b64 exec, exec, s[34:35]
	s_cbranch_execz .LBB55_32
.LBB55_3:                               ; =>This Loop Header: Depth=1
                                        ;     Child Loop BB55_28 Depth 2
	v_or_b32_e32 v3, s3, v1
	v_cmp_ne_u64_e32 vcc, 0, v[2:3]
                                        ; implicit-def: $vgpr6_vgpr7
	s_and_saveexec_b64 s[0:1], vcc
	s_xor_b64 s[36:37], exec, s[0:1]
	s_cbranch_execz .LBB55_5
; %bb.4:                                ;   in Loop: Header=BB55_3 Depth=1
	s_ashr_i32 s38, s3, 31
	s_add_u32 s0, s2, s38
	s_mov_b32 s39, s38
	s_addc_u32 s1, s3, s38
	s_xor_b64 s[40:41], s[0:1], s[38:39]
	v_cvt_f32_u32_e32 v3, s40
	v_cvt_f32_u32_e32 v4, s41
	s_sub_u32 s0, 0, s40
	s_subb_u32 s1, 0, s41
	v_mac_f32_e32 v3, 0x4f800000, v4
	v_rcp_f32_e32 v3, v3
	v_mul_f32_e32 v3, 0x5f7ffffc, v3
	v_mul_f32_e32 v4, 0x2f800000, v3
	v_trunc_f32_e32 v4, v4
	v_mac_f32_e32 v3, 0xcf800000, v4
	v_cvt_u32_f32_e32 v4, v4
	v_cvt_u32_f32_e32 v3, v3
	v_mul_lo_u32 v5, s0, v4
	v_mul_hi_u32 v7, s0, v3
	v_mul_lo_u32 v6, s1, v3
	v_add_u32_e32 v5, v7, v5
	v_mul_lo_u32 v8, s0, v3
	v_add_u32_e32 v5, v5, v6
	v_mul_lo_u32 v7, v3, v5
	v_mul_hi_u32 v9, v3, v8
	v_mul_hi_u32 v6, v3, v5
	v_add_co_u32_e32 v7, vcc, v9, v7
	v_addc_co_u32_e32 v6, vcc, 0, v6, vcc
	v_mul_hi_u32 v10, v4, v8
	v_mul_lo_u32 v8, v4, v8
	v_add_co_u32_e32 v7, vcc, v7, v8
	v_mul_hi_u32 v9, v4, v5
	v_addc_co_u32_e32 v6, vcc, v6, v10, vcc
	v_addc_co_u32_e32 v7, vcc, 0, v9, vcc
	v_mul_lo_u32 v5, v4, v5
	v_add_co_u32_e32 v5, vcc, v6, v5
	v_addc_co_u32_e32 v6, vcc, 0, v7, vcc
	v_add_co_u32_e32 v3, vcc, v3, v5
	v_addc_co_u32_e32 v4, vcc, v4, v6, vcc
	v_mul_lo_u32 v5, s0, v4
	v_mul_hi_u32 v6, s0, v3
	v_add_u32_e32 v5, v6, v5
	v_mul_lo_u32 v6, s1, v3
	v_add_u32_e32 v5, v5, v6
	v_mul_lo_u32 v7, s0, v3
	v_mul_hi_u32 v8, v4, v7
	v_mul_lo_u32 v9, v4, v7
	v_mul_lo_u32 v11, v3, v5
	v_mul_hi_u32 v7, v3, v7
	v_mul_hi_u32 v10, v3, v5
	v_add_co_u32_e32 v7, vcc, v7, v11
	v_addc_co_u32_e32 v10, vcc, 0, v10, vcc
	v_add_co_u32_e32 v7, vcc, v7, v9
	v_mul_hi_u32 v6, v4, v5
	v_addc_co_u32_e32 v7, vcc, v10, v8, vcc
	v_addc_co_u32_e32 v6, vcc, 0, v6, vcc
	v_mul_lo_u32 v5, v4, v5
	v_add_co_u32_e32 v5, vcc, v7, v5
	v_addc_co_u32_e32 v6, vcc, 0, v6, vcc
	v_add_co_u32_e32 v3, vcc, v3, v5
	v_addc_co_u32_e32 v6, vcc, v4, v6, vcc
	v_ashrrev_i32_e32 v8, 31, v1
	v_add_co_u32_e32 v4, vcc, v0, v8
	v_addc_co_u32_e32 v5, vcc, v1, v8, vcc
	v_xor_b32_e32 v10, v4, v8
	v_xor_b32_e32 v9, v5, v8
	v_mad_u64_u32 v[4:5], s[0:1], v10, v6, 0
	v_mul_hi_u32 v7, v10, v3
	v_add_co_u32_e32 v11, vcc, v7, v4
	v_addc_co_u32_e32 v12, vcc, 0, v5, vcc
	v_mad_u64_u32 v[4:5], s[0:1], v9, v6, 0
	v_mad_u64_u32 v[6:7], s[0:1], v9, v3, 0
	v_add_co_u32_e32 v3, vcc, v11, v6
	v_addc_co_u32_e32 v3, vcc, v12, v7, vcc
	v_addc_co_u32_e32 v5, vcc, 0, v5, vcc
	v_add_co_u32_e32 v3, vcc, v3, v4
	v_addc_co_u32_e32 v6, vcc, 0, v5, vcc
	v_mul_lo_u32 v7, s41, v3
	v_mul_lo_u32 v11, s40, v6
	v_mad_u64_u32 v[4:5], s[0:1], s40, v3, 0
	v_add3_u32 v5, v5, v11, v7
	v_sub_u32_e32 v7, v9, v5
	v_mov_b32_e32 v11, s41
	v_sub_co_u32_e32 v4, vcc, v10, v4
	v_subb_co_u32_e64 v7, s[0:1], v7, v11, vcc
	v_subrev_co_u32_e64 v10, s[0:1], s40, v4
	v_subbrev_co_u32_e64 v7, s[0:1], 0, v7, s[0:1]
	v_cmp_le_u32_e64 s[0:1], s41, v7
	v_cndmask_b32_e64 v11, 0, -1, s[0:1]
	v_cmp_le_u32_e64 s[0:1], s40, v10
	v_cndmask_b32_e64 v10, 0, -1, s[0:1]
	v_cmp_eq_u32_e64 s[0:1], s41, v7
	v_cndmask_b32_e64 v7, v11, v10, s[0:1]
	v_add_co_u32_e64 v10, s[0:1], 2, v3
	v_subb_co_u32_e32 v5, vcc, v9, v5, vcc
	v_addc_co_u32_e64 v11, s[0:1], 0, v6, s[0:1]
	v_cmp_le_u32_e32 vcc, s41, v5
	v_add_co_u32_e64 v12, s[0:1], 1, v3
	v_cndmask_b32_e64 v9, 0, -1, vcc
	v_cmp_le_u32_e32 vcc, s40, v4
	v_addc_co_u32_e64 v13, s[0:1], 0, v6, s[0:1]
	v_cndmask_b32_e64 v4, 0, -1, vcc
	v_cmp_eq_u32_e32 vcc, s41, v5
	v_cmp_ne_u32_e64 s[0:1], 0, v7
	v_cndmask_b32_e32 v4, v9, v4, vcc
	v_cmp_ne_u32_e32 vcc, 0, v4
	v_cndmask_b32_e64 v5, v12, v10, s[0:1]
	v_cndmask_b32_e64 v7, v13, v11, s[0:1]
	v_cndmask_b32_e32 v3, v3, v5, vcc
	v_xor_b32_e32 v5, s38, v8
	v_cndmask_b32_e32 v4, v6, v7, vcc
	v_xor_b32_e32 v3, v3, v5
	v_xor_b32_e32 v4, v4, v5
	v_sub_co_u32_e32 v6, vcc, v3, v5
	v_subb_co_u32_e32 v7, vcc, v4, v5, vcc
.LBB55_5:                               ;   in Loop: Header=BB55_3 Depth=1
	s_andn2_saveexec_b64 s[0:1], s[36:37]
	s_cbranch_execz .LBB55_7
; %bb.6:                                ;   in Loop: Header=BB55_3 Depth=1
	s_sub_i32 s36, 0, s2
	v_mul_lo_u32 v3, s36, v14
	v_mul_hi_u32 v3, v14, v3
	v_add_u32_e32 v3, v14, v3
	v_mul_hi_u32 v3, v0, v3
	v_mul_lo_u32 v4, v3, s2
	v_sub_u32_e32 v4, v0, v4
	v_subrev_u32_e32 v5, s2, v4
	v_cmp_le_u32_e32 vcc, s2, v4
	v_cndmask_b32_e32 v4, v4, v5, vcc
	v_add_u32_e32 v5, 1, v3
	v_cndmask_b32_e32 v3, v3, v5, vcc
	v_add_u32_e32 v5, 1, v3
	v_cmp_le_u32_e32 vcc, s2, v4
	v_cndmask_b32_e32 v6, v3, v5, vcc
	v_mov_b32_e32 v7, v2
.LBB55_7:                               ;   in Loop: Header=BB55_3 Depth=1
	s_or_b64 exec, exec, s[0:1]
	s_waitcnt lgkmcnt(0)
	v_or_b32_e32 v3, s13, v7
	v_cmp_ne_u64_e32 vcc, 0, v[2:3]
                                        ; implicit-def: $vgpr10_vgpr11
	s_and_saveexec_b64 s[0:1], vcc
	s_xor_b64 s[36:37], exec, s[0:1]
	s_cbranch_execz .LBB55_9
; %bb.8:                                ;   in Loop: Header=BB55_3 Depth=1
	s_ashr_i32 s38, s13, 31
	s_add_u32 s0, s12, s38
	s_mov_b32 s39, s38
	s_addc_u32 s1, s13, s38
	s_xor_b64 s[40:41], s[0:1], s[38:39]
	v_cvt_f32_u32_e32 v3, s40
	v_cvt_f32_u32_e32 v4, s41
	s_sub_u32 s0, 0, s40
	s_subb_u32 s1, 0, s41
	v_mac_f32_e32 v3, 0x4f800000, v4
	v_rcp_f32_e32 v3, v3
	v_mul_f32_e32 v3, 0x5f7ffffc, v3
	v_mul_f32_e32 v4, 0x2f800000, v3
	v_trunc_f32_e32 v4, v4
	v_mac_f32_e32 v3, 0xcf800000, v4
	v_cvt_u32_f32_e32 v4, v4
	v_cvt_u32_f32_e32 v3, v3
	v_mul_lo_u32 v5, s0, v4
	v_mul_hi_u32 v9, s0, v3
	v_mul_lo_u32 v8, s1, v3
	v_add_u32_e32 v5, v9, v5
	v_mul_lo_u32 v10, s0, v3
	v_add_u32_e32 v5, v5, v8
	v_mul_lo_u32 v9, v3, v5
	v_mul_hi_u32 v11, v3, v10
	v_mul_hi_u32 v8, v3, v5
	v_add_co_u32_e32 v9, vcc, v11, v9
	v_addc_co_u32_e32 v8, vcc, 0, v8, vcc
	v_mul_hi_u32 v12, v4, v10
	v_mul_lo_u32 v10, v4, v10
	v_add_co_u32_e32 v9, vcc, v9, v10
	v_mul_hi_u32 v11, v4, v5
	v_addc_co_u32_e32 v8, vcc, v8, v12, vcc
	v_addc_co_u32_e32 v9, vcc, 0, v11, vcc
	v_mul_lo_u32 v5, v4, v5
	v_add_co_u32_e32 v5, vcc, v8, v5
	v_addc_co_u32_e32 v8, vcc, 0, v9, vcc
	v_add_co_u32_e32 v3, vcc, v3, v5
	v_addc_co_u32_e32 v4, vcc, v4, v8, vcc
	v_mul_lo_u32 v5, s0, v4
	v_mul_hi_u32 v8, s0, v3
	v_add_u32_e32 v5, v8, v5
	v_mul_lo_u32 v8, s1, v3
	v_add_u32_e32 v5, v5, v8
	v_mul_lo_u32 v9, s0, v3
	v_mul_hi_u32 v10, v4, v9
	v_mul_lo_u32 v11, v4, v9
	v_mul_lo_u32 v13, v3, v5
	v_mul_hi_u32 v9, v3, v9
	v_mul_hi_u32 v12, v3, v5
	v_add_co_u32_e32 v9, vcc, v9, v13
	v_addc_co_u32_e32 v12, vcc, 0, v12, vcc
	v_add_co_u32_e32 v9, vcc, v9, v11
	v_mul_hi_u32 v8, v4, v5
	v_addc_co_u32_e32 v9, vcc, v12, v10, vcc
	v_addc_co_u32_e32 v8, vcc, 0, v8, vcc
	v_mul_lo_u32 v5, v4, v5
	v_add_co_u32_e32 v5, vcc, v9, v5
	v_addc_co_u32_e32 v8, vcc, 0, v8, vcc
	v_add_co_u32_e32 v3, vcc, v3, v5
	v_addc_co_u32_e32 v8, vcc, v4, v8, vcc
	v_ashrrev_i32_e32 v10, 31, v7
	v_add_co_u32_e32 v4, vcc, v6, v10
	v_addc_co_u32_e32 v5, vcc, v7, v10, vcc
	v_xor_b32_e32 v12, v4, v10
	v_xor_b32_e32 v11, v5, v10
	v_mad_u64_u32 v[4:5], s[0:1], v12, v8, 0
	v_mul_hi_u32 v9, v12, v3
	v_add_co_u32_e32 v13, vcc, v9, v4
	v_addc_co_u32_e32 v15, vcc, 0, v5, vcc
	v_mad_u64_u32 v[4:5], s[0:1], v11, v8, 0
	v_mad_u64_u32 v[8:9], s[0:1], v11, v3, 0
	v_add_co_u32_e32 v3, vcc, v13, v8
	v_addc_co_u32_e32 v3, vcc, v15, v9, vcc
	v_addc_co_u32_e32 v5, vcc, 0, v5, vcc
	v_add_co_u32_e32 v3, vcc, v3, v4
	v_addc_co_u32_e32 v8, vcc, 0, v5, vcc
	v_mul_lo_u32 v9, s41, v3
	v_mul_lo_u32 v13, s40, v8
	v_mad_u64_u32 v[4:5], s[0:1], s40, v3, 0
	v_add3_u32 v5, v5, v13, v9
	v_sub_u32_e32 v9, v11, v5
	v_mov_b32_e32 v13, s41
	v_sub_co_u32_e32 v4, vcc, v12, v4
	v_subb_co_u32_e64 v9, s[0:1], v9, v13, vcc
	v_subrev_co_u32_e64 v12, s[0:1], s40, v4
	v_subbrev_co_u32_e64 v9, s[0:1], 0, v9, s[0:1]
	v_cmp_le_u32_e64 s[0:1], s41, v9
	v_cndmask_b32_e64 v13, 0, -1, s[0:1]
	v_cmp_le_u32_e64 s[0:1], s40, v12
	v_cndmask_b32_e64 v12, 0, -1, s[0:1]
	v_cmp_eq_u32_e64 s[0:1], s41, v9
	v_cndmask_b32_e64 v9, v13, v12, s[0:1]
	v_add_co_u32_e64 v12, s[0:1], 2, v3
	v_subb_co_u32_e32 v5, vcc, v11, v5, vcc
	v_addc_co_u32_e64 v13, s[0:1], 0, v8, s[0:1]
	v_cmp_le_u32_e32 vcc, s41, v5
	v_add_co_u32_e64 v15, s[0:1], 1, v3
	v_cndmask_b32_e64 v11, 0, -1, vcc
	v_cmp_le_u32_e32 vcc, s40, v4
	v_addc_co_u32_e64 v16, s[0:1], 0, v8, s[0:1]
	v_cndmask_b32_e64 v4, 0, -1, vcc
	v_cmp_eq_u32_e32 vcc, s41, v5
	v_cmp_ne_u32_e64 s[0:1], 0, v9
	v_cndmask_b32_e32 v4, v11, v4, vcc
	v_cmp_ne_u32_e32 vcc, 0, v4
	v_cndmask_b32_e64 v5, v15, v12, s[0:1]
	v_cndmask_b32_e64 v9, v16, v13, s[0:1]
	v_cndmask_b32_e32 v3, v3, v5, vcc
	v_xor_b32_e32 v5, s38, v10
	v_cndmask_b32_e32 v4, v8, v9, vcc
	v_xor_b32_e32 v3, v3, v5
	v_xor_b32_e32 v4, v4, v5
	v_sub_co_u32_e32 v10, vcc, v3, v5
	v_subb_co_u32_e32 v11, vcc, v4, v5, vcc
.LBB55_9:                               ;   in Loop: Header=BB55_3 Depth=1
	s_andn2_saveexec_b64 s[0:1], s[36:37]
	s_cbranch_execz .LBB55_11
; %bb.10:                               ;   in Loop: Header=BB55_3 Depth=1
	v_cvt_f32_u32_e32 v3, s12
	s_sub_i32 s36, 0, s12
	v_mov_b32_e32 v11, v2
	v_rcp_iflag_f32_e32 v3, v3
	v_mul_f32_e32 v3, 0x4f7ffffe, v3
	v_cvt_u32_f32_e32 v3, v3
	v_mul_lo_u32 v4, s36, v3
	v_mul_hi_u32 v4, v3, v4
	v_add_u32_e32 v3, v3, v4
	v_mul_hi_u32 v3, v6, v3
	v_mul_lo_u32 v4, v3, s12
	v_sub_u32_e32 v4, v6, v4
	v_add_u32_e32 v5, 1, v3
	v_subrev_u32_e32 v8, s12, v4
	v_cmp_le_u32_e32 vcc, s12, v4
	v_cndmask_b32_e32 v4, v4, v8, vcc
	v_cndmask_b32_e32 v3, v3, v5, vcc
	v_add_u32_e32 v5, 1, v3
	v_cmp_le_u32_e32 vcc, s12, v4
	v_cndmask_b32_e32 v10, v3, v5, vcc
.LBB55_11:                              ;   in Loop: Header=BB55_3 Depth=1
	s_or_b64 exec, exec, s[0:1]
	v_mul_lo_u32 v3, v7, s2
	v_mul_lo_u32 v8, v6, s3
	v_mad_u64_u32 v[4:5], s[0:1], v6, s2, 0
	v_add3_u32 v3, v5, v8, v3
	v_sub_co_u32_e32 v4, vcc, v0, v4
	v_subb_co_u32_e32 v5, vcc, v1, v3, vcc
	v_mul_lo_u32 v3, v11, s12
	v_mul_lo_u32 v12, v10, s13
	v_mad_u64_u32 v[8:9], s[0:1], v10, s12, 0
	v_add3_u32 v3, v9, v12, v3
	v_sub_co_u32_e32 v15, vcc, v6, v8
	v_subb_co_u32_e32 v16, vcc, v7, v3, vcc
	v_mul_lo_u32 v3, s19, v4
	v_mul_lo_u32 v8, s18, v5
	v_mad_u64_u32 v[6:7], s[0:1], s18, v4, 0
	v_add3_u32 v7, v7, v8, v3
	v_mul_lo_u32 v3, s23, v4
	v_mul_lo_u32 v8, s22, v5
	v_mad_u64_u32 v[12:13], s[0:1], s22, v4, 0
	v_add3_u32 v13, v13, v8, v3
	v_mad_u64_u32 v[8:9], s[0:1], s16, v15, v[6:7]
	v_mul_lo_u32 v3, s16, v16
	v_mul_lo_u32 v6, s17, v15
	v_add3_u32 v9, v6, v9, v3
	v_mad_u64_u32 v[6:7], s[0:1], s20, v15, v[12:13]
	v_mul_lo_u32 v3, s20, v16
	v_mul_lo_u32 v12, s21, v15
	v_add3_u32 v7, v12, v7, v3
	s_and_b64 vcc, exec, s[24:25]
	s_mov_b64 s[36:37], s[30:31]
	s_mov_b64 s[38:39], s[28:29]
	;; [unrolled: 1-line block ×3, first 2 shown]
	s_cbranch_vccnz .LBB55_28
.LBB55_12:                              ;   in Loop: Header=BB55_3 Depth=1
	v_sub_co_u32_e32 v10, vcc, v4, v15
	v_subb_co_u32_e32 v11, vcc, v5, v16, vcc
	v_add_co_u32_e32 v12, vcc, 4, v10
	v_addc_co_u32_e32 v13, vcc, 0, v11, vcc
	v_cmp_le_i64_e32 vcc, s[8:9], v[12:13]
	v_mov_b32_e32 v3, 0
	s_and_saveexec_b64 s[0:1], vcc
	s_cbranch_execz .LBB55_22
; %bb.13:                               ;   in Loop: Header=BB55_3 Depth=1
	v_cmp_gt_i64_e32 vcc, s[14:15], v[4:5]
	v_mov_b32_e32 v3, 0
	s_and_saveexec_b64 s[36:37], vcc
	s_cbranch_execz .LBB55_21
; %bb.14:                               ;   in Loop: Header=BB55_3 Depth=1
	v_mov_b32_e32 v3, s7
	v_add_co_u32_e32 v8, vcc, s6, v8
	v_addc_co_u32_e32 v9, vcc, v3, v9, vcc
	global_load_ubyte v3, v[8:9], off
	v_add_co_u32_e32 v12, vcc, 1, v4
	v_addc_co_u32_e32 v13, vcc, 0, v5, vcc
	v_cmp_gt_i64_e32 vcc, s[14:15], v[12:13]
	s_and_saveexec_b64 s[38:39], vcc
	s_xor_b64 s[38:39], exec, s[38:39]
	s_cbranch_execz .LBB55_20
; %bb.15:                               ;   in Loop: Header=BB55_3 Depth=1
	v_mov_b32_e32 v12, s19
	v_add_co_u32_e32 v8, vcc, s18, v8
	v_addc_co_u32_e32 v9, vcc, v9, v12, vcc
	global_load_ubyte v15, v[8:9], off
	v_add_co_u32_e32 v12, vcc, 2, v4
	v_addc_co_u32_e32 v13, vcc, 0, v5, vcc
	v_cmp_gt_i64_e32 vcc, s[14:15], v[12:13]
	s_waitcnt vmcnt(0)
	v_lshlrev_b16_e32 v15, 8, v15
	v_or_b32_e32 v3, v3, v15
	v_and_b32_e32 v3, 0xffff, v3
	s_and_saveexec_b64 s[40:41], vcc
	s_xor_b64 s[40:41], exec, s[40:41]
	s_cbranch_execz .LBB55_19
; %bb.16:                               ;   in Loop: Header=BB55_3 Depth=1
	v_mov_b32_e32 v12, s19
	v_add_co_u32_e32 v8, vcc, s18, v8
	v_addc_co_u32_e32 v9, vcc, v9, v12, vcc
	global_load_ubyte v15, v[8:9], off
	v_add_co_u32_e32 v12, vcc, 3, v4
	v_addc_co_u32_e32 v13, vcc, 0, v5, vcc
	v_cmp_gt_i64_e32 vcc, s[14:15], v[12:13]
	s_waitcnt vmcnt(0)
	v_lshl_or_b32 v3, v15, 16, v3
	s_and_saveexec_b64 s[42:43], vcc
	s_xor_b64 s[42:43], exec, s[42:43]
	s_cbranch_execz .LBB55_18
; %bb.17:                               ;   in Loop: Header=BB55_3 Depth=1
	v_mov_b32_e32 v12, s19
	v_add_co_u32_e32 v8, vcc, s18, v8
	v_addc_co_u32_e32 v9, vcc, v9, v12, vcc
	global_load_ubyte v8, v[8:9], off
	s_waitcnt vmcnt(0)
	v_lshlrev_b16_e32 v8, 8, v8
	v_or_b32_sdwa v8, v3, v8 dst_sel:WORD_1 dst_unused:UNUSED_PAD src0_sel:WORD_1 src1_sel:DWORD
	v_and_or_b32 v3, v3, s33, v8
.LBB55_18:                              ;   in Loop: Header=BB55_3 Depth=1
	s_or_b64 exec, exec, s[42:43]
.LBB55_19:                              ;   in Loop: Header=BB55_3 Depth=1
	s_or_b64 exec, exec, s[40:41]
.LBB55_20:                              ;   in Loop: Header=BB55_3 Depth=1
	s_or_b64 exec, exec, s[38:39]
.LBB55_21:                              ;   in Loop: Header=BB55_3 Depth=1
	s_or_b64 exec, exec, s[36:37]
	v_cmp_le_i64_e32 vcc, s[8:9], v[10:11]
	s_waitcnt vmcnt(0)
	v_cndmask_b32_e32 v13, 0, v3, vcc
	v_add_co_u32_e32 v8, vcc, 1, v10
	v_addc_co_u32_e32 v9, vcc, 0, v11, vcc
	v_lshrrev_b32_e32 v15, 8, v3
	v_cmp_le_i64_e32 vcc, s[8:9], v[8:9]
	v_cndmask_b32_e32 v15, 0, v15, vcc
	v_add_co_u32_e32 v8, vcc, 2, v10
	v_addc_co_u32_e32 v9, vcc, 0, v11, vcc
	v_lshrrev_b32_e32 v12, 16, v3
	v_cmp_le_i64_e32 vcc, s[8:9], v[8:9]
	v_cndmask_b32_e32 v12, 0, v12, vcc
	v_add_co_u32_e32 v8, vcc, 3, v10
	v_addc_co_u32_e32 v9, vcc, 0, v11, vcc
	v_lshrrev_b32_e32 v3, 24, v3
	v_cmp_le_i64_e32 vcc, s[8:9], v[8:9]
	v_cndmask_b32_e32 v3, 0, v3, vcc
	v_lshlrev_b16_e32 v3, 8, v3
	v_lshlrev_b16_e32 v8, 8, v15
	v_or_b32_sdwa v3, v12, v3 dst_sel:WORD_1 dst_unused:UNUSED_PAD src0_sel:BYTE_0 src1_sel:DWORD
	v_or_b32_sdwa v8, v13, v8 dst_sel:DWORD dst_unused:UNUSED_PAD src0_sel:BYTE_0 src1_sel:DWORD
	v_or_b32_sdwa v3, v8, v3 dst_sel:DWORD dst_unused:UNUSED_PAD src0_sel:WORD_0 src1_sel:DWORD
.LBB55_22:                              ;   in Loop: Header=BB55_3 Depth=1
	s_or_b64 exec, exec, s[0:1]
	v_cmp_gt_i64_e32 vcc, s[14:15], v[4:5]
	s_and_saveexec_b64 s[0:1], vcc
	s_cbranch_execz .LBB55_2
; %bb.23:                               ;   in Loop: Header=BB55_3 Depth=1
	v_mov_b32_e32 v8, s5
	v_add_co_u32_e32 v6, vcc, s4, v6
	v_addc_co_u32_e32 v7, vcc, v8, v7, vcc
	v_add_co_u32_e32 v8, vcc, 1, v4
	v_addc_co_u32_e32 v9, vcc, 0, v5, vcc
	v_cmp_gt_i64_e32 vcc, s[14:15], v[8:9]
	global_store_byte v[6:7], v3, off
	s_and_saveexec_b64 s[36:37], vcc
	s_xor_b64 s[36:37], exec, s[36:37]
	s_cbranch_execz .LBB55_2
; %bb.24:                               ;   in Loop: Header=BB55_3 Depth=1
	v_mov_b32_e32 v9, s23
	v_add_co_u32_e32 v6, vcc, s22, v6
	v_lshrrev_b32_e32 v8, 8, v3
	v_addc_co_u32_e32 v7, vcc, v7, v9, vcc
	global_store_byte v[6:7], v8, off
	v_add_co_u32_e32 v8, vcc, 2, v4
	v_addc_co_u32_e32 v9, vcc, 0, v5, vcc
	v_cmp_gt_i64_e32 vcc, s[14:15], v[8:9]
	s_and_saveexec_b64 s[36:37], vcc
	s_xor_b64 s[36:37], exec, s[36:37]
	s_cbranch_execz .LBB55_2
; %bb.25:                               ;   in Loop: Header=BB55_3 Depth=1
	v_mov_b32_e32 v8, s23
	v_add_co_u32_e32 v6, vcc, s22, v6
	v_addc_co_u32_e32 v7, vcc, v7, v8, vcc
	v_add_co_u32_e32 v4, vcc, 3, v4
	v_addc_co_u32_e32 v5, vcc, 0, v5, vcc
	v_cmp_gt_i64_e32 vcc, s[14:15], v[4:5]
	global_store_byte_d16_hi v[6:7], v3, off
	s_and_saveexec_b64 s[36:37], vcc
	s_xor_b64 s[36:37], exec, s[36:37]
	s_cbranch_execz .LBB55_2
; %bb.26:                               ;   in Loop: Header=BB55_3 Depth=1
	v_mov_b32_e32 v5, s23
	v_add_co_u32_e32 v4, vcc, s22, v6
	v_lshrrev_b32_e32 v3, 24, v3
	v_addc_co_u32_e32 v5, vcc, v7, v5, vcc
	global_store_byte v[4:5], v3, off
	s_branch .LBB55_2
.LBB55_27:                              ;   in Loop: Header=BB55_28 Depth=2
	s_or_b64 exec, exec, s[0:1]
	v_mad_u64_u32 v[18:19], s[0:1], v12, s42, 0
	v_mul_lo_u32 v3, v13, s42
	v_mul_lo_u32 v17, v12, s43
	s_load_dwordx2 s[0:1], s[38:39], 0xc8
	s_load_dwordx2 s[42:43], s[40:41], 0x0
	s_add_u32 s40, s40, -8
	s_addc_u32 s41, s41, -1
	s_add_u32 s38, s38, -8
	v_add3_u32 v3, v19, v17, v3
	v_sub_co_u32_e32 v10, vcc, v10, v18
	s_addc_u32 s39, s39, -1
	v_subb_co_u32_e32 v3, vcc, v11, v3, vcc
	s_add_u32 s36, s36, -1
	s_waitcnt lgkmcnt(0)
	v_mul_lo_u32 v11, s0, v3
	v_mul_lo_u32 v17, s1, v10
	v_mad_u64_u32 v[8:9], s[0:1], s0, v10, v[8:9]
	v_mad_u64_u32 v[6:7], s[0:1], s42, v10, v[6:7]
	s_addc_u32 s37, s37, -1
	v_add3_u32 v9, v17, v9, v11
	v_mul_lo_u32 v3, s42, v3
	v_mul_lo_u32 v11, s43, v10
	v_cmp_lt_i64_e64 s[0:1], s[36:37], 1
	v_add3_u32 v7, v11, v7, v3
	s_and_b64 vcc, exec, s[0:1]
	v_pk_mov_b32 v[10:11], v[12:13], v[12:13] op_sel:[0,1]
	s_cbranch_vccnz .LBB55_12
.LBB55_28:                              ;   Parent Loop BB55_3 Depth=1
                                        ; =>  This Inner Loop Header: Depth=2
	s_load_dwordx2 s[42:43], s[38:39], 0x0
                                        ; implicit-def: $vgpr12_vgpr13
	s_waitcnt lgkmcnt(0)
	v_or_b32_e32 v3, s43, v11
	v_cmp_ne_u64_e32 vcc, 0, v[2:3]
	s_and_saveexec_b64 s[0:1], vcc
	s_xor_b64 s[44:45], exec, s[0:1]
	s_cbranch_execz .LBB55_30
; %bb.29:                               ;   in Loop: Header=BB55_28 Depth=2
	s_ashr_i32 s46, s43, 31
	s_add_u32 s0, s42, s46
	s_mov_b32 s47, s46
	s_addc_u32 s1, s43, s46
	s_xor_b64 s[48:49], s[0:1], s[46:47]
	v_cvt_f32_u32_e32 v3, s48
	v_cvt_f32_u32_e32 v12, s49
	s_sub_u32 s0, 0, s48
	s_subb_u32 s1, 0, s49
	v_mac_f32_e32 v3, 0x4f800000, v12
	v_rcp_f32_e32 v3, v3
	v_mul_f32_e32 v3, 0x5f7ffffc, v3
	v_mul_f32_e32 v12, 0x2f800000, v3
	v_trunc_f32_e32 v12, v12
	v_mac_f32_e32 v3, 0xcf800000, v12
	v_cvt_u32_f32_e32 v12, v12
	v_cvt_u32_f32_e32 v3, v3
	v_mul_lo_u32 v13, s0, v12
	v_mul_hi_u32 v18, s0, v3
	v_mul_lo_u32 v17, s1, v3
	v_add_u32_e32 v13, v18, v13
	v_mul_lo_u32 v19, s0, v3
	v_add_u32_e32 v13, v13, v17
	v_mul_lo_u32 v18, v3, v13
	v_mul_hi_u32 v20, v3, v19
	v_mul_hi_u32 v17, v3, v13
	v_add_co_u32_e32 v18, vcc, v20, v18
	v_addc_co_u32_e32 v17, vcc, 0, v17, vcc
	v_mul_hi_u32 v21, v12, v19
	v_mul_lo_u32 v19, v12, v19
	v_add_co_u32_e32 v18, vcc, v18, v19
	v_mul_hi_u32 v20, v12, v13
	v_addc_co_u32_e32 v17, vcc, v17, v21, vcc
	v_addc_co_u32_e32 v18, vcc, 0, v20, vcc
	v_mul_lo_u32 v13, v12, v13
	v_add_co_u32_e32 v13, vcc, v17, v13
	v_addc_co_u32_e32 v17, vcc, 0, v18, vcc
	v_add_co_u32_e32 v3, vcc, v3, v13
	v_addc_co_u32_e32 v12, vcc, v12, v17, vcc
	v_mul_lo_u32 v13, s0, v12
	v_mul_hi_u32 v17, s0, v3
	v_add_u32_e32 v13, v17, v13
	v_mul_lo_u32 v17, s1, v3
	v_add_u32_e32 v13, v13, v17
	v_mul_lo_u32 v18, s0, v3
	v_mul_hi_u32 v19, v12, v18
	v_mul_lo_u32 v20, v12, v18
	v_mul_lo_u32 v22, v3, v13
	v_mul_hi_u32 v18, v3, v18
	v_mul_hi_u32 v21, v3, v13
	v_add_co_u32_e32 v18, vcc, v18, v22
	v_addc_co_u32_e32 v21, vcc, 0, v21, vcc
	v_add_co_u32_e32 v18, vcc, v18, v20
	v_mul_hi_u32 v17, v12, v13
	v_addc_co_u32_e32 v18, vcc, v21, v19, vcc
	v_addc_co_u32_e32 v17, vcc, 0, v17, vcc
	v_mul_lo_u32 v13, v12, v13
	v_add_co_u32_e32 v13, vcc, v18, v13
	v_addc_co_u32_e32 v17, vcc, 0, v17, vcc
	v_add_co_u32_e32 v3, vcc, v3, v13
	v_addc_co_u32_e32 v17, vcc, v12, v17, vcc
	v_ashrrev_i32_e32 v20, 31, v11
	v_add_co_u32_e32 v12, vcc, v10, v20
	v_addc_co_u32_e32 v13, vcc, v11, v20, vcc
	v_xor_b32_e32 v22, v12, v20
	v_xor_b32_e32 v21, v13, v20
	v_mad_u64_u32 v[12:13], s[0:1], v22, v17, 0
	v_mul_hi_u32 v18, v22, v3
	v_add_co_u32_e32 v23, vcc, v18, v12
	v_addc_co_u32_e32 v24, vcc, 0, v13, vcc
	v_mad_u64_u32 v[18:19], s[0:1], v21, v3, 0
	v_add_co_u32_e32 v3, vcc, v23, v18
	v_mad_u64_u32 v[12:13], s[0:1], v21, v17, 0
	v_addc_co_u32_e32 v3, vcc, v24, v19, vcc
	v_addc_co_u32_e32 v13, vcc, 0, v13, vcc
	v_add_co_u32_e32 v3, vcc, v3, v12
	v_addc_co_u32_e32 v17, vcc, 0, v13, vcc
	v_mul_lo_u32 v18, s49, v3
	v_mul_lo_u32 v19, s48, v17
	v_mad_u64_u32 v[12:13], s[0:1], s48, v3, 0
	v_add3_u32 v13, v13, v19, v18
	v_sub_u32_e32 v18, v21, v13
	v_mov_b32_e32 v19, s49
	v_sub_co_u32_e32 v12, vcc, v22, v12
	v_subb_co_u32_e64 v18, s[0:1], v18, v19, vcc
	v_subrev_co_u32_e64 v19, s[0:1], s48, v12
	v_subbrev_co_u32_e64 v18, s[0:1], 0, v18, s[0:1]
	v_cmp_le_u32_e64 s[0:1], s49, v18
	v_cndmask_b32_e64 v22, 0, -1, s[0:1]
	v_cmp_le_u32_e64 s[0:1], s48, v19
	v_cndmask_b32_e64 v19, 0, -1, s[0:1]
	v_cmp_eq_u32_e64 s[0:1], s49, v18
	v_cndmask_b32_e64 v18, v22, v19, s[0:1]
	v_add_co_u32_e64 v19, s[0:1], 2, v3
	v_subb_co_u32_e32 v13, vcc, v21, v13, vcc
	v_addc_co_u32_e64 v22, s[0:1], 0, v17, s[0:1]
	v_cmp_le_u32_e32 vcc, s49, v13
	v_add_co_u32_e64 v23, s[0:1], 1, v3
	v_cndmask_b32_e64 v21, 0, -1, vcc
	v_cmp_le_u32_e32 vcc, s48, v12
	v_addc_co_u32_e64 v24, s[0:1], 0, v17, s[0:1]
	v_cndmask_b32_e64 v12, 0, -1, vcc
	v_cmp_eq_u32_e32 vcc, s49, v13
	v_cmp_ne_u32_e64 s[0:1], 0, v18
	v_cndmask_b32_e32 v12, v21, v12, vcc
	v_cmp_ne_u32_e32 vcc, 0, v12
	v_cndmask_b32_e64 v13, v23, v19, s[0:1]
	v_cndmask_b32_e64 v18, v24, v22, s[0:1]
	v_cndmask_b32_e32 v3, v3, v13, vcc
	v_xor_b32_e32 v13, s46, v20
	v_cndmask_b32_e32 v12, v17, v18, vcc
	v_xor_b32_e32 v3, v3, v13
	v_xor_b32_e32 v17, v12, v13
	v_sub_co_u32_e32 v12, vcc, v3, v13
	v_subb_co_u32_e32 v13, vcc, v17, v13, vcc
.LBB55_30:                              ;   in Loop: Header=BB55_28 Depth=2
	s_andn2_saveexec_b64 s[0:1], s[44:45]
	s_cbranch_execz .LBB55_27
; %bb.31:                               ;   in Loop: Header=BB55_28 Depth=2
	v_cvt_f32_u32_e32 v3, s42
	s_sub_i32 s44, 0, s42
	v_rcp_iflag_f32_e32 v3, v3
	v_mul_f32_e32 v3, 0x4f7ffffe, v3
	v_cvt_u32_f32_e32 v3, v3
	v_mul_lo_u32 v12, s44, v3
	v_mul_hi_u32 v12, v3, v12
	v_add_u32_e32 v3, v3, v12
	v_mul_hi_u32 v3, v10, v3
	v_mul_lo_u32 v12, v3, s42
	v_sub_u32_e32 v12, v10, v12
	v_add_u32_e32 v13, 1, v3
	v_subrev_u32_e32 v17, s42, v12
	v_cmp_le_u32_e32 vcc, s42, v12
	v_cndmask_b32_e32 v12, v12, v17, vcc
	v_cndmask_b32_e32 v3, v3, v13, vcc
	v_add_u32_e32 v13, 1, v3
	v_cmp_le_u32_e32 vcc, s42, v12
	v_cndmask_b32_e32 v12, v3, v13, vcc
	v_mov_b32_e32 v13, v2
	s_branch .LBB55_27
.LBB55_32:
	s_endpgm
	.section	.rodata,"a",@progbits
	.p2align	6, 0x0
	.amdhsa_kernel _ZN2at6native16triu_tril_kernelIhlLb1ELi4ELb0EEEvNS_4cuda6detail10TensorInfoIT_T0_EENS4_IKS5_S6_EEllS6_
		.amdhsa_group_segment_fixed_size 0
		.amdhsa_private_segment_fixed_size 0
		.amdhsa_kernarg_size 1112
		.amdhsa_user_sgpr_count 6
		.amdhsa_user_sgpr_private_segment_buffer 1
		.amdhsa_user_sgpr_dispatch_ptr 0
		.amdhsa_user_sgpr_queue_ptr 0
		.amdhsa_user_sgpr_kernarg_segment_ptr 1
		.amdhsa_user_sgpr_dispatch_id 0
		.amdhsa_user_sgpr_flat_scratch_init 0
		.amdhsa_user_sgpr_kernarg_preload_length 0
		.amdhsa_user_sgpr_kernarg_preload_offset 0
		.amdhsa_user_sgpr_private_segment_size 0
		.amdhsa_uses_dynamic_stack 0
		.amdhsa_system_sgpr_private_segment_wavefront_offset 0
		.amdhsa_system_sgpr_workgroup_id_x 1
		.amdhsa_system_sgpr_workgroup_id_y 0
		.amdhsa_system_sgpr_workgroup_id_z 0
		.amdhsa_system_sgpr_workgroup_info 0
		.amdhsa_system_vgpr_workitem_id 0
		.amdhsa_next_free_vgpr 25
		.amdhsa_next_free_sgpr 52
		.amdhsa_accum_offset 28
		.amdhsa_reserve_vcc 1
		.amdhsa_reserve_flat_scratch 0
		.amdhsa_float_round_mode_32 0
		.amdhsa_float_round_mode_16_64 0
		.amdhsa_float_denorm_mode_32 3
		.amdhsa_float_denorm_mode_16_64 3
		.amdhsa_dx10_clamp 1
		.amdhsa_ieee_mode 1
		.amdhsa_fp16_overflow 0
		.amdhsa_tg_split 0
		.amdhsa_exception_fp_ieee_invalid_op 0
		.amdhsa_exception_fp_denorm_src 0
		.amdhsa_exception_fp_ieee_div_zero 0
		.amdhsa_exception_fp_ieee_overflow 0
		.amdhsa_exception_fp_ieee_underflow 0
		.amdhsa_exception_fp_ieee_inexact 0
		.amdhsa_exception_int_div_zero 0
	.end_amdhsa_kernel
	.section	.text._ZN2at6native16triu_tril_kernelIhlLb1ELi4ELb0EEEvNS_4cuda6detail10TensorInfoIT_T0_EENS4_IKS5_S6_EEllS6_,"axG",@progbits,_ZN2at6native16triu_tril_kernelIhlLb1ELi4ELb0EEEvNS_4cuda6detail10TensorInfoIT_T0_EENS4_IKS5_S6_EEllS6_,comdat
.Lfunc_end55:
	.size	_ZN2at6native16triu_tril_kernelIhlLb1ELi4ELb0EEEvNS_4cuda6detail10TensorInfoIT_T0_EENS4_IKS5_S6_EEllS6_, .Lfunc_end55-_ZN2at6native16triu_tril_kernelIhlLb1ELi4ELb0EEEvNS_4cuda6detail10TensorInfoIT_T0_EENS4_IKS5_S6_EEllS6_
                                        ; -- End function
	.section	.AMDGPU.csdata,"",@progbits
; Kernel info:
; codeLenInByte = 3708
; NumSgprs: 56
; NumVgprs: 25
; NumAgprs: 0
; TotalNumVgprs: 25
; ScratchSize: 0
; MemoryBound: 0
; FloatMode: 240
; IeeeMode: 1
; LDSByteSize: 0 bytes/workgroup (compile time only)
; SGPRBlocks: 6
; VGPRBlocks: 3
; NumSGPRsForWavesPerEU: 56
; NumVGPRsForWavesPerEU: 25
; AccumOffset: 28
; Occupancy: 8
; WaveLimiterHint : 0
; COMPUTE_PGM_RSRC2:SCRATCH_EN: 0
; COMPUTE_PGM_RSRC2:USER_SGPR: 6
; COMPUTE_PGM_RSRC2:TRAP_HANDLER: 0
; COMPUTE_PGM_RSRC2:TGID_X_EN: 1
; COMPUTE_PGM_RSRC2:TGID_Y_EN: 0
; COMPUTE_PGM_RSRC2:TGID_Z_EN: 0
; COMPUTE_PGM_RSRC2:TIDIG_COMP_CNT: 0
; COMPUTE_PGM_RSRC3_GFX90A:ACCUM_OFFSET: 6
; COMPUTE_PGM_RSRC3_GFX90A:TG_SPLIT: 0
	.section	.text._ZN2at6native16triu_tril_kernelIaiLb1ELi4ELb1EEEvNS_4cuda6detail10TensorInfoIT_T0_EENS4_IKS5_S6_EEllS6_,"axG",@progbits,_ZN2at6native16triu_tril_kernelIaiLb1ELi4ELb1EEEvNS_4cuda6detail10TensorInfoIT_T0_EENS4_IKS5_S6_EEllS6_,comdat
	.protected	_ZN2at6native16triu_tril_kernelIaiLb1ELi4ELb1EEEvNS_4cuda6detail10TensorInfoIT_T0_EENS4_IKS5_S6_EEllS6_ ; -- Begin function _ZN2at6native16triu_tril_kernelIaiLb1ELi4ELb1EEEvNS_4cuda6detail10TensorInfoIT_T0_EENS4_IKS5_S6_EEllS6_
	.globl	_ZN2at6native16triu_tril_kernelIaiLb1ELi4ELb1EEEvNS_4cuda6detail10TensorInfoIT_T0_EENS4_IKS5_S6_EEllS6_
	.p2align	8
	.type	_ZN2at6native16triu_tril_kernelIaiLb1ELi4ELb1EEEvNS_4cuda6detail10TensorInfoIT_T0_EENS4_IKS5_S6_EEllS6_,@function
_ZN2at6native16triu_tril_kernelIaiLb1ELi4ELb1EEEvNS_4cuda6detail10TensorInfoIT_T0_EENS4_IKS5_S6_EEllS6_: ; @_ZN2at6native16triu_tril_kernelIaiLb1ELi4ELb1EEEvNS_4cuda6detail10TensorInfoIT_T0_EENS4_IKS5_S6_EEllS6_
; %bb.0:
	s_load_dword s2, s[4:5], 0x1d4
	s_load_dwordx4 s[8:11], s[4:5], 0x1b0
	s_add_u32 s0, s4, 0x1c8
	v_mov_b32_e32 v2, 0
	s_addc_u32 s1, s5, 0
	s_waitcnt lgkmcnt(0)
	s_and_b32 s7, s2, 0xffff
	v_mov_b32_e32 v1, v2
	v_mov_b32_e32 v3, s6
	v_mad_u64_u32 v[0:1], s[2:3], s7, v3, v[0:1]
	v_lshlrev_b64 v[0:1], 2, v[0:1]
	v_cmp_gt_i64_e32 vcc, s[10:11], v[0:1]
	s_and_saveexec_b64 s[2:3], vcc
	s_cbranch_execz .LBB56_67
; %bb.1:
	s_load_dword s33, s[4:5], 0x1c0
	s_load_dword s14, s[4:5], 0x1a8
	;; [unrolled: 1-line block ×3, first 2 shown]
	s_load_dwordx2 s[2:3], s[4:5], 0x0
	s_mov_b64 s[22:23], 0
	s_waitcnt lgkmcnt(0)
	s_ashr_i32 s38, s33, 31
	s_ashr_i32 s15, s14, 31
	s_add_u32 s39, s4, 0xe0
	s_addc_u32 s40, s5, 0
	s_add_i32 s0, s14, -2
	s_ashr_i32 s1, s0, 31
	s_lshl_b64 s[12:13], s[0:1], 2
	s_add_u32 s16, s39, s12
	s_addc_u32 s17, s40, s13
	s_load_dword s41, s[16:17], 0x0
	s_lshl_b64 s[16:17], s[14:15], 2
	s_mul_i32 s1, s6, s7
	v_cmp_gt_i64_e64 s[6:7], s[14:15], 2
	v_cvt_f32_u32_e32 v3, s33
	s_waitcnt lgkmcnt(0)
	s_ashr_i32 s42, s41, 31
	s_add_u32 s15, s16, -4
	s_addc_u32 s16, s17, -1
	s_add_u32 s43, s4, 0x6c
	s_addc_u32 s44, s5, 0
	s_add_u32 s4, s43, s15
	v_rcp_iflag_f32_e32 v3, v3
	s_addc_u32 s5, s44, s16
	s_add_u32 s12, s43, s12
	s_addc_u32 s13, s44, s13
	s_add_i32 s45, s14, -3
	s_add_u32 s14, s39, s15
	v_mul_f32_e32 v3, 0x4f7ffffe, v3
	s_addc_u32 s15, s40, s16
	s_lshl_b32 s46, s1, 2
	s_and_b32 s48, s0, 7
	v_cvt_u32_f32_e32 v24, v3
	s_cmp_lg_u32 s48, 0
	s_mov_b32 s17, 0
	s_cselect_b64 s[18:19], -1, 0
	s_cmp_gt_u32 s45, 6
	s_mov_b32 s47, s17
	s_cselect_b64 s[20:21], -1, 0
	s_branch .LBB56_3
.LBB56_2:                               ;   in Loop: Header=BB56_3 Depth=1
	s_or_b64 exec, exec, s[24:25]
	v_mov_b32_e32 v3, s47
	v_add_co_u32_e32 v0, vcc, s46, v0
	v_addc_co_u32_e32 v1, vcc, v1, v3, vcc
	v_cmp_le_i64_e32 vcc, s[10:11], v[0:1]
	s_or_b64 s[22:23], vcc, s[22:23]
	s_andn2_b64 exec, exec, s[22:23]
	s_cbranch_execz .LBB56_67
.LBB56_3:                               ; =>This Loop Header: Depth=1
                                        ;     Child Loop BB56_16 Depth 2
                                        ;     Child Loop BB56_23 Depth 2
	v_or_b32_e32 v3, s38, v1
	v_cmp_ne_u64_e32 vcc, 0, v[2:3]
                                        ; implicit-def: $vgpr4_vgpr5
	s_and_saveexec_b64 s[0:1], vcc
	s_xor_b64 s[24:25], exec, s[0:1]
	s_cbranch_execz .LBB56_5
; %bb.4:                                ;   in Loop: Header=BB56_3 Depth=1
	s_add_u32 s0, s33, s38
	s_mov_b32 s26, s38
	s_mov_b32 s27, s38
	s_addc_u32 s1, s38, s38
	s_xor_b64 s[28:29], s[0:1], s[26:27]
	v_cvt_f32_u32_e32 v3, s28
	v_cvt_f32_u32_e32 v4, s29
	s_sub_u32 s0, 0, s28
	s_subb_u32 s1, 0, s29
	v_mac_f32_e32 v3, 0x4f800000, v4
	v_rcp_f32_e32 v3, v3
	v_mul_f32_e32 v3, 0x5f7ffffc, v3
	v_mul_f32_e32 v4, 0x2f800000, v3
	v_trunc_f32_e32 v4, v4
	v_mac_f32_e32 v3, 0xcf800000, v4
	v_cvt_u32_f32_e32 v4, v4
	v_cvt_u32_f32_e32 v3, v3
	v_mul_lo_u32 v5, s0, v4
	v_mul_hi_u32 v7, s0, v3
	v_mul_lo_u32 v6, s1, v3
	v_add_u32_e32 v5, v7, v5
	v_mul_lo_u32 v8, s0, v3
	v_add_u32_e32 v5, v5, v6
	v_mul_lo_u32 v7, v3, v5
	v_mul_hi_u32 v9, v3, v8
	v_mul_hi_u32 v6, v3, v5
	v_add_co_u32_e32 v7, vcc, v9, v7
	v_addc_co_u32_e32 v6, vcc, 0, v6, vcc
	v_mul_hi_u32 v10, v4, v8
	v_mul_lo_u32 v8, v4, v8
	v_add_co_u32_e32 v7, vcc, v7, v8
	v_mul_hi_u32 v9, v4, v5
	v_addc_co_u32_e32 v6, vcc, v6, v10, vcc
	v_addc_co_u32_e32 v7, vcc, 0, v9, vcc
	v_mul_lo_u32 v5, v4, v5
	v_add_co_u32_e32 v5, vcc, v6, v5
	v_addc_co_u32_e32 v6, vcc, 0, v7, vcc
	v_add_co_u32_e32 v3, vcc, v3, v5
	v_addc_co_u32_e32 v4, vcc, v4, v6, vcc
	v_mul_lo_u32 v5, s0, v4
	v_mul_hi_u32 v6, s0, v3
	v_add_u32_e32 v5, v6, v5
	v_mul_lo_u32 v6, s1, v3
	v_add_u32_e32 v5, v5, v6
	v_mul_lo_u32 v7, s0, v3
	v_mul_hi_u32 v8, v4, v7
	v_mul_lo_u32 v9, v4, v7
	v_mul_lo_u32 v11, v3, v5
	v_mul_hi_u32 v7, v3, v7
	v_mul_hi_u32 v10, v3, v5
	v_add_co_u32_e32 v7, vcc, v7, v11
	v_addc_co_u32_e32 v10, vcc, 0, v10, vcc
	v_add_co_u32_e32 v7, vcc, v7, v9
	v_mul_hi_u32 v6, v4, v5
	v_addc_co_u32_e32 v7, vcc, v10, v8, vcc
	v_addc_co_u32_e32 v6, vcc, 0, v6, vcc
	v_mul_lo_u32 v5, v4, v5
	v_add_co_u32_e32 v5, vcc, v7, v5
	v_addc_co_u32_e32 v6, vcc, 0, v6, vcc
	v_add_co_u32_e32 v3, vcc, v3, v5
	v_addc_co_u32_e32 v6, vcc, v4, v6, vcc
	v_ashrrev_i32_e32 v8, 31, v1
	v_add_co_u32_e32 v4, vcc, v0, v8
	v_addc_co_u32_e32 v5, vcc, v1, v8, vcc
	v_xor_b32_e32 v10, v4, v8
	v_xor_b32_e32 v9, v5, v8
	v_mad_u64_u32 v[4:5], s[0:1], v10, v6, 0
	v_mul_hi_u32 v7, v10, v3
	v_add_co_u32_e32 v11, vcc, v7, v4
	v_addc_co_u32_e32 v12, vcc, 0, v5, vcc
	v_mad_u64_u32 v[4:5], s[0:1], v9, v6, 0
	v_mad_u64_u32 v[6:7], s[0:1], v9, v3, 0
	v_add_co_u32_e32 v3, vcc, v11, v6
	v_addc_co_u32_e32 v3, vcc, v12, v7, vcc
	v_addc_co_u32_e32 v5, vcc, 0, v5, vcc
	v_add_co_u32_e32 v3, vcc, v3, v4
	v_addc_co_u32_e32 v6, vcc, 0, v5, vcc
	v_mul_lo_u32 v7, s29, v3
	v_mul_lo_u32 v11, s28, v6
	v_mad_u64_u32 v[4:5], s[0:1], s28, v3, 0
	v_add3_u32 v5, v5, v11, v7
	v_sub_u32_e32 v7, v9, v5
	v_mov_b32_e32 v11, s29
	v_sub_co_u32_e32 v4, vcc, v10, v4
	v_subb_co_u32_e64 v7, s[0:1], v7, v11, vcc
	v_subrev_co_u32_e64 v10, s[0:1], s28, v4
	v_subbrev_co_u32_e64 v7, s[0:1], 0, v7, s[0:1]
	v_cmp_le_u32_e64 s[0:1], s29, v7
	v_cndmask_b32_e64 v11, 0, -1, s[0:1]
	v_cmp_le_u32_e64 s[0:1], s28, v10
	v_cndmask_b32_e64 v10, 0, -1, s[0:1]
	v_cmp_eq_u32_e64 s[0:1], s29, v7
	v_cndmask_b32_e64 v7, v11, v10, s[0:1]
	v_add_co_u32_e64 v10, s[0:1], 2, v3
	v_subb_co_u32_e32 v5, vcc, v9, v5, vcc
	v_addc_co_u32_e64 v11, s[0:1], 0, v6, s[0:1]
	v_cmp_le_u32_e32 vcc, s29, v5
	v_add_co_u32_e64 v12, s[0:1], 1, v3
	v_cndmask_b32_e64 v9, 0, -1, vcc
	v_cmp_le_u32_e32 vcc, s28, v4
	v_addc_co_u32_e64 v13, s[0:1], 0, v6, s[0:1]
	v_cndmask_b32_e64 v4, 0, -1, vcc
	v_cmp_eq_u32_e32 vcc, s29, v5
	v_cmp_ne_u32_e64 s[0:1], 0, v7
	v_cndmask_b32_e32 v4, v9, v4, vcc
	v_cndmask_b32_e64 v7, v13, v11, s[0:1]
	v_cmp_ne_u32_e32 vcc, 0, v4
	v_cndmask_b32_e64 v5, v12, v10, s[0:1]
	v_cndmask_b32_e32 v4, v6, v7, vcc
	v_cndmask_b32_e32 v3, v3, v5, vcc
	v_xor_b32_e32 v6, s26, v8
	v_xor_b32_e32 v5, s27, v8
	;; [unrolled: 1-line block ×4, first 2 shown]
	v_sub_co_u32_e32 v4, vcc, v3, v6
	v_subb_co_u32_e32 v5, vcc, v7, v5, vcc
.LBB56_5:                               ;   in Loop: Header=BB56_3 Depth=1
	s_andn2_saveexec_b64 s[0:1], s[24:25]
	s_cbranch_execz .LBB56_7
; %bb.6:                                ;   in Loop: Header=BB56_3 Depth=1
	s_sub_i32 s16, 0, s33
	v_mul_lo_u32 v3, s16, v24
	v_mul_hi_u32 v3, v24, v3
	v_add_u32_e32 v3, v24, v3
	v_mul_hi_u32 v3, v0, v3
	v_mul_lo_u32 v4, v3, s33
	v_sub_u32_e32 v4, v0, v4
	v_subrev_u32_e32 v5, s33, v4
	v_cmp_le_u32_e32 vcc, s33, v4
	v_cndmask_b32_e32 v4, v4, v5, vcc
	v_add_u32_e32 v5, 1, v3
	v_cndmask_b32_e32 v3, v3, v5, vcc
	v_add_u32_e32 v5, 1, v3
	v_cmp_le_u32_e32 vcc, s33, v4
	v_cndmask_b32_e32 v4, v3, v5, vcc
	v_mov_b32_e32 v5, v2
.LBB56_7:                               ;   in Loop: Header=BB56_3 Depth=1
	s_or_b64 exec, exec, s[0:1]
	v_or_b32_e32 v3, s42, v5
	v_cmp_ne_u64_e32 vcc, 0, v[2:3]
                                        ; implicit-def: $vgpr6_vgpr7
	s_and_saveexec_b64 s[0:1], vcc
	s_xor_b64 s[24:25], exec, s[0:1]
	s_cbranch_execz .LBB56_9
; %bb.8:                                ;   in Loop: Header=BB56_3 Depth=1
	s_add_u32 s0, s41, s42
	s_mov_b32 s26, s42
	s_mov_b32 s27, s42
	s_addc_u32 s1, s42, s42
	s_xor_b64 s[28:29], s[0:1], s[26:27]
	v_cvt_f32_u32_e32 v3, s28
	v_cvt_f32_u32_e32 v6, s29
	s_sub_u32 s0, 0, s28
	s_subb_u32 s1, 0, s29
	v_mac_f32_e32 v3, 0x4f800000, v6
	v_rcp_f32_e32 v3, v3
	v_mul_f32_e32 v3, 0x5f7ffffc, v3
	v_mul_f32_e32 v6, 0x2f800000, v3
	v_trunc_f32_e32 v6, v6
	v_mac_f32_e32 v3, 0xcf800000, v6
	v_cvt_u32_f32_e32 v6, v6
	v_cvt_u32_f32_e32 v3, v3
	v_mul_lo_u32 v7, s0, v6
	v_mul_hi_u32 v9, s0, v3
	v_mul_lo_u32 v8, s1, v3
	v_add_u32_e32 v7, v9, v7
	v_mul_lo_u32 v10, s0, v3
	v_add_u32_e32 v7, v7, v8
	v_mul_lo_u32 v9, v3, v7
	v_mul_hi_u32 v11, v3, v10
	v_mul_hi_u32 v8, v3, v7
	v_add_co_u32_e32 v9, vcc, v11, v9
	v_addc_co_u32_e32 v8, vcc, 0, v8, vcc
	v_mul_hi_u32 v12, v6, v10
	v_mul_lo_u32 v10, v6, v10
	v_add_co_u32_e32 v9, vcc, v9, v10
	v_mul_hi_u32 v11, v6, v7
	v_addc_co_u32_e32 v8, vcc, v8, v12, vcc
	v_addc_co_u32_e32 v9, vcc, 0, v11, vcc
	v_mul_lo_u32 v7, v6, v7
	v_add_co_u32_e32 v7, vcc, v8, v7
	v_addc_co_u32_e32 v8, vcc, 0, v9, vcc
	v_add_co_u32_e32 v3, vcc, v3, v7
	v_addc_co_u32_e32 v6, vcc, v6, v8, vcc
	v_mul_lo_u32 v7, s0, v6
	v_mul_hi_u32 v8, s0, v3
	v_add_u32_e32 v7, v8, v7
	v_mul_lo_u32 v8, s1, v3
	v_add_u32_e32 v7, v7, v8
	v_mul_lo_u32 v9, s0, v3
	v_mul_hi_u32 v10, v6, v9
	v_mul_lo_u32 v11, v6, v9
	v_mul_lo_u32 v13, v3, v7
	v_mul_hi_u32 v9, v3, v9
	v_mul_hi_u32 v12, v3, v7
	v_add_co_u32_e32 v9, vcc, v9, v13
	v_addc_co_u32_e32 v12, vcc, 0, v12, vcc
	v_add_co_u32_e32 v9, vcc, v9, v11
	v_mul_hi_u32 v8, v6, v7
	v_addc_co_u32_e32 v9, vcc, v12, v10, vcc
	v_addc_co_u32_e32 v8, vcc, 0, v8, vcc
	v_mul_lo_u32 v7, v6, v7
	v_add_co_u32_e32 v7, vcc, v9, v7
	v_addc_co_u32_e32 v8, vcc, 0, v8, vcc
	v_add_co_u32_e32 v3, vcc, v3, v7
	v_addc_co_u32_e32 v8, vcc, v6, v8, vcc
	v_ashrrev_i32_e32 v10, 31, v5
	v_add_co_u32_e32 v6, vcc, v4, v10
	v_xor_b32_e32 v11, v6, v10
	v_addc_co_u32_e32 v5, vcc, v5, v10, vcc
	v_mad_u64_u32 v[6:7], s[0:1], v11, v8, 0
	v_mul_hi_u32 v9, v11, v3
	v_xor_b32_e32 v5, v5, v10
	v_add_co_u32_e32 v12, vcc, v9, v6
	v_addc_co_u32_e32 v13, vcc, 0, v7, vcc
	v_mad_u64_u32 v[6:7], s[0:1], v5, v8, 0
	v_mad_u64_u32 v[8:9], s[0:1], v5, v3, 0
	v_add_co_u32_e32 v3, vcc, v12, v8
	v_addc_co_u32_e32 v3, vcc, v13, v9, vcc
	v_addc_co_u32_e32 v7, vcc, 0, v7, vcc
	v_add_co_u32_e32 v3, vcc, v3, v6
	v_addc_co_u32_e32 v8, vcc, 0, v7, vcc
	v_mul_lo_u32 v9, s29, v3
	v_mul_lo_u32 v12, s28, v8
	v_mad_u64_u32 v[6:7], s[0:1], s28, v3, 0
	v_add3_u32 v7, v7, v12, v9
	v_sub_u32_e32 v9, v5, v7
	v_mov_b32_e32 v12, s29
	v_sub_co_u32_e32 v6, vcc, v11, v6
	v_subb_co_u32_e64 v9, s[0:1], v9, v12, vcc
	v_subrev_co_u32_e64 v11, s[0:1], s28, v6
	v_subbrev_co_u32_e64 v9, s[0:1], 0, v9, s[0:1]
	v_cmp_le_u32_e64 s[0:1], s29, v9
	v_cndmask_b32_e64 v12, 0, -1, s[0:1]
	v_cmp_le_u32_e64 s[0:1], s28, v11
	v_cndmask_b32_e64 v11, 0, -1, s[0:1]
	v_cmp_eq_u32_e64 s[0:1], s29, v9
	v_cndmask_b32_e64 v9, v12, v11, s[0:1]
	v_add_co_u32_e64 v11, s[0:1], 2, v3
	v_subb_co_u32_e32 v5, vcc, v5, v7, vcc
	v_addc_co_u32_e64 v12, s[0:1], 0, v8, s[0:1]
	v_cmp_le_u32_e32 vcc, s29, v5
	v_add_co_u32_e64 v13, s[0:1], 1, v3
	v_cndmask_b32_e64 v7, 0, -1, vcc
	v_cmp_le_u32_e32 vcc, s28, v6
	v_addc_co_u32_e64 v14, s[0:1], 0, v8, s[0:1]
	v_cndmask_b32_e64 v6, 0, -1, vcc
	v_cmp_eq_u32_e32 vcc, s29, v5
	v_cmp_ne_u32_e64 s[0:1], 0, v9
	v_cndmask_b32_e32 v5, v7, v6, vcc
	v_cmp_ne_u32_e32 vcc, 0, v5
	v_cndmask_b32_e64 v6, v13, v11, s[0:1]
	v_cndmask_b32_e64 v9, v14, v12, s[0:1]
	v_cndmask_b32_e32 v3, v3, v6, vcc
	v_xor_b32_e32 v6, s26, v10
	v_cndmask_b32_e32 v5, v8, v9, vcc
	v_xor_b32_e32 v7, s27, v10
	v_xor_b32_e32 v3, v3, v6
	;; [unrolled: 1-line block ×3, first 2 shown]
	v_sub_co_u32_e32 v6, vcc, v3, v6
	v_subb_co_u32_e32 v7, vcc, v5, v7, vcc
.LBB56_9:                               ;   in Loop: Header=BB56_3 Depth=1
	s_andn2_saveexec_b64 s[0:1], s[24:25]
	s_cbranch_execz .LBB56_11
; %bb.10:                               ;   in Loop: Header=BB56_3 Depth=1
	v_cvt_f32_u32_e32 v3, s41
	s_sub_i32 s16, 0, s41
	v_rcp_iflag_f32_e32 v3, v3
	v_mul_f32_e32 v3, 0x4f7ffffe, v3
	v_cvt_u32_f32_e32 v3, v3
	v_mul_lo_u32 v5, s16, v3
	v_mul_hi_u32 v5, v3, v5
	v_add_u32_e32 v3, v3, v5
	v_mul_hi_u32 v3, v4, v3
	v_mul_lo_u32 v5, v3, s41
	v_sub_u32_e32 v5, v4, v5
	v_add_u32_e32 v6, 1, v3
	v_subrev_u32_e32 v7, s41, v5
	v_cmp_le_u32_e32 vcc, s41, v5
	v_cndmask_b32_e32 v5, v5, v7, vcc
	v_cndmask_b32_e32 v3, v3, v6, vcc
	v_add_u32_e32 v6, 1, v3
	v_cmp_le_u32_e32 vcc, s41, v5
	v_cndmask_b32_e32 v6, v3, v6, vcc
	v_mov_b32_e32 v7, v2
.LBB56_11:                              ;   in Loop: Header=BB56_3 Depth=1
	s_or_b64 exec, exec, s[0:1]
	v_mad_u64_u32 v[8:9], s[0:1], v4, s33, 0
	v_sub_co_u32_e32 v26, vcc, v0, v8
	v_mad_u64_u32 v[8:9], s[0:1], v6, s41, 0
	v_sub_co_u32_e32 v25, vcc, v4, v8
	v_sub_u32_e32 v4, v26, v25
	v_ashrrev_i32_e32 v5, 31, v4
	v_cmp_gt_i64_e32 vcc, s[8:9], v[4:5]
	s_and_saveexec_b64 s[24:25], vcc
	s_cbranch_execz .LBB56_2
; %bb.12:                               ;   in Loop: Header=BB56_3 Depth=1
	s_load_dword s49, s[4:5], 0x0
	s_load_dword s0, s[12:13], 0x0
	s_andn2_b64 vcc, exec, s[6:7]
	s_waitcnt lgkmcnt(0)
	v_mul_lo_u32 v4, s49, v26
	v_mad_u64_u32 v[4:5], s[0:1], s0, v25, v[4:5]
	s_cbranch_vccnz .LBB56_57
; %bb.13:                               ;   in Loop: Header=BB56_3 Depth=1
	s_andn2_b64 vcc, exec, s[18:19]
	s_cbranch_vccnz .LBB56_20
; %bb.14:                               ;   in Loop: Header=BB56_3 Depth=1
	s_mov_b32 s36, s48
	s_mov_b32 s16, s45
	s_branch .LBB56_16
.LBB56_15:                              ;   in Loop: Header=BB56_16 Depth=2
	s_or_b64 exec, exec, s[0:1]
	s_add_u32 s0, s43, s26
	s_addc_u32 s1, s44, s27
	s_load_dword s0, s[0:1], 0x0
	v_mul_lo_u32 v3, v6, s37
	v_sub_u32_e32 v3, v8, v3
	s_add_i32 s16, s16, -1
	s_add_i32 s36, s36, -1
	s_cmp_lg_u32 s36, 0
	s_waitcnt lgkmcnt(0)
	v_mad_u64_u32 v[4:5], s[0:1], s0, v3, v[4:5]
	s_cbranch_scc0 .LBB56_21
.LBB56_16:                              ;   Parent Loop BB56_3 Depth=1
                                        ; =>  This Inner Loop Header: Depth=2
	s_lshl_b64 s[26:27], s[16:17], 2
	s_add_u32 s0, s39, s26
	s_addc_u32 s1, s40, s27
	s_load_dword s37, s[0:1], 0x0
	v_pk_mov_b32 v[8:9], v[6:7], v[6:7] op_sel:[0,1]
                                        ; implicit-def: $vgpr6_vgpr7
	s_waitcnt lgkmcnt(0)
	s_ashr_i32 s0, s37, 31
	v_or_b32_e32 v3, s0, v9
	v_cmp_ne_u64_e32 vcc, 0, v[2:3]
	s_and_saveexec_b64 s[28:29], vcc
	s_xor_b64 s[28:29], exec, s[28:29]
	s_cbranch_execz .LBB56_18
; %bb.17:                               ;   in Loop: Header=BB56_16 Depth=2
	s_add_u32 s34, s37, s0
	s_mov_b32 s30, s0
	s_mov_b32 s31, s0
	s_addc_u32 s35, s0, s0
	s_xor_b64 s[34:35], s[34:35], s[30:31]
	v_cvt_f32_u32_e32 v3, s34
	v_cvt_f32_u32_e32 v5, s35
	s_sub_u32 s0, 0, s34
	s_subb_u32 s1, 0, s35
	v_mac_f32_e32 v3, 0x4f800000, v5
	v_rcp_f32_e32 v3, v3
	v_mul_f32_e32 v3, 0x5f7ffffc, v3
	v_mul_f32_e32 v5, 0x2f800000, v3
	v_trunc_f32_e32 v5, v5
	v_mac_f32_e32 v3, 0xcf800000, v5
	v_cvt_u32_f32_e32 v5, v5
	v_cvt_u32_f32_e32 v3, v3
	v_mul_lo_u32 v6, s0, v5
	v_mul_hi_u32 v10, s0, v3
	v_mul_lo_u32 v7, s1, v3
	v_add_u32_e32 v6, v10, v6
	v_mul_lo_u32 v11, s0, v3
	v_add_u32_e32 v6, v6, v7
	v_mul_lo_u32 v10, v3, v6
	v_mul_hi_u32 v12, v3, v11
	v_mul_hi_u32 v7, v3, v6
	v_add_co_u32_e32 v10, vcc, v12, v10
	v_addc_co_u32_e32 v7, vcc, 0, v7, vcc
	v_mul_hi_u32 v13, v5, v11
	v_mul_lo_u32 v11, v5, v11
	v_add_co_u32_e32 v10, vcc, v10, v11
	v_mul_hi_u32 v12, v5, v6
	v_addc_co_u32_e32 v7, vcc, v7, v13, vcc
	v_addc_co_u32_e32 v10, vcc, 0, v12, vcc
	v_mul_lo_u32 v6, v5, v6
	v_add_co_u32_e32 v6, vcc, v7, v6
	v_addc_co_u32_e32 v7, vcc, 0, v10, vcc
	v_add_co_u32_e32 v3, vcc, v3, v6
	v_addc_co_u32_e32 v5, vcc, v5, v7, vcc
	v_mul_lo_u32 v6, s0, v5
	v_mul_hi_u32 v7, s0, v3
	v_add_u32_e32 v6, v7, v6
	v_mul_lo_u32 v7, s1, v3
	v_add_u32_e32 v6, v6, v7
	v_mul_lo_u32 v10, s0, v3
	v_mul_hi_u32 v11, v5, v10
	v_mul_lo_u32 v12, v5, v10
	v_mul_lo_u32 v14, v3, v6
	v_mul_hi_u32 v10, v3, v10
	v_mul_hi_u32 v13, v3, v6
	v_add_co_u32_e32 v10, vcc, v10, v14
	v_addc_co_u32_e32 v13, vcc, 0, v13, vcc
	v_add_co_u32_e32 v10, vcc, v10, v12
	v_mul_hi_u32 v7, v5, v6
	v_addc_co_u32_e32 v10, vcc, v13, v11, vcc
	v_addc_co_u32_e32 v7, vcc, 0, v7, vcc
	v_mul_lo_u32 v6, v5, v6
	v_add_co_u32_e32 v6, vcc, v10, v6
	v_addc_co_u32_e32 v7, vcc, 0, v7, vcc
	v_add_co_u32_e32 v3, vcc, v3, v6
	v_addc_co_u32_e32 v5, vcc, v5, v7, vcc
	v_ashrrev_i32_e32 v12, 31, v9
	v_add_co_u32_e32 v6, vcc, v8, v12
	v_addc_co_u32_e32 v7, vcc, v9, v12, vcc
	v_xor_b32_e32 v13, v6, v12
	v_xor_b32_e32 v9, v7, v12
	v_mad_u64_u32 v[6:7], s[0:1], v13, v5, 0
	v_mul_hi_u32 v10, v13, v3
	v_add_co_u32_e32 v14, vcc, v10, v6
	v_addc_co_u32_e32 v15, vcc, 0, v7, vcc
	v_mad_u64_u32 v[10:11], s[0:1], v9, v3, 0
	v_add_co_u32_e32 v3, vcc, v14, v10
	v_mad_u64_u32 v[6:7], s[0:1], v9, v5, 0
	v_addc_co_u32_e32 v3, vcc, v15, v11, vcc
	v_addc_co_u32_e32 v5, vcc, 0, v7, vcc
	v_add_co_u32_e32 v3, vcc, v3, v6
	v_addc_co_u32_e32 v5, vcc, 0, v5, vcc
	v_mul_lo_u32 v10, s35, v3
	v_mul_lo_u32 v11, s34, v5
	v_mad_u64_u32 v[6:7], s[0:1], s34, v3, 0
	v_add3_u32 v7, v7, v11, v10
	v_sub_u32_e32 v10, v9, v7
	v_mov_b32_e32 v11, s35
	v_sub_co_u32_e32 v6, vcc, v13, v6
	v_subb_co_u32_e64 v10, s[0:1], v10, v11, vcc
	v_subrev_co_u32_e64 v11, s[0:1], s34, v6
	v_subbrev_co_u32_e64 v10, s[0:1], 0, v10, s[0:1]
	v_cmp_le_u32_e64 s[0:1], s35, v10
	v_cndmask_b32_e64 v13, 0, -1, s[0:1]
	v_cmp_le_u32_e64 s[0:1], s34, v11
	v_cndmask_b32_e64 v11, 0, -1, s[0:1]
	v_cmp_eq_u32_e64 s[0:1], s35, v10
	v_cndmask_b32_e64 v10, v13, v11, s[0:1]
	v_add_co_u32_e64 v11, s[0:1], 2, v3
	v_subb_co_u32_e32 v7, vcc, v9, v7, vcc
	v_addc_co_u32_e64 v13, s[0:1], 0, v5, s[0:1]
	v_cmp_le_u32_e32 vcc, s35, v7
	v_add_co_u32_e64 v14, s[0:1], 1, v3
	v_cndmask_b32_e64 v9, 0, -1, vcc
	v_cmp_le_u32_e32 vcc, s34, v6
	v_addc_co_u32_e64 v15, s[0:1], 0, v5, s[0:1]
	v_cndmask_b32_e64 v6, 0, -1, vcc
	v_cmp_eq_u32_e32 vcc, s35, v7
	v_cmp_ne_u32_e64 s[0:1], 0, v10
	v_cndmask_b32_e32 v6, v9, v6, vcc
	v_cmp_ne_u32_e32 vcc, 0, v6
	v_cndmask_b32_e64 v6, v14, v11, s[0:1]
	v_cndmask_b32_e64 v10, v15, v13, s[0:1]
	v_cndmask_b32_e32 v3, v3, v6, vcc
	v_xor_b32_e32 v6, s30, v12
	v_cndmask_b32_e32 v5, v5, v10, vcc
	v_xor_b32_e32 v7, s31, v12
	v_xor_b32_e32 v3, v3, v6
	v_xor_b32_e32 v5, v5, v7
	v_sub_co_u32_e32 v6, vcc, v3, v6
	v_subb_co_u32_e32 v7, vcc, v5, v7, vcc
.LBB56_18:                              ;   in Loop: Header=BB56_16 Depth=2
	s_andn2_saveexec_b64 s[0:1], s[28:29]
	s_cbranch_execz .LBB56_15
; %bb.19:                               ;   in Loop: Header=BB56_16 Depth=2
	v_cvt_f32_u32_e32 v3, s37
	s_sub_i32 s28, 0, s37
	v_rcp_iflag_f32_e32 v3, v3
	v_mul_f32_e32 v3, 0x4f7ffffe, v3
	v_cvt_u32_f32_e32 v3, v3
	v_mul_lo_u32 v5, s28, v3
	v_mul_hi_u32 v5, v3, v5
	v_add_u32_e32 v3, v3, v5
	v_mul_hi_u32 v3, v8, v3
	v_mul_lo_u32 v5, v3, s37
	v_sub_u32_e32 v5, v8, v5
	v_add_u32_e32 v6, 1, v3
	v_subrev_u32_e32 v7, s37, v5
	v_cmp_le_u32_e32 vcc, s37, v5
	v_cndmask_b32_e32 v5, v5, v7, vcc
	v_cndmask_b32_e32 v3, v3, v6, vcc
	v_add_u32_e32 v6, 1, v3
	v_cmp_le_u32_e32 vcc, s37, v5
	v_cndmask_b32_e32 v6, v3, v6, vcc
	v_mov_b32_e32 v7, v2
	s_branch .LBB56_15
.LBB56_20:                              ;   in Loop: Header=BB56_3 Depth=1
	s_mov_b32 s16, s45
.LBB56_21:                              ;   in Loop: Header=BB56_3 Depth=1
	s_andn2_b64 vcc, exec, s[20:21]
	s_cbranch_vccnz .LBB56_57
; %bb.22:                               ;   in Loop: Header=BB56_3 Depth=1
	s_add_i32 s26, s16, -7
.LBB56_23:                              ;   Parent Loop BB56_3 Depth=1
                                        ; =>  This Inner Loop Header: Depth=2
	s_add_i32 s16, s26, 7
	s_lshl_b64 s[28:29], s[16:17], 2
	s_add_u32 s0, s39, s28
	s_addc_u32 s1, s40, s29
	s_load_dword s50, s[0:1], 0x0
                                        ; implicit-def: $vgpr8_vgpr9
	s_waitcnt lgkmcnt(0)
	s_ashr_i32 s0, s50, 31
	v_or_b32_e32 v3, s0, v7
	v_cmp_ne_u64_e32 vcc, 0, v[2:3]
	s_and_saveexec_b64 s[30:31], vcc
	s_xor_b64 s[30:31], exec, s[30:31]
	s_cbranch_execz .LBB56_25
; %bb.24:                               ;   in Loop: Header=BB56_23 Depth=2
	s_add_u32 s36, s50, s0
	s_mov_b32 s34, s0
	s_mov_b32 s35, s0
	s_addc_u32 s37, s0, s0
	s_xor_b64 s[36:37], s[36:37], s[34:35]
	v_cvt_f32_u32_e32 v3, s36
	v_cvt_f32_u32_e32 v5, s37
	s_sub_u32 s0, 0, s36
	s_subb_u32 s1, 0, s37
	v_mac_f32_e32 v3, 0x4f800000, v5
	v_rcp_f32_e32 v3, v3
	v_mul_f32_e32 v3, 0x5f7ffffc, v3
	v_mul_f32_e32 v5, 0x2f800000, v3
	v_trunc_f32_e32 v5, v5
	v_mac_f32_e32 v3, 0xcf800000, v5
	v_cvt_u32_f32_e32 v5, v5
	v_cvt_u32_f32_e32 v3, v3
	v_mul_lo_u32 v8, s0, v5
	v_mul_hi_u32 v10, s0, v3
	v_mul_lo_u32 v9, s1, v3
	v_add_u32_e32 v8, v10, v8
	v_mul_lo_u32 v11, s0, v3
	v_add_u32_e32 v8, v8, v9
	v_mul_lo_u32 v10, v3, v8
	v_mul_hi_u32 v12, v3, v11
	v_mul_hi_u32 v9, v3, v8
	v_add_co_u32_e32 v10, vcc, v12, v10
	v_addc_co_u32_e32 v9, vcc, 0, v9, vcc
	v_mul_hi_u32 v13, v5, v11
	v_mul_lo_u32 v11, v5, v11
	v_add_co_u32_e32 v10, vcc, v10, v11
	v_mul_hi_u32 v12, v5, v8
	v_addc_co_u32_e32 v9, vcc, v9, v13, vcc
	v_addc_co_u32_e32 v10, vcc, 0, v12, vcc
	v_mul_lo_u32 v8, v5, v8
	v_add_co_u32_e32 v8, vcc, v9, v8
	v_addc_co_u32_e32 v9, vcc, 0, v10, vcc
	v_add_co_u32_e32 v3, vcc, v3, v8
	v_addc_co_u32_e32 v5, vcc, v5, v9, vcc
	v_mul_lo_u32 v8, s0, v5
	v_mul_hi_u32 v9, s0, v3
	v_add_u32_e32 v8, v9, v8
	v_mul_lo_u32 v9, s1, v3
	v_add_u32_e32 v8, v8, v9
	v_mul_lo_u32 v10, s0, v3
	v_mul_hi_u32 v11, v5, v10
	v_mul_lo_u32 v12, v5, v10
	v_mul_lo_u32 v14, v3, v8
	v_mul_hi_u32 v10, v3, v10
	v_mul_hi_u32 v13, v3, v8
	v_add_co_u32_e32 v10, vcc, v10, v14
	v_addc_co_u32_e32 v13, vcc, 0, v13, vcc
	v_add_co_u32_e32 v10, vcc, v10, v12
	v_mul_hi_u32 v9, v5, v8
	v_addc_co_u32_e32 v10, vcc, v13, v11, vcc
	v_addc_co_u32_e32 v9, vcc, 0, v9, vcc
	v_mul_lo_u32 v8, v5, v8
	v_add_co_u32_e32 v8, vcc, v10, v8
	v_addc_co_u32_e32 v9, vcc, 0, v9, vcc
	v_add_co_u32_e32 v3, vcc, v3, v8
	v_addc_co_u32_e32 v5, vcc, v5, v9, vcc
	v_ashrrev_i32_e32 v12, 31, v7
	v_add_co_u32_e32 v8, vcc, v6, v12
	v_xor_b32_e32 v13, v8, v12
	v_addc_co_u32_e32 v7, vcc, v7, v12, vcc
	v_mad_u64_u32 v[8:9], s[0:1], v13, v5, 0
	v_mul_hi_u32 v10, v13, v3
	v_xor_b32_e32 v7, v7, v12
	v_add_co_u32_e32 v14, vcc, v10, v8
	v_addc_co_u32_e32 v15, vcc, 0, v9, vcc
	v_mad_u64_u32 v[10:11], s[0:1], v7, v3, 0
	v_add_co_u32_e32 v3, vcc, v14, v10
	v_mad_u64_u32 v[8:9], s[0:1], v7, v5, 0
	v_addc_co_u32_e32 v3, vcc, v15, v11, vcc
	v_addc_co_u32_e32 v5, vcc, 0, v9, vcc
	v_add_co_u32_e32 v3, vcc, v3, v8
	v_addc_co_u32_e32 v5, vcc, 0, v5, vcc
	v_mul_lo_u32 v10, s37, v3
	v_mul_lo_u32 v11, s36, v5
	v_mad_u64_u32 v[8:9], s[0:1], s36, v3, 0
	v_add3_u32 v9, v9, v11, v10
	v_sub_u32_e32 v10, v7, v9
	v_mov_b32_e32 v11, s37
	v_sub_co_u32_e32 v8, vcc, v13, v8
	v_subb_co_u32_e64 v10, s[0:1], v10, v11, vcc
	v_subrev_co_u32_e64 v11, s[0:1], s36, v8
	v_subbrev_co_u32_e64 v10, s[0:1], 0, v10, s[0:1]
	v_cmp_le_u32_e64 s[0:1], s37, v10
	v_cndmask_b32_e64 v13, 0, -1, s[0:1]
	v_cmp_le_u32_e64 s[0:1], s36, v11
	v_cndmask_b32_e64 v11, 0, -1, s[0:1]
	v_cmp_eq_u32_e64 s[0:1], s37, v10
	v_cndmask_b32_e64 v10, v13, v11, s[0:1]
	v_add_co_u32_e64 v11, s[0:1], 2, v3
	v_subb_co_u32_e32 v7, vcc, v7, v9, vcc
	v_addc_co_u32_e64 v13, s[0:1], 0, v5, s[0:1]
	v_cmp_le_u32_e32 vcc, s37, v7
	v_add_co_u32_e64 v14, s[0:1], 1, v3
	v_cndmask_b32_e64 v9, 0, -1, vcc
	v_cmp_le_u32_e32 vcc, s36, v8
	v_addc_co_u32_e64 v15, s[0:1], 0, v5, s[0:1]
	v_cndmask_b32_e64 v8, 0, -1, vcc
	v_cmp_eq_u32_e32 vcc, s37, v7
	v_cmp_ne_u32_e64 s[0:1], 0, v10
	v_cndmask_b32_e32 v7, v9, v8, vcc
	v_cmp_ne_u32_e32 vcc, 0, v7
	v_cndmask_b32_e64 v7, v14, v11, s[0:1]
	v_cndmask_b32_e64 v10, v15, v13, s[0:1]
	v_cndmask_b32_e32 v3, v3, v7, vcc
	v_xor_b32_e32 v8, s34, v12
	v_cndmask_b32_e32 v5, v5, v10, vcc
	v_xor_b32_e32 v7, s35, v12
	v_xor_b32_e32 v3, v3, v8
	;; [unrolled: 1-line block ×3, first 2 shown]
	v_sub_co_u32_e32 v8, vcc, v3, v8
	v_subb_co_u32_e32 v9, vcc, v5, v7, vcc
.LBB56_25:                              ;   in Loop: Header=BB56_23 Depth=2
	s_andn2_saveexec_b64 s[0:1], s[30:31]
	s_cbranch_execz .LBB56_27
; %bb.26:                               ;   in Loop: Header=BB56_23 Depth=2
	v_cvt_f32_u32_e32 v3, s50
	s_sub_i32 s16, 0, s50
	v_mov_b32_e32 v9, v2
	v_rcp_iflag_f32_e32 v3, v3
	v_mul_f32_e32 v3, 0x4f7ffffe, v3
	v_cvt_u32_f32_e32 v3, v3
	v_mul_lo_u32 v5, s16, v3
	v_mul_hi_u32 v5, v3, v5
	v_add_u32_e32 v3, v3, v5
	v_mul_hi_u32 v3, v6, v3
	v_mul_lo_u32 v5, v3, s50
	v_sub_u32_e32 v5, v6, v5
	v_add_u32_e32 v7, 1, v3
	v_subrev_u32_e32 v8, s50, v5
	v_cmp_le_u32_e32 vcc, s50, v5
	v_cndmask_b32_e32 v5, v5, v8, vcc
	v_cndmask_b32_e32 v3, v3, v7, vcc
	v_add_u32_e32 v7, 1, v3
	v_cmp_le_u32_e32 vcc, s50, v5
	v_cndmask_b32_e32 v8, v3, v7, vcc
.LBB56_27:                              ;   in Loop: Header=BB56_23 Depth=2
	s_or_b64 exec, exec, s[0:1]
	s_add_u32 s0, s43, s28
	s_addc_u32 s1, s44, s29
	s_add_i32 s16, s26, 6
	s_lshl_b64 s[28:29], s[16:17], 2
	s_add_u32 s30, s39, s28
	s_addc_u32 s31, s40, s29
	s_load_dword s51, s[30:31], 0x0
	s_load_dword s52, s[0:1], 0x0
                                        ; implicit-def: $vgpr10_vgpr11
	s_waitcnt lgkmcnt(0)
	s_ashr_i32 s0, s51, 31
	v_or_b32_e32 v3, s0, v9
	v_cmp_ne_u64_e32 vcc, 0, v[2:3]
	s_and_saveexec_b64 s[30:31], vcc
	s_xor_b64 s[30:31], exec, s[30:31]
	s_cbranch_execz .LBB56_29
; %bb.28:                               ;   in Loop: Header=BB56_23 Depth=2
	s_add_u32 s36, s51, s0
	s_mov_b32 s34, s0
	s_mov_b32 s35, s0
	s_addc_u32 s37, s0, s0
	s_xor_b64 s[36:37], s[36:37], s[34:35]
	v_cvt_f32_u32_e32 v3, s36
	v_cvt_f32_u32_e32 v5, s37
	s_sub_u32 s0, 0, s36
	s_subb_u32 s1, 0, s37
	v_mac_f32_e32 v3, 0x4f800000, v5
	v_rcp_f32_e32 v3, v3
	v_mul_f32_e32 v3, 0x5f7ffffc, v3
	v_mul_f32_e32 v5, 0x2f800000, v3
	v_trunc_f32_e32 v5, v5
	v_mac_f32_e32 v3, 0xcf800000, v5
	v_cvt_u32_f32_e32 v5, v5
	v_cvt_u32_f32_e32 v3, v3
	v_mul_lo_u32 v7, s0, v5
	v_mul_hi_u32 v11, s0, v3
	v_mul_lo_u32 v10, s1, v3
	v_add_u32_e32 v7, v11, v7
	v_mul_lo_u32 v12, s0, v3
	v_add_u32_e32 v7, v7, v10
	v_mul_lo_u32 v11, v3, v7
	v_mul_hi_u32 v13, v3, v12
	v_mul_hi_u32 v10, v3, v7
	v_add_co_u32_e32 v11, vcc, v13, v11
	v_addc_co_u32_e32 v10, vcc, 0, v10, vcc
	v_mul_hi_u32 v14, v5, v12
	v_mul_lo_u32 v12, v5, v12
	v_add_co_u32_e32 v11, vcc, v11, v12
	v_mul_hi_u32 v13, v5, v7
	v_addc_co_u32_e32 v10, vcc, v10, v14, vcc
	v_addc_co_u32_e32 v11, vcc, 0, v13, vcc
	v_mul_lo_u32 v7, v5, v7
	v_add_co_u32_e32 v7, vcc, v10, v7
	v_addc_co_u32_e32 v10, vcc, 0, v11, vcc
	v_add_co_u32_e32 v3, vcc, v3, v7
	v_addc_co_u32_e32 v5, vcc, v5, v10, vcc
	v_mul_lo_u32 v7, s0, v5
	v_mul_hi_u32 v10, s0, v3
	v_add_u32_e32 v7, v10, v7
	v_mul_lo_u32 v10, s1, v3
	v_add_u32_e32 v7, v7, v10
	v_mul_lo_u32 v11, s0, v3
	v_mul_hi_u32 v12, v5, v11
	v_mul_lo_u32 v13, v5, v11
	v_mul_lo_u32 v15, v3, v7
	v_mul_hi_u32 v11, v3, v11
	v_mul_hi_u32 v14, v3, v7
	v_add_co_u32_e32 v11, vcc, v11, v15
	v_addc_co_u32_e32 v14, vcc, 0, v14, vcc
	v_add_co_u32_e32 v11, vcc, v11, v13
	v_mul_hi_u32 v10, v5, v7
	v_addc_co_u32_e32 v11, vcc, v14, v12, vcc
	v_addc_co_u32_e32 v10, vcc, 0, v10, vcc
	v_mul_lo_u32 v7, v5, v7
	v_add_co_u32_e32 v7, vcc, v11, v7
	v_addc_co_u32_e32 v10, vcc, 0, v10, vcc
	v_add_co_u32_e32 v3, vcc, v3, v7
	v_addc_co_u32_e32 v5, vcc, v5, v10, vcc
	v_ashrrev_i32_e32 v7, 31, v9
	v_add_co_u32_e32 v10, vcc, v8, v7
	v_xor_b32_e32 v14, v10, v7
	v_addc_co_u32_e32 v9, vcc, v9, v7, vcc
	v_mad_u64_u32 v[10:11], s[0:1], v14, v5, 0
	v_mul_hi_u32 v12, v14, v3
	v_xor_b32_e32 v9, v9, v7
	v_add_co_u32_e32 v15, vcc, v12, v10
	v_addc_co_u32_e32 v16, vcc, 0, v11, vcc
	v_mad_u64_u32 v[12:13], s[0:1], v9, v3, 0
	v_add_co_u32_e32 v3, vcc, v15, v12
	v_mad_u64_u32 v[10:11], s[0:1], v9, v5, 0
	v_addc_co_u32_e32 v3, vcc, v16, v13, vcc
	v_addc_co_u32_e32 v5, vcc, 0, v11, vcc
	v_add_co_u32_e32 v3, vcc, v3, v10
	v_addc_co_u32_e32 v5, vcc, 0, v5, vcc
	v_mul_lo_u32 v12, s37, v3
	v_mul_lo_u32 v13, s36, v5
	v_mad_u64_u32 v[10:11], s[0:1], s36, v3, 0
	v_add3_u32 v11, v11, v13, v12
	v_sub_u32_e32 v12, v9, v11
	v_mov_b32_e32 v13, s37
	v_sub_co_u32_e32 v10, vcc, v14, v10
	v_subb_co_u32_e64 v12, s[0:1], v12, v13, vcc
	v_subrev_co_u32_e64 v13, s[0:1], s36, v10
	v_subbrev_co_u32_e64 v12, s[0:1], 0, v12, s[0:1]
	v_cmp_le_u32_e64 s[0:1], s37, v12
	v_cndmask_b32_e64 v14, 0, -1, s[0:1]
	v_cmp_le_u32_e64 s[0:1], s36, v13
	v_cndmask_b32_e64 v13, 0, -1, s[0:1]
	v_cmp_eq_u32_e64 s[0:1], s37, v12
	v_cndmask_b32_e64 v12, v14, v13, s[0:1]
	v_add_co_u32_e64 v13, s[0:1], 2, v3
	v_subb_co_u32_e32 v9, vcc, v9, v11, vcc
	v_addc_co_u32_e64 v14, s[0:1], 0, v5, s[0:1]
	v_cmp_le_u32_e32 vcc, s37, v9
	v_add_co_u32_e64 v15, s[0:1], 1, v3
	v_cndmask_b32_e64 v11, 0, -1, vcc
	v_cmp_le_u32_e32 vcc, s36, v10
	v_addc_co_u32_e64 v16, s[0:1], 0, v5, s[0:1]
	v_cndmask_b32_e64 v10, 0, -1, vcc
	v_cmp_eq_u32_e32 vcc, s37, v9
	v_cmp_ne_u32_e64 s[0:1], 0, v12
	v_cndmask_b32_e32 v9, v11, v10, vcc
	v_cmp_ne_u32_e32 vcc, 0, v9
	v_cndmask_b32_e64 v9, v15, v13, s[0:1]
	v_cndmask_b32_e64 v12, v16, v14, s[0:1]
	v_cndmask_b32_e32 v3, v3, v9, vcc
	v_xor_b32_e32 v9, s35, v7
	v_xor_b32_e32 v7, s34, v7
	v_cndmask_b32_e32 v5, v5, v12, vcc
	v_xor_b32_e32 v3, v3, v7
	v_xor_b32_e32 v5, v5, v9
	v_sub_co_u32_e32 v10, vcc, v3, v7
	v_subb_co_u32_e32 v11, vcc, v5, v9, vcc
.LBB56_29:                              ;   in Loop: Header=BB56_23 Depth=2
	s_andn2_saveexec_b64 s[0:1], s[30:31]
	s_cbranch_execz .LBB56_31
; %bb.30:                               ;   in Loop: Header=BB56_23 Depth=2
	v_cvt_f32_u32_e32 v3, s51
	s_sub_i32 s16, 0, s51
	v_mov_b32_e32 v11, v2
	v_rcp_iflag_f32_e32 v3, v3
	v_mul_f32_e32 v3, 0x4f7ffffe, v3
	v_cvt_u32_f32_e32 v3, v3
	v_mul_lo_u32 v5, s16, v3
	v_mul_hi_u32 v5, v3, v5
	v_add_u32_e32 v3, v3, v5
	v_mul_hi_u32 v3, v8, v3
	v_mul_lo_u32 v5, v3, s51
	v_sub_u32_e32 v5, v8, v5
	v_add_u32_e32 v7, 1, v3
	v_subrev_u32_e32 v9, s51, v5
	v_cmp_le_u32_e32 vcc, s51, v5
	v_cndmask_b32_e32 v5, v5, v9, vcc
	v_cndmask_b32_e32 v3, v3, v7, vcc
	v_add_u32_e32 v7, 1, v3
	v_cmp_le_u32_e32 vcc, s51, v5
	v_cndmask_b32_e32 v10, v3, v7, vcc
.LBB56_31:                              ;   in Loop: Header=BB56_23 Depth=2
	s_or_b64 exec, exec, s[0:1]
	s_add_u32 s0, s43, s28
	s_addc_u32 s1, s44, s29
	s_add_i32 s16, s26, 5
	s_lshl_b64 s[28:29], s[16:17], 2
	s_add_u32 s30, s39, s28
	s_addc_u32 s31, s40, s29
	s_load_dword s53, s[30:31], 0x0
	s_load_dword s54, s[0:1], 0x0
                                        ; implicit-def: $vgpr12_vgpr13
	s_waitcnt lgkmcnt(0)
	s_ashr_i32 s0, s53, 31
	v_or_b32_e32 v3, s0, v11
	v_cmp_ne_u64_e32 vcc, 0, v[2:3]
	s_and_saveexec_b64 s[30:31], vcc
	s_xor_b64 s[30:31], exec, s[30:31]
	s_cbranch_execz .LBB56_33
; %bb.32:                               ;   in Loop: Header=BB56_23 Depth=2
	s_add_u32 s36, s53, s0
	s_mov_b32 s34, s0
	s_mov_b32 s35, s0
	s_addc_u32 s37, s0, s0
	s_xor_b64 s[36:37], s[36:37], s[34:35]
	v_cvt_f32_u32_e32 v3, s36
	v_cvt_f32_u32_e32 v5, s37
	s_sub_u32 s0, 0, s36
	s_subb_u32 s1, 0, s37
	v_mac_f32_e32 v3, 0x4f800000, v5
	v_rcp_f32_e32 v3, v3
	v_mul_f32_e32 v3, 0x5f7ffffc, v3
	v_mul_f32_e32 v5, 0x2f800000, v3
	v_trunc_f32_e32 v5, v5
	v_mac_f32_e32 v3, 0xcf800000, v5
	v_cvt_u32_f32_e32 v5, v5
	v_cvt_u32_f32_e32 v3, v3
	v_mul_lo_u32 v7, s0, v5
	v_mul_hi_u32 v12, s0, v3
	v_mul_lo_u32 v9, s1, v3
	v_add_u32_e32 v7, v12, v7
	v_mul_lo_u32 v13, s0, v3
	v_add_u32_e32 v7, v7, v9
	v_mul_lo_u32 v12, v3, v7
	v_mul_hi_u32 v14, v3, v13
	v_mul_hi_u32 v9, v3, v7
	v_add_co_u32_e32 v12, vcc, v14, v12
	v_addc_co_u32_e32 v9, vcc, 0, v9, vcc
	v_mul_hi_u32 v15, v5, v13
	v_mul_lo_u32 v13, v5, v13
	v_add_co_u32_e32 v12, vcc, v12, v13
	v_mul_hi_u32 v14, v5, v7
	v_addc_co_u32_e32 v9, vcc, v9, v15, vcc
	v_addc_co_u32_e32 v12, vcc, 0, v14, vcc
	v_mul_lo_u32 v7, v5, v7
	v_add_co_u32_e32 v7, vcc, v9, v7
	v_addc_co_u32_e32 v9, vcc, 0, v12, vcc
	v_add_co_u32_e32 v3, vcc, v3, v7
	v_addc_co_u32_e32 v5, vcc, v5, v9, vcc
	v_mul_lo_u32 v7, s0, v5
	v_mul_hi_u32 v9, s0, v3
	v_add_u32_e32 v7, v9, v7
	v_mul_lo_u32 v9, s1, v3
	v_add_u32_e32 v7, v7, v9
	v_mul_lo_u32 v12, s0, v3
	v_mul_hi_u32 v13, v5, v12
	v_mul_lo_u32 v14, v5, v12
	v_mul_lo_u32 v16, v3, v7
	v_mul_hi_u32 v12, v3, v12
	v_mul_hi_u32 v15, v3, v7
	v_add_co_u32_e32 v12, vcc, v12, v16
	v_addc_co_u32_e32 v15, vcc, 0, v15, vcc
	v_add_co_u32_e32 v12, vcc, v12, v14
	v_mul_hi_u32 v9, v5, v7
	v_addc_co_u32_e32 v12, vcc, v15, v13, vcc
	v_addc_co_u32_e32 v9, vcc, 0, v9, vcc
	v_mul_lo_u32 v7, v5, v7
	v_add_co_u32_e32 v7, vcc, v12, v7
	v_addc_co_u32_e32 v9, vcc, 0, v9, vcc
	v_add_co_u32_e32 v3, vcc, v3, v7
	v_addc_co_u32_e32 v5, vcc, v5, v9, vcc
	v_ashrrev_i32_e32 v7, 31, v11
	v_add_co_u32_e32 v9, vcc, v10, v7
	v_xor_b32_e32 v9, v9, v7
	v_addc_co_u32_e32 v11, vcc, v11, v7, vcc
	v_mad_u64_u32 v[12:13], s[0:1], v9, v5, 0
	v_mul_hi_u32 v14, v9, v3
	v_xor_b32_e32 v11, v11, v7
	v_add_co_u32_e32 v16, vcc, v14, v12
	v_addc_co_u32_e32 v17, vcc, 0, v13, vcc
	v_mad_u64_u32 v[14:15], s[0:1], v11, v3, 0
	v_add_co_u32_e32 v3, vcc, v16, v14
	v_mad_u64_u32 v[12:13], s[0:1], v11, v5, 0
	v_addc_co_u32_e32 v3, vcc, v17, v15, vcc
	v_addc_co_u32_e32 v5, vcc, 0, v13, vcc
	v_add_co_u32_e32 v3, vcc, v3, v12
	v_addc_co_u32_e32 v5, vcc, 0, v5, vcc
	v_mul_lo_u32 v14, s37, v3
	v_mul_lo_u32 v15, s36, v5
	v_mad_u64_u32 v[12:13], s[0:1], s36, v3, 0
	v_add3_u32 v13, v13, v15, v14
	v_sub_u32_e32 v14, v11, v13
	v_mov_b32_e32 v15, s37
	v_sub_co_u32_e32 v9, vcc, v9, v12
	v_subb_co_u32_e64 v12, s[0:1], v14, v15, vcc
	v_subrev_co_u32_e64 v14, s[0:1], s36, v9
	v_subbrev_co_u32_e64 v12, s[0:1], 0, v12, s[0:1]
	v_cmp_le_u32_e64 s[0:1], s37, v12
	v_cndmask_b32_e64 v15, 0, -1, s[0:1]
	v_cmp_le_u32_e64 s[0:1], s36, v14
	v_cndmask_b32_e64 v14, 0, -1, s[0:1]
	v_cmp_eq_u32_e64 s[0:1], s37, v12
	v_cndmask_b32_e64 v12, v15, v14, s[0:1]
	v_add_co_u32_e64 v14, s[0:1], 2, v3
	v_subb_co_u32_e32 v11, vcc, v11, v13, vcc
	v_addc_co_u32_e64 v15, s[0:1], 0, v5, s[0:1]
	v_cmp_le_u32_e32 vcc, s37, v11
	v_add_co_u32_e64 v16, s[0:1], 1, v3
	v_cndmask_b32_e64 v13, 0, -1, vcc
	v_cmp_le_u32_e32 vcc, s36, v9
	v_addc_co_u32_e64 v17, s[0:1], 0, v5, s[0:1]
	v_cndmask_b32_e64 v9, 0, -1, vcc
	v_cmp_eq_u32_e32 vcc, s37, v11
	v_cmp_ne_u32_e64 s[0:1], 0, v12
	v_cndmask_b32_e32 v9, v13, v9, vcc
	v_cmp_ne_u32_e32 vcc, 0, v9
	v_cndmask_b32_e64 v9, v16, v14, s[0:1]
	v_cndmask_b32_e64 v12, v17, v15, s[0:1]
	v_cndmask_b32_e32 v3, v3, v9, vcc
	v_xor_b32_e32 v9, s35, v7
	v_xor_b32_e32 v7, s34, v7
	v_cndmask_b32_e32 v5, v5, v12, vcc
	v_xor_b32_e32 v3, v3, v7
	v_xor_b32_e32 v5, v5, v9
	v_sub_co_u32_e32 v12, vcc, v3, v7
	v_subb_co_u32_e32 v13, vcc, v5, v9, vcc
.LBB56_33:                              ;   in Loop: Header=BB56_23 Depth=2
	s_andn2_saveexec_b64 s[0:1], s[30:31]
	s_cbranch_execz .LBB56_35
; %bb.34:                               ;   in Loop: Header=BB56_23 Depth=2
	v_cvt_f32_u32_e32 v3, s53
	s_sub_i32 s16, 0, s53
	v_mov_b32_e32 v13, v2
	v_rcp_iflag_f32_e32 v3, v3
	v_mul_f32_e32 v3, 0x4f7ffffe, v3
	v_cvt_u32_f32_e32 v3, v3
	v_mul_lo_u32 v5, s16, v3
	v_mul_hi_u32 v5, v3, v5
	v_add_u32_e32 v3, v3, v5
	v_mul_hi_u32 v3, v10, v3
	v_mul_lo_u32 v5, v3, s53
	v_sub_u32_e32 v5, v10, v5
	v_add_u32_e32 v7, 1, v3
	v_subrev_u32_e32 v9, s53, v5
	v_cmp_le_u32_e32 vcc, s53, v5
	v_cndmask_b32_e32 v5, v5, v9, vcc
	v_cndmask_b32_e32 v3, v3, v7, vcc
	v_add_u32_e32 v7, 1, v3
	v_cmp_le_u32_e32 vcc, s53, v5
	v_cndmask_b32_e32 v12, v3, v7, vcc
.LBB56_35:                              ;   in Loop: Header=BB56_23 Depth=2
	s_or_b64 exec, exec, s[0:1]
	s_add_u32 s0, s43, s28
	s_addc_u32 s1, s44, s29
	s_add_i32 s16, s26, 4
	s_lshl_b64 s[28:29], s[16:17], 2
	s_add_u32 s30, s39, s28
	s_addc_u32 s31, s40, s29
	s_load_dword s55, s[30:31], 0x0
	s_load_dword s56, s[0:1], 0x0
                                        ; implicit-def: $vgpr14_vgpr15
	s_waitcnt lgkmcnt(0)
	s_ashr_i32 s0, s55, 31
	v_or_b32_e32 v3, s0, v13
	v_cmp_ne_u64_e32 vcc, 0, v[2:3]
	s_and_saveexec_b64 s[30:31], vcc
	s_xor_b64 s[30:31], exec, s[30:31]
	s_cbranch_execz .LBB56_37
; %bb.36:                               ;   in Loop: Header=BB56_23 Depth=2
	s_add_u32 s36, s55, s0
	s_mov_b32 s34, s0
	s_mov_b32 s35, s0
	s_addc_u32 s37, s0, s0
	s_xor_b64 s[36:37], s[36:37], s[34:35]
	v_cvt_f32_u32_e32 v3, s36
	v_cvt_f32_u32_e32 v5, s37
	s_sub_u32 s0, 0, s36
	s_subb_u32 s1, 0, s37
	v_mac_f32_e32 v3, 0x4f800000, v5
	v_rcp_f32_e32 v3, v3
	v_mul_f32_e32 v3, 0x5f7ffffc, v3
	v_mul_f32_e32 v5, 0x2f800000, v3
	v_trunc_f32_e32 v5, v5
	v_mac_f32_e32 v3, 0xcf800000, v5
	v_cvt_u32_f32_e32 v5, v5
	v_cvt_u32_f32_e32 v3, v3
	v_mul_lo_u32 v7, s0, v5
	v_mul_hi_u32 v11, s0, v3
	v_mul_lo_u32 v9, s1, v3
	v_add_u32_e32 v7, v11, v7
	v_mul_lo_u32 v14, s0, v3
	v_add_u32_e32 v7, v7, v9
	v_mul_lo_u32 v11, v3, v7
	v_mul_hi_u32 v15, v3, v14
	v_mul_hi_u32 v9, v3, v7
	v_add_co_u32_e32 v11, vcc, v15, v11
	v_addc_co_u32_e32 v9, vcc, 0, v9, vcc
	v_mul_hi_u32 v16, v5, v14
	v_mul_lo_u32 v14, v5, v14
	v_add_co_u32_e32 v11, vcc, v11, v14
	v_mul_hi_u32 v15, v5, v7
	v_addc_co_u32_e32 v9, vcc, v9, v16, vcc
	v_addc_co_u32_e32 v11, vcc, 0, v15, vcc
	v_mul_lo_u32 v7, v5, v7
	v_add_co_u32_e32 v7, vcc, v9, v7
	v_addc_co_u32_e32 v9, vcc, 0, v11, vcc
	v_add_co_u32_e32 v3, vcc, v3, v7
	v_addc_co_u32_e32 v5, vcc, v5, v9, vcc
	v_mul_lo_u32 v7, s0, v5
	v_mul_hi_u32 v9, s0, v3
	v_add_u32_e32 v7, v9, v7
	v_mul_lo_u32 v9, s1, v3
	v_add_u32_e32 v7, v7, v9
	v_mul_lo_u32 v11, s0, v3
	v_mul_hi_u32 v14, v5, v11
	v_mul_lo_u32 v15, v5, v11
	v_mul_lo_u32 v17, v3, v7
	v_mul_hi_u32 v11, v3, v11
	v_mul_hi_u32 v16, v3, v7
	v_add_co_u32_e32 v11, vcc, v11, v17
	v_addc_co_u32_e32 v16, vcc, 0, v16, vcc
	v_add_co_u32_e32 v11, vcc, v11, v15
	v_mul_hi_u32 v9, v5, v7
	v_addc_co_u32_e32 v11, vcc, v16, v14, vcc
	v_addc_co_u32_e32 v9, vcc, 0, v9, vcc
	v_mul_lo_u32 v7, v5, v7
	v_add_co_u32_e32 v7, vcc, v11, v7
	v_addc_co_u32_e32 v9, vcc, 0, v9, vcc
	v_add_co_u32_e32 v3, vcc, v3, v7
	v_addc_co_u32_e32 v5, vcc, v5, v9, vcc
	v_ashrrev_i32_e32 v7, 31, v13
	v_add_co_u32_e32 v9, vcc, v12, v7
	v_xor_b32_e32 v9, v9, v7
	v_addc_co_u32_e32 v11, vcc, v13, v7, vcc
	v_mad_u64_u32 v[14:15], s[0:1], v9, v5, 0
	v_mul_hi_u32 v13, v9, v3
	v_xor_b32_e32 v11, v11, v7
	v_add_co_u32_e32 v13, vcc, v13, v14
	v_addc_co_u32_e32 v18, vcc, 0, v15, vcc
	v_mad_u64_u32 v[16:17], s[0:1], v11, v3, 0
	v_add_co_u32_e32 v3, vcc, v13, v16
	v_mad_u64_u32 v[14:15], s[0:1], v11, v5, 0
	v_addc_co_u32_e32 v3, vcc, v18, v17, vcc
	v_addc_co_u32_e32 v5, vcc, 0, v15, vcc
	v_add_co_u32_e32 v3, vcc, v3, v14
	v_addc_co_u32_e32 v5, vcc, 0, v5, vcc
	v_mul_lo_u32 v13, s37, v3
	v_mul_lo_u32 v16, s36, v5
	v_mad_u64_u32 v[14:15], s[0:1], s36, v3, 0
	v_add3_u32 v13, v15, v16, v13
	v_sub_u32_e32 v15, v11, v13
	v_mov_b32_e32 v16, s37
	v_sub_co_u32_e32 v9, vcc, v9, v14
	v_subb_co_u32_e64 v14, s[0:1], v15, v16, vcc
	v_subrev_co_u32_e64 v15, s[0:1], s36, v9
	v_subbrev_co_u32_e64 v14, s[0:1], 0, v14, s[0:1]
	v_cmp_le_u32_e64 s[0:1], s37, v14
	v_cndmask_b32_e64 v16, 0, -1, s[0:1]
	v_cmp_le_u32_e64 s[0:1], s36, v15
	v_cndmask_b32_e64 v15, 0, -1, s[0:1]
	v_cmp_eq_u32_e64 s[0:1], s37, v14
	v_cndmask_b32_e64 v14, v16, v15, s[0:1]
	v_add_co_u32_e64 v15, s[0:1], 2, v3
	v_subb_co_u32_e32 v11, vcc, v11, v13, vcc
	v_addc_co_u32_e64 v16, s[0:1], 0, v5, s[0:1]
	v_cmp_le_u32_e32 vcc, s37, v11
	v_add_co_u32_e64 v17, s[0:1], 1, v3
	v_cndmask_b32_e64 v13, 0, -1, vcc
	v_cmp_le_u32_e32 vcc, s36, v9
	v_addc_co_u32_e64 v18, s[0:1], 0, v5, s[0:1]
	v_cndmask_b32_e64 v9, 0, -1, vcc
	v_cmp_eq_u32_e32 vcc, s37, v11
	v_cmp_ne_u32_e64 s[0:1], 0, v14
	v_cndmask_b32_e32 v9, v13, v9, vcc
	v_cmp_ne_u32_e32 vcc, 0, v9
	v_cndmask_b32_e64 v9, v17, v15, s[0:1]
	v_cndmask_b32_e64 v14, v18, v16, s[0:1]
	v_cndmask_b32_e32 v3, v3, v9, vcc
	v_xor_b32_e32 v9, s35, v7
	v_xor_b32_e32 v7, s34, v7
	v_cndmask_b32_e32 v5, v5, v14, vcc
	v_xor_b32_e32 v3, v3, v7
	v_xor_b32_e32 v5, v5, v9
	v_sub_co_u32_e32 v14, vcc, v3, v7
	v_subb_co_u32_e32 v15, vcc, v5, v9, vcc
.LBB56_37:                              ;   in Loop: Header=BB56_23 Depth=2
	s_andn2_saveexec_b64 s[0:1], s[30:31]
	s_cbranch_execz .LBB56_39
; %bb.38:                               ;   in Loop: Header=BB56_23 Depth=2
	v_cvt_f32_u32_e32 v3, s55
	s_sub_i32 s16, 0, s55
	v_mov_b32_e32 v15, v2
	v_rcp_iflag_f32_e32 v3, v3
	v_mul_f32_e32 v3, 0x4f7ffffe, v3
	v_cvt_u32_f32_e32 v3, v3
	v_mul_lo_u32 v5, s16, v3
	v_mul_hi_u32 v5, v3, v5
	v_add_u32_e32 v3, v3, v5
	v_mul_hi_u32 v3, v12, v3
	v_mul_lo_u32 v5, v3, s55
	v_sub_u32_e32 v5, v12, v5
	v_add_u32_e32 v7, 1, v3
	v_subrev_u32_e32 v9, s55, v5
	v_cmp_le_u32_e32 vcc, s55, v5
	v_cndmask_b32_e32 v5, v5, v9, vcc
	v_cndmask_b32_e32 v3, v3, v7, vcc
	v_add_u32_e32 v7, 1, v3
	v_cmp_le_u32_e32 vcc, s55, v5
	v_cndmask_b32_e32 v14, v3, v7, vcc
.LBB56_39:                              ;   in Loop: Header=BB56_23 Depth=2
	s_or_b64 exec, exec, s[0:1]
	s_add_u32 s0, s43, s28
	s_addc_u32 s1, s44, s29
	s_add_i32 s16, s26, 3
	s_lshl_b64 s[28:29], s[16:17], 2
	s_add_u32 s30, s39, s28
	s_addc_u32 s31, s40, s29
	s_load_dword s57, s[30:31], 0x0
	s_load_dword s58, s[0:1], 0x0
                                        ; implicit-def: $vgpr16_vgpr17
	s_waitcnt lgkmcnt(0)
	s_ashr_i32 s0, s57, 31
	v_or_b32_e32 v3, s0, v15
	v_cmp_ne_u64_e32 vcc, 0, v[2:3]
	s_and_saveexec_b64 s[30:31], vcc
	s_xor_b64 s[30:31], exec, s[30:31]
	s_cbranch_execz .LBB56_41
; %bb.40:                               ;   in Loop: Header=BB56_23 Depth=2
	s_add_u32 s36, s57, s0
	s_mov_b32 s34, s0
	s_mov_b32 s35, s0
	s_addc_u32 s37, s0, s0
	s_xor_b64 s[36:37], s[36:37], s[34:35]
	v_cvt_f32_u32_e32 v3, s36
	v_cvt_f32_u32_e32 v5, s37
	s_sub_u32 s0, 0, s36
	s_subb_u32 s1, 0, s37
	v_mac_f32_e32 v3, 0x4f800000, v5
	v_rcp_f32_e32 v3, v3
	v_mul_f32_e32 v3, 0x5f7ffffc, v3
	v_mul_f32_e32 v5, 0x2f800000, v3
	v_trunc_f32_e32 v5, v5
	v_mac_f32_e32 v3, 0xcf800000, v5
	v_cvt_u32_f32_e32 v5, v5
	v_cvt_u32_f32_e32 v3, v3
	v_mul_lo_u32 v7, s0, v5
	v_mul_hi_u32 v11, s0, v3
	v_mul_lo_u32 v9, s1, v3
	v_add_u32_e32 v7, v11, v7
	v_mul_lo_u32 v13, s0, v3
	v_add_u32_e32 v7, v7, v9
	v_mul_lo_u32 v11, v3, v7
	v_mul_hi_u32 v16, v3, v13
	v_mul_hi_u32 v9, v3, v7
	v_add_co_u32_e32 v11, vcc, v16, v11
	v_addc_co_u32_e32 v9, vcc, 0, v9, vcc
	v_mul_hi_u32 v17, v5, v13
	v_mul_lo_u32 v13, v5, v13
	v_add_co_u32_e32 v11, vcc, v11, v13
	v_mul_hi_u32 v16, v5, v7
	v_addc_co_u32_e32 v9, vcc, v9, v17, vcc
	v_addc_co_u32_e32 v11, vcc, 0, v16, vcc
	v_mul_lo_u32 v7, v5, v7
	v_add_co_u32_e32 v7, vcc, v9, v7
	v_addc_co_u32_e32 v9, vcc, 0, v11, vcc
	v_add_co_u32_e32 v3, vcc, v3, v7
	v_addc_co_u32_e32 v5, vcc, v5, v9, vcc
	v_mul_lo_u32 v7, s0, v5
	v_mul_hi_u32 v9, s0, v3
	v_add_u32_e32 v7, v9, v7
	v_mul_lo_u32 v9, s1, v3
	v_add_u32_e32 v7, v7, v9
	v_mul_lo_u32 v11, s0, v3
	v_mul_hi_u32 v13, v5, v11
	v_mul_lo_u32 v16, v5, v11
	v_mul_lo_u32 v18, v3, v7
	v_mul_hi_u32 v11, v3, v11
	v_mul_hi_u32 v17, v3, v7
	v_add_co_u32_e32 v11, vcc, v11, v18
	v_addc_co_u32_e32 v17, vcc, 0, v17, vcc
	v_add_co_u32_e32 v11, vcc, v11, v16
	v_mul_hi_u32 v9, v5, v7
	v_addc_co_u32_e32 v11, vcc, v17, v13, vcc
	v_addc_co_u32_e32 v9, vcc, 0, v9, vcc
	v_mul_lo_u32 v7, v5, v7
	v_add_co_u32_e32 v7, vcc, v11, v7
	v_addc_co_u32_e32 v9, vcc, 0, v9, vcc
	v_add_co_u32_e32 v3, vcc, v3, v7
	v_addc_co_u32_e32 v5, vcc, v5, v9, vcc
	v_ashrrev_i32_e32 v7, 31, v15
	v_add_co_u32_e32 v9, vcc, v14, v7
	v_xor_b32_e32 v9, v9, v7
	v_addc_co_u32_e32 v11, vcc, v15, v7, vcc
	v_mad_u64_u32 v[16:17], s[0:1], v9, v5, 0
	v_mul_hi_u32 v13, v9, v3
	v_xor_b32_e32 v11, v11, v7
	v_add_co_u32_e32 v13, vcc, v13, v16
	v_addc_co_u32_e32 v15, vcc, 0, v17, vcc
	v_mad_u64_u32 v[18:19], s[0:1], v11, v3, 0
	v_add_co_u32_e32 v3, vcc, v13, v18
	v_mad_u64_u32 v[16:17], s[0:1], v11, v5, 0
	v_addc_co_u32_e32 v3, vcc, v15, v19, vcc
	v_addc_co_u32_e32 v5, vcc, 0, v17, vcc
	v_add_co_u32_e32 v3, vcc, v3, v16
	v_addc_co_u32_e32 v5, vcc, 0, v5, vcc
	v_mul_lo_u32 v13, s37, v3
	v_mul_lo_u32 v15, s36, v5
	v_mad_u64_u32 v[16:17], s[0:1], s36, v3, 0
	v_add3_u32 v13, v17, v15, v13
	v_sub_u32_e32 v15, v11, v13
	v_mov_b32_e32 v17, s37
	v_sub_co_u32_e32 v9, vcc, v9, v16
	v_subb_co_u32_e64 v15, s[0:1], v15, v17, vcc
	v_subrev_co_u32_e64 v16, s[0:1], s36, v9
	v_subbrev_co_u32_e64 v15, s[0:1], 0, v15, s[0:1]
	v_cmp_le_u32_e64 s[0:1], s37, v15
	v_cndmask_b32_e64 v17, 0, -1, s[0:1]
	v_cmp_le_u32_e64 s[0:1], s36, v16
	v_cndmask_b32_e64 v16, 0, -1, s[0:1]
	v_cmp_eq_u32_e64 s[0:1], s37, v15
	v_cndmask_b32_e64 v15, v17, v16, s[0:1]
	v_add_co_u32_e64 v16, s[0:1], 2, v3
	v_subb_co_u32_e32 v11, vcc, v11, v13, vcc
	v_addc_co_u32_e64 v17, s[0:1], 0, v5, s[0:1]
	v_cmp_le_u32_e32 vcc, s37, v11
	v_add_co_u32_e64 v18, s[0:1], 1, v3
	v_cndmask_b32_e64 v13, 0, -1, vcc
	v_cmp_le_u32_e32 vcc, s36, v9
	v_addc_co_u32_e64 v19, s[0:1], 0, v5, s[0:1]
	v_cndmask_b32_e64 v9, 0, -1, vcc
	v_cmp_eq_u32_e32 vcc, s37, v11
	v_cmp_ne_u32_e64 s[0:1], 0, v15
	v_cndmask_b32_e32 v9, v13, v9, vcc
	v_cmp_ne_u32_e32 vcc, 0, v9
	v_cndmask_b32_e64 v9, v18, v16, s[0:1]
	v_cndmask_b32_e64 v15, v19, v17, s[0:1]
	v_cndmask_b32_e32 v3, v3, v9, vcc
	v_xor_b32_e32 v9, s35, v7
	v_xor_b32_e32 v7, s34, v7
	v_cndmask_b32_e32 v5, v5, v15, vcc
	v_xor_b32_e32 v3, v3, v7
	v_xor_b32_e32 v5, v5, v9
	v_sub_co_u32_e32 v16, vcc, v3, v7
	v_subb_co_u32_e32 v17, vcc, v5, v9, vcc
.LBB56_41:                              ;   in Loop: Header=BB56_23 Depth=2
	s_andn2_saveexec_b64 s[0:1], s[30:31]
	s_cbranch_execz .LBB56_43
; %bb.42:                               ;   in Loop: Header=BB56_23 Depth=2
	v_cvt_f32_u32_e32 v3, s57
	s_sub_i32 s16, 0, s57
	v_mov_b32_e32 v17, v2
	v_rcp_iflag_f32_e32 v3, v3
	v_mul_f32_e32 v3, 0x4f7ffffe, v3
	v_cvt_u32_f32_e32 v3, v3
	v_mul_lo_u32 v5, s16, v3
	v_mul_hi_u32 v5, v3, v5
	v_add_u32_e32 v3, v3, v5
	v_mul_hi_u32 v3, v14, v3
	v_mul_lo_u32 v5, v3, s57
	v_sub_u32_e32 v5, v14, v5
	v_add_u32_e32 v7, 1, v3
	v_subrev_u32_e32 v9, s57, v5
	v_cmp_le_u32_e32 vcc, s57, v5
	v_cndmask_b32_e32 v5, v5, v9, vcc
	v_cndmask_b32_e32 v3, v3, v7, vcc
	v_add_u32_e32 v7, 1, v3
	v_cmp_le_u32_e32 vcc, s57, v5
	v_cndmask_b32_e32 v16, v3, v7, vcc
.LBB56_43:                              ;   in Loop: Header=BB56_23 Depth=2
	s_or_b64 exec, exec, s[0:1]
	s_add_u32 s0, s43, s28
	s_addc_u32 s1, s44, s29
	s_add_i32 s16, s26, 2
	s_lshl_b64 s[28:29], s[16:17], 2
	s_add_u32 s30, s39, s28
	s_addc_u32 s31, s40, s29
	s_load_dword s59, s[30:31], 0x0
	s_load_dword s60, s[0:1], 0x0
                                        ; implicit-def: $vgpr18_vgpr19
	s_waitcnt lgkmcnt(0)
	s_ashr_i32 s0, s59, 31
	v_or_b32_e32 v3, s0, v17
	v_cmp_ne_u64_e32 vcc, 0, v[2:3]
	s_and_saveexec_b64 s[30:31], vcc
	s_xor_b64 s[30:31], exec, s[30:31]
	s_cbranch_execz .LBB56_45
; %bb.44:                               ;   in Loop: Header=BB56_23 Depth=2
	s_add_u32 s36, s59, s0
	s_mov_b32 s34, s0
	s_mov_b32 s35, s0
	s_addc_u32 s37, s0, s0
	s_xor_b64 s[36:37], s[36:37], s[34:35]
	v_cvt_f32_u32_e32 v3, s36
	v_cvt_f32_u32_e32 v5, s37
	s_sub_u32 s0, 0, s36
	s_subb_u32 s1, 0, s37
	v_mac_f32_e32 v3, 0x4f800000, v5
	v_rcp_f32_e32 v3, v3
	v_mul_f32_e32 v3, 0x5f7ffffc, v3
	v_mul_f32_e32 v5, 0x2f800000, v3
	v_trunc_f32_e32 v5, v5
	v_mac_f32_e32 v3, 0xcf800000, v5
	v_cvt_u32_f32_e32 v5, v5
	v_cvt_u32_f32_e32 v3, v3
	v_mul_lo_u32 v7, s0, v5
	v_mul_hi_u32 v11, s0, v3
	v_mul_lo_u32 v9, s1, v3
	v_add_u32_e32 v7, v11, v7
	v_mul_lo_u32 v13, s0, v3
	v_add_u32_e32 v7, v7, v9
	v_mul_lo_u32 v11, v3, v7
	v_mul_hi_u32 v15, v3, v13
	v_mul_hi_u32 v9, v3, v7
	v_add_co_u32_e32 v11, vcc, v15, v11
	v_addc_co_u32_e32 v9, vcc, 0, v9, vcc
	v_mul_hi_u32 v18, v5, v13
	v_mul_lo_u32 v13, v5, v13
	v_add_co_u32_e32 v11, vcc, v11, v13
	v_mul_hi_u32 v15, v5, v7
	v_addc_co_u32_e32 v9, vcc, v9, v18, vcc
	v_addc_co_u32_e32 v11, vcc, 0, v15, vcc
	v_mul_lo_u32 v7, v5, v7
	v_add_co_u32_e32 v7, vcc, v9, v7
	v_addc_co_u32_e32 v9, vcc, 0, v11, vcc
	v_add_co_u32_e32 v3, vcc, v3, v7
	v_addc_co_u32_e32 v5, vcc, v5, v9, vcc
	v_mul_lo_u32 v7, s0, v5
	v_mul_hi_u32 v9, s0, v3
	v_add_u32_e32 v7, v9, v7
	v_mul_lo_u32 v9, s1, v3
	v_add_u32_e32 v7, v7, v9
	v_mul_lo_u32 v11, s0, v3
	v_mul_hi_u32 v13, v5, v11
	v_mul_lo_u32 v15, v5, v11
	v_mul_lo_u32 v19, v3, v7
	v_mul_hi_u32 v11, v3, v11
	v_mul_hi_u32 v18, v3, v7
	v_add_co_u32_e32 v11, vcc, v11, v19
	v_addc_co_u32_e32 v18, vcc, 0, v18, vcc
	v_add_co_u32_e32 v11, vcc, v11, v15
	v_mul_hi_u32 v9, v5, v7
	v_addc_co_u32_e32 v11, vcc, v18, v13, vcc
	v_addc_co_u32_e32 v9, vcc, 0, v9, vcc
	v_mul_lo_u32 v7, v5, v7
	v_add_co_u32_e32 v7, vcc, v11, v7
	v_addc_co_u32_e32 v9, vcc, 0, v9, vcc
	v_add_co_u32_e32 v3, vcc, v3, v7
	v_addc_co_u32_e32 v5, vcc, v5, v9, vcc
	v_ashrrev_i32_e32 v7, 31, v17
	v_add_co_u32_e32 v9, vcc, v16, v7
	v_xor_b32_e32 v9, v9, v7
	v_addc_co_u32_e32 v11, vcc, v17, v7, vcc
	v_mad_u64_u32 v[18:19], s[0:1], v9, v5, 0
	v_mul_hi_u32 v13, v9, v3
	v_xor_b32_e32 v11, v11, v7
	v_add_co_u32_e32 v13, vcc, v13, v18
	v_addc_co_u32_e32 v15, vcc, 0, v19, vcc
	v_mad_u64_u32 v[20:21], s[0:1], v11, v3, 0
	v_add_co_u32_e32 v3, vcc, v13, v20
	v_mad_u64_u32 v[18:19], s[0:1], v11, v5, 0
	v_addc_co_u32_e32 v3, vcc, v15, v21, vcc
	v_addc_co_u32_e32 v5, vcc, 0, v19, vcc
	v_add_co_u32_e32 v3, vcc, v3, v18
	v_addc_co_u32_e32 v5, vcc, 0, v5, vcc
	v_mul_lo_u32 v13, s37, v3
	v_mul_lo_u32 v15, s36, v5
	v_mad_u64_u32 v[18:19], s[0:1], s36, v3, 0
	v_add3_u32 v13, v19, v15, v13
	v_sub_u32_e32 v15, v11, v13
	v_mov_b32_e32 v17, s37
	v_sub_co_u32_e32 v9, vcc, v9, v18
	v_subb_co_u32_e64 v15, s[0:1], v15, v17, vcc
	v_subrev_co_u32_e64 v17, s[0:1], s36, v9
	v_subbrev_co_u32_e64 v15, s[0:1], 0, v15, s[0:1]
	v_cmp_le_u32_e64 s[0:1], s37, v15
	v_cndmask_b32_e64 v18, 0, -1, s[0:1]
	v_cmp_le_u32_e64 s[0:1], s36, v17
	v_cndmask_b32_e64 v17, 0, -1, s[0:1]
	v_cmp_eq_u32_e64 s[0:1], s37, v15
	v_cndmask_b32_e64 v15, v18, v17, s[0:1]
	v_add_co_u32_e64 v17, s[0:1], 2, v3
	v_subb_co_u32_e32 v11, vcc, v11, v13, vcc
	v_addc_co_u32_e64 v18, s[0:1], 0, v5, s[0:1]
	v_cmp_le_u32_e32 vcc, s37, v11
	v_add_co_u32_e64 v19, s[0:1], 1, v3
	v_cndmask_b32_e64 v13, 0, -1, vcc
	v_cmp_le_u32_e32 vcc, s36, v9
	v_addc_co_u32_e64 v20, s[0:1], 0, v5, s[0:1]
	v_cndmask_b32_e64 v9, 0, -1, vcc
	v_cmp_eq_u32_e32 vcc, s37, v11
	v_cmp_ne_u32_e64 s[0:1], 0, v15
	v_cndmask_b32_e32 v9, v13, v9, vcc
	v_cmp_ne_u32_e32 vcc, 0, v9
	v_cndmask_b32_e64 v9, v19, v17, s[0:1]
	v_cndmask_b32_e64 v15, v20, v18, s[0:1]
	v_cndmask_b32_e32 v3, v3, v9, vcc
	v_xor_b32_e32 v9, s35, v7
	v_xor_b32_e32 v7, s34, v7
	v_cndmask_b32_e32 v5, v5, v15, vcc
	v_xor_b32_e32 v3, v3, v7
	v_xor_b32_e32 v5, v5, v9
	v_sub_co_u32_e32 v18, vcc, v3, v7
	v_subb_co_u32_e32 v19, vcc, v5, v9, vcc
.LBB56_45:                              ;   in Loop: Header=BB56_23 Depth=2
	s_andn2_saveexec_b64 s[0:1], s[30:31]
	s_cbranch_execz .LBB56_47
; %bb.46:                               ;   in Loop: Header=BB56_23 Depth=2
	v_cvt_f32_u32_e32 v3, s59
	s_sub_i32 s16, 0, s59
	v_mov_b32_e32 v19, v2
	v_rcp_iflag_f32_e32 v3, v3
	v_mul_f32_e32 v3, 0x4f7ffffe, v3
	v_cvt_u32_f32_e32 v3, v3
	v_mul_lo_u32 v5, s16, v3
	v_mul_hi_u32 v5, v3, v5
	v_add_u32_e32 v3, v3, v5
	v_mul_hi_u32 v3, v16, v3
	v_mul_lo_u32 v5, v3, s59
	v_sub_u32_e32 v5, v16, v5
	v_add_u32_e32 v7, 1, v3
	v_subrev_u32_e32 v9, s59, v5
	v_cmp_le_u32_e32 vcc, s59, v5
	v_cndmask_b32_e32 v5, v5, v9, vcc
	v_cndmask_b32_e32 v3, v3, v7, vcc
	v_add_u32_e32 v7, 1, v3
	v_cmp_le_u32_e32 vcc, s59, v5
	v_cndmask_b32_e32 v18, v3, v7, vcc
.LBB56_47:                              ;   in Loop: Header=BB56_23 Depth=2
	s_or_b64 exec, exec, s[0:1]
	s_add_u32 s0, s43, s28
	s_addc_u32 s1, s44, s29
	s_add_i32 s16, s26, 1
	s_lshl_b64 s[28:29], s[16:17], 2
	s_add_u32 s30, s39, s28
	s_addc_u32 s31, s40, s29
	s_load_dword s16, s[30:31], 0x0
	s_load_dword s61, s[0:1], 0x0
                                        ; implicit-def: $vgpr20_vgpr21
	s_waitcnt lgkmcnt(0)
	s_ashr_i32 s0, s16, 31
	v_or_b32_e32 v3, s0, v19
	v_cmp_ne_u64_e32 vcc, 0, v[2:3]
	s_and_saveexec_b64 s[30:31], vcc
	s_xor_b64 s[30:31], exec, s[30:31]
	s_cbranch_execz .LBB56_49
; %bb.48:                               ;   in Loop: Header=BB56_23 Depth=2
	s_add_u32 s36, s16, s0
	s_mov_b32 s34, s0
	s_mov_b32 s35, s0
	s_addc_u32 s37, s0, s0
	s_xor_b64 s[36:37], s[36:37], s[34:35]
	v_cvt_f32_u32_e32 v3, s36
	v_cvt_f32_u32_e32 v5, s37
	s_sub_u32 s0, 0, s36
	s_subb_u32 s1, 0, s37
	v_mac_f32_e32 v3, 0x4f800000, v5
	v_rcp_f32_e32 v3, v3
	v_mul_f32_e32 v3, 0x5f7ffffc, v3
	v_mul_f32_e32 v5, 0x2f800000, v3
	v_trunc_f32_e32 v5, v5
	v_mac_f32_e32 v3, 0xcf800000, v5
	v_cvt_u32_f32_e32 v5, v5
	v_cvt_u32_f32_e32 v3, v3
	v_mul_lo_u32 v7, s0, v5
	v_mul_hi_u32 v11, s0, v3
	v_mul_lo_u32 v9, s1, v3
	v_add_u32_e32 v7, v11, v7
	v_mul_lo_u32 v13, s0, v3
	v_add_u32_e32 v7, v7, v9
	v_mul_lo_u32 v11, v3, v7
	v_mul_hi_u32 v15, v3, v13
	v_mul_hi_u32 v9, v3, v7
	v_add_co_u32_e32 v11, vcc, v15, v11
	v_addc_co_u32_e32 v9, vcc, 0, v9, vcc
	v_mul_hi_u32 v17, v5, v13
	v_mul_lo_u32 v13, v5, v13
	v_add_co_u32_e32 v11, vcc, v11, v13
	v_mul_hi_u32 v15, v5, v7
	v_addc_co_u32_e32 v9, vcc, v9, v17, vcc
	v_addc_co_u32_e32 v11, vcc, 0, v15, vcc
	v_mul_lo_u32 v7, v5, v7
	v_add_co_u32_e32 v7, vcc, v9, v7
	v_addc_co_u32_e32 v9, vcc, 0, v11, vcc
	v_add_co_u32_e32 v3, vcc, v3, v7
	v_addc_co_u32_e32 v5, vcc, v5, v9, vcc
	v_mul_lo_u32 v7, s0, v5
	v_mul_hi_u32 v9, s0, v3
	v_add_u32_e32 v7, v9, v7
	v_mul_lo_u32 v9, s1, v3
	v_add_u32_e32 v7, v7, v9
	v_mul_lo_u32 v11, s0, v3
	v_mul_hi_u32 v13, v5, v11
	v_mul_lo_u32 v15, v5, v11
	v_mul_lo_u32 v20, v3, v7
	v_mul_hi_u32 v11, v3, v11
	v_mul_hi_u32 v17, v3, v7
	v_add_co_u32_e32 v11, vcc, v11, v20
	v_addc_co_u32_e32 v17, vcc, 0, v17, vcc
	v_add_co_u32_e32 v11, vcc, v11, v15
	v_mul_hi_u32 v9, v5, v7
	v_addc_co_u32_e32 v11, vcc, v17, v13, vcc
	v_addc_co_u32_e32 v9, vcc, 0, v9, vcc
	v_mul_lo_u32 v7, v5, v7
	v_add_co_u32_e32 v7, vcc, v11, v7
	v_addc_co_u32_e32 v9, vcc, 0, v9, vcc
	v_add_co_u32_e32 v3, vcc, v3, v7
	v_addc_co_u32_e32 v5, vcc, v5, v9, vcc
	v_ashrrev_i32_e32 v7, 31, v19
	v_add_co_u32_e32 v9, vcc, v18, v7
	v_xor_b32_e32 v9, v9, v7
	v_addc_co_u32_e32 v11, vcc, v19, v7, vcc
	v_mad_u64_u32 v[20:21], s[0:1], v9, v5, 0
	v_mul_hi_u32 v13, v9, v3
	v_xor_b32_e32 v11, v11, v7
	v_add_co_u32_e32 v13, vcc, v13, v20
	v_addc_co_u32_e32 v15, vcc, 0, v21, vcc
	v_mad_u64_u32 v[22:23], s[0:1], v11, v3, 0
	v_add_co_u32_e32 v3, vcc, v13, v22
	v_mad_u64_u32 v[20:21], s[0:1], v11, v5, 0
	v_addc_co_u32_e32 v3, vcc, v15, v23, vcc
	v_addc_co_u32_e32 v5, vcc, 0, v21, vcc
	v_add_co_u32_e32 v3, vcc, v3, v20
	v_addc_co_u32_e32 v5, vcc, 0, v5, vcc
	v_mul_lo_u32 v13, s37, v3
	v_mul_lo_u32 v15, s36, v5
	v_mad_u64_u32 v[20:21], s[0:1], s36, v3, 0
	v_add3_u32 v13, v21, v15, v13
	v_sub_u32_e32 v15, v11, v13
	v_mov_b32_e32 v17, s37
	v_sub_co_u32_e32 v9, vcc, v9, v20
	v_subb_co_u32_e64 v15, s[0:1], v15, v17, vcc
	v_subrev_co_u32_e64 v17, s[0:1], s36, v9
	v_subbrev_co_u32_e64 v15, s[0:1], 0, v15, s[0:1]
	v_cmp_le_u32_e64 s[0:1], s37, v15
	v_cndmask_b32_e64 v19, 0, -1, s[0:1]
	v_cmp_le_u32_e64 s[0:1], s36, v17
	v_cndmask_b32_e64 v17, 0, -1, s[0:1]
	v_cmp_eq_u32_e64 s[0:1], s37, v15
	v_cndmask_b32_e64 v15, v19, v17, s[0:1]
	v_add_co_u32_e64 v17, s[0:1], 2, v3
	v_subb_co_u32_e32 v11, vcc, v11, v13, vcc
	v_addc_co_u32_e64 v19, s[0:1], 0, v5, s[0:1]
	v_cmp_le_u32_e32 vcc, s37, v11
	v_add_co_u32_e64 v20, s[0:1], 1, v3
	v_cndmask_b32_e64 v13, 0, -1, vcc
	v_cmp_le_u32_e32 vcc, s36, v9
	v_addc_co_u32_e64 v21, s[0:1], 0, v5, s[0:1]
	v_cndmask_b32_e64 v9, 0, -1, vcc
	v_cmp_eq_u32_e32 vcc, s37, v11
	v_cmp_ne_u32_e64 s[0:1], 0, v15
	v_cndmask_b32_e32 v9, v13, v9, vcc
	v_cmp_ne_u32_e32 vcc, 0, v9
	v_cndmask_b32_e64 v9, v20, v17, s[0:1]
	v_cndmask_b32_e64 v15, v21, v19, s[0:1]
	v_cndmask_b32_e32 v3, v3, v9, vcc
	v_xor_b32_e32 v9, s35, v7
	v_xor_b32_e32 v7, s34, v7
	v_cndmask_b32_e32 v5, v5, v15, vcc
	v_xor_b32_e32 v3, v3, v7
	v_xor_b32_e32 v5, v5, v9
	v_sub_co_u32_e32 v20, vcc, v3, v7
	v_subb_co_u32_e32 v21, vcc, v5, v9, vcc
.LBB56_49:                              ;   in Loop: Header=BB56_23 Depth=2
	s_andn2_saveexec_b64 s[0:1], s[30:31]
	s_cbranch_execz .LBB56_51
; %bb.50:                               ;   in Loop: Header=BB56_23 Depth=2
	v_cvt_f32_u32_e32 v3, s16
	s_sub_i32 s27, 0, s16
	v_mov_b32_e32 v21, v2
	v_rcp_iflag_f32_e32 v3, v3
	v_mul_f32_e32 v3, 0x4f7ffffe, v3
	v_cvt_u32_f32_e32 v3, v3
	v_mul_lo_u32 v5, s27, v3
	v_mul_hi_u32 v5, v3, v5
	v_add_u32_e32 v3, v3, v5
	v_mul_hi_u32 v3, v18, v3
	v_mul_lo_u32 v5, v3, s16
	v_sub_u32_e32 v5, v18, v5
	v_add_u32_e32 v7, 1, v3
	v_subrev_u32_e32 v9, s16, v5
	v_cmp_le_u32_e32 vcc, s16, v5
	v_cndmask_b32_e32 v5, v5, v9, vcc
	v_cndmask_b32_e32 v3, v3, v7, vcc
	v_add_u32_e32 v7, 1, v3
	v_cmp_le_u32_e32 vcc, s16, v5
	v_cndmask_b32_e32 v20, v3, v7, vcc
.LBB56_51:                              ;   in Loop: Header=BB56_23 Depth=2
	s_or_b64 exec, exec, s[0:1]
	s_add_u32 s0, s43, s28
	s_mov_b32 s27, s17
	s_addc_u32 s1, s44, s29
	s_lshl_b64 s[28:29], s[26:27], 2
	s_add_u32 s30, s39, s28
	s_addc_u32 s31, s40, s29
	s_load_dword s27, s[30:31], 0x0
	s_load_dword s62, s[0:1], 0x0
                                        ; implicit-def: $vgpr22_vgpr23
	s_waitcnt lgkmcnt(0)
	s_ashr_i32 s0, s27, 31
	v_or_b32_e32 v3, s0, v21
	v_cmp_ne_u64_e32 vcc, 0, v[2:3]
	s_and_saveexec_b64 s[30:31], vcc
	s_xor_b64 s[30:31], exec, s[30:31]
	s_cbranch_execz .LBB56_53
; %bb.52:                               ;   in Loop: Header=BB56_23 Depth=2
	s_add_u32 s36, s27, s0
	s_mov_b32 s34, s0
	s_mov_b32 s35, s0
	s_addc_u32 s37, s0, s0
	s_xor_b64 s[36:37], s[36:37], s[34:35]
	v_cvt_f32_u32_e32 v3, s36
	v_cvt_f32_u32_e32 v5, s37
	s_sub_u32 s0, 0, s36
	s_subb_u32 s1, 0, s37
	v_mac_f32_e32 v3, 0x4f800000, v5
	v_rcp_f32_e32 v3, v3
	v_mul_f32_e32 v3, 0x5f7ffffc, v3
	v_mul_f32_e32 v5, 0x2f800000, v3
	v_trunc_f32_e32 v5, v5
	v_mac_f32_e32 v3, 0xcf800000, v5
	v_cvt_u32_f32_e32 v5, v5
	v_cvt_u32_f32_e32 v3, v3
	v_mul_lo_u32 v7, s0, v5
	v_mul_hi_u32 v11, s0, v3
	v_mul_lo_u32 v9, s1, v3
	v_add_u32_e32 v7, v11, v7
	v_mul_lo_u32 v13, s0, v3
	v_add_u32_e32 v7, v7, v9
	v_mul_lo_u32 v11, v3, v7
	v_mul_hi_u32 v15, v3, v13
	v_mul_hi_u32 v9, v3, v7
	v_add_co_u32_e32 v11, vcc, v15, v11
	v_addc_co_u32_e32 v9, vcc, 0, v9, vcc
	v_mul_hi_u32 v17, v5, v13
	v_mul_lo_u32 v13, v5, v13
	v_add_co_u32_e32 v11, vcc, v11, v13
	v_mul_hi_u32 v15, v5, v7
	v_addc_co_u32_e32 v9, vcc, v9, v17, vcc
	v_addc_co_u32_e32 v11, vcc, 0, v15, vcc
	v_mul_lo_u32 v7, v5, v7
	v_add_co_u32_e32 v7, vcc, v9, v7
	v_addc_co_u32_e32 v9, vcc, 0, v11, vcc
	v_add_co_u32_e32 v3, vcc, v3, v7
	v_addc_co_u32_e32 v5, vcc, v5, v9, vcc
	v_mul_lo_u32 v7, s0, v5
	v_mul_hi_u32 v9, s0, v3
	v_add_u32_e32 v7, v9, v7
	v_mul_lo_u32 v9, s1, v3
	v_add_u32_e32 v7, v7, v9
	v_mul_lo_u32 v11, s0, v3
	v_mul_hi_u32 v13, v5, v11
	v_mul_lo_u32 v15, v5, v11
	v_mul_lo_u32 v19, v3, v7
	v_mul_hi_u32 v11, v3, v11
	v_mul_hi_u32 v17, v3, v7
	v_add_co_u32_e32 v11, vcc, v11, v19
	v_addc_co_u32_e32 v17, vcc, 0, v17, vcc
	v_add_co_u32_e32 v11, vcc, v11, v15
	v_mul_hi_u32 v9, v5, v7
	v_addc_co_u32_e32 v11, vcc, v17, v13, vcc
	v_addc_co_u32_e32 v9, vcc, 0, v9, vcc
	v_mul_lo_u32 v7, v5, v7
	v_add_co_u32_e32 v7, vcc, v11, v7
	v_addc_co_u32_e32 v9, vcc, 0, v9, vcc
	v_add_co_u32_e32 v3, vcc, v3, v7
	v_addc_co_u32_e32 v5, vcc, v5, v9, vcc
	v_ashrrev_i32_e32 v7, 31, v21
	v_add_co_u32_e32 v9, vcc, v20, v7
	v_xor_b32_e32 v9, v9, v7
	v_addc_co_u32_e32 v11, vcc, v21, v7, vcc
	v_mad_u64_u32 v[22:23], s[0:1], v9, v5, 0
	v_mul_hi_u32 v13, v9, v3
	v_xor_b32_e32 v11, v11, v7
	v_add_co_u32_e32 v13, vcc, v13, v22
	v_addc_co_u32_e32 v15, vcc, 0, v23, vcc
	v_mad_u64_u32 v[28:29], s[0:1], v11, v3, 0
	v_add_co_u32_e32 v3, vcc, v13, v28
	v_mad_u64_u32 v[22:23], s[0:1], v11, v5, 0
	v_addc_co_u32_e32 v3, vcc, v15, v29, vcc
	v_addc_co_u32_e32 v5, vcc, 0, v23, vcc
	v_add_co_u32_e32 v3, vcc, v3, v22
	v_addc_co_u32_e32 v5, vcc, 0, v5, vcc
	v_mul_lo_u32 v13, s37, v3
	v_mul_lo_u32 v15, s36, v5
	v_mad_u64_u32 v[22:23], s[0:1], s36, v3, 0
	v_add3_u32 v13, v23, v15, v13
	v_sub_u32_e32 v15, v11, v13
	v_mov_b32_e32 v17, s37
	v_sub_co_u32_e32 v9, vcc, v9, v22
	v_subb_co_u32_e64 v15, s[0:1], v15, v17, vcc
	v_subrev_co_u32_e64 v17, s[0:1], s36, v9
	v_subbrev_co_u32_e64 v15, s[0:1], 0, v15, s[0:1]
	v_cmp_le_u32_e64 s[0:1], s37, v15
	v_cndmask_b32_e64 v19, 0, -1, s[0:1]
	v_cmp_le_u32_e64 s[0:1], s36, v17
	v_cndmask_b32_e64 v17, 0, -1, s[0:1]
	v_cmp_eq_u32_e64 s[0:1], s37, v15
	v_cndmask_b32_e64 v15, v19, v17, s[0:1]
	v_add_co_u32_e64 v17, s[0:1], 2, v3
	v_subb_co_u32_e32 v11, vcc, v11, v13, vcc
	v_addc_co_u32_e64 v19, s[0:1], 0, v5, s[0:1]
	v_cmp_le_u32_e32 vcc, s37, v11
	v_add_co_u32_e64 v21, s[0:1], 1, v3
	v_cndmask_b32_e64 v13, 0, -1, vcc
	v_cmp_le_u32_e32 vcc, s36, v9
	v_addc_co_u32_e64 v22, s[0:1], 0, v5, s[0:1]
	v_cndmask_b32_e64 v9, 0, -1, vcc
	v_cmp_eq_u32_e32 vcc, s37, v11
	v_cmp_ne_u32_e64 s[0:1], 0, v15
	v_cndmask_b32_e32 v9, v13, v9, vcc
	v_cmp_ne_u32_e32 vcc, 0, v9
	v_cndmask_b32_e64 v9, v21, v17, s[0:1]
	v_cndmask_b32_e64 v15, v22, v19, s[0:1]
	v_cndmask_b32_e32 v3, v3, v9, vcc
	v_xor_b32_e32 v9, s35, v7
	v_xor_b32_e32 v7, s34, v7
	v_cndmask_b32_e32 v5, v5, v15, vcc
	v_xor_b32_e32 v3, v3, v7
	v_xor_b32_e32 v5, v5, v9
	v_sub_co_u32_e32 v22, vcc, v3, v7
	v_subb_co_u32_e32 v23, vcc, v5, v9, vcc
.LBB56_53:                              ;   in Loop: Header=BB56_23 Depth=2
	s_andn2_saveexec_b64 s[0:1], s[30:31]
	s_cbranch_execz .LBB56_55
; %bb.54:                               ;   in Loop: Header=BB56_23 Depth=2
	v_cvt_f32_u32_e32 v3, s27
	s_sub_i32 s30, 0, s27
	v_mov_b32_e32 v23, v2
	v_rcp_iflag_f32_e32 v3, v3
	v_mul_f32_e32 v3, 0x4f7ffffe, v3
	v_cvt_u32_f32_e32 v3, v3
	v_mul_lo_u32 v5, s30, v3
	v_mul_hi_u32 v5, v3, v5
	v_add_u32_e32 v3, v3, v5
	v_mul_hi_u32 v3, v20, v3
	v_mul_lo_u32 v5, v3, s27
	v_sub_u32_e32 v5, v20, v5
	v_add_u32_e32 v7, 1, v3
	v_subrev_u32_e32 v9, s27, v5
	v_cmp_le_u32_e32 vcc, s27, v5
	v_cndmask_b32_e32 v5, v5, v9, vcc
	v_cndmask_b32_e32 v3, v3, v7, vcc
	v_add_u32_e32 v7, 1, v3
	v_cmp_le_u32_e32 vcc, s27, v5
	v_cndmask_b32_e32 v22, v3, v7, vcc
.LBB56_55:                              ;   in Loop: Header=BB56_23 Depth=2
	s_or_b64 exec, exec, s[0:1]
	v_mul_lo_u32 v3, v8, s50
	v_mul_lo_u32 v5, v10, s51
	v_sub_u32_e32 v3, v6, v3
	v_sub_u32_e32 v5, v8, v5
	v_mul_lo_u32 v3, s52, v3
	v_mul_lo_u32 v5, s54, v5
	v_add3_u32 v3, v3, v4, v5
	v_mul_lo_u32 v4, v12, s53
	v_mul_lo_u32 v5, v14, s55
	v_sub_u32_e32 v4, v10, v4
	v_sub_u32_e32 v5, v12, v5
	s_add_u32 s0, s43, s28
	v_mul_lo_u32 v4, s56, v4
	v_mul_lo_u32 v5, s58, v5
	s_addc_u32 s1, s44, s29
	v_add3_u32 v3, v4, v3, v5
	v_mul_lo_u32 v4, v16, s57
	v_mul_lo_u32 v5, v18, s59
	s_load_dword s0, s[0:1], 0x0
	v_sub_u32_e32 v4, v14, v4
	v_sub_u32_e32 v5, v16, v5
	v_mul_lo_u32 v4, s60, v4
	v_mul_lo_u32 v5, s61, v5
	v_add3_u32 v3, v4, v3, v5
	v_mul_lo_u32 v4, v20, s16
	v_mul_lo_u32 v5, v22, s27
	v_sub_u32_e32 v4, v18, v4
	v_sub_u32_e32 v5, v20, v5
	v_mul_lo_u32 v4, s62, v4
	s_waitcnt lgkmcnt(0)
	v_mul_lo_u32 v5, s0, v5
	s_add_i32 s26, s26, -8
	s_cmp_eq_u32 s26, -8
	v_add3_u32 v4, v4, v3, v5
	s_cbranch_scc1 .LBB56_57
; %bb.56:                               ;   in Loop: Header=BB56_23 Depth=2
	v_pk_mov_b32 v[6:7], v[22:23], v[22:23] op_sel:[0,1]
	s_branch .LBB56_23
.LBB56_57:                              ;   in Loop: Header=BB56_3 Depth=1
	s_load_dword s16, s[14:15], 0x0
	s_waitcnt lgkmcnt(0)
	v_cmp_gt_i32_e32 vcc, s16, v26
	s_and_b64 exec, exec, vcc
	s_cbranch_execz .LBB56_2
; %bb.58:                               ;   in Loop: Header=BB56_3 Depth=1
	v_ashrrev_i32_e32 v3, 31, v4
	v_mov_b32_e32 v5, s3
	v_add_co_u32_e32 v6, vcc, s2, v4
	v_addc_co_u32_e32 v7, vcc, v5, v3, vcc
	v_add_u32_e32 v3, 1, v26
	v_cmp_gt_i32_e32 vcc, s16, v3
	global_store_byte v[6:7], v2, off
	s_and_b64 exec, exec, vcc
	s_cbranch_execz .LBB56_2
; %bb.59:                               ;   in Loop: Header=BB56_3 Depth=1
	v_sub_u32_e32 v6, v3, v25
	v_ashrrev_i32_e32 v7, 31, v6
	v_cmp_gt_i64_e32 vcc, s[8:9], v[6:7]
	s_and_saveexec_b64 s[0:1], vcc
	s_cbranch_execz .LBB56_61
; %bb.60:                               ;   in Loop: Header=BB56_3 Depth=1
	v_add_u32_e32 v3, s49, v4
	v_ashrrev_i32_e32 v5, 31, v3
	v_mov_b32_e32 v7, s3
	v_add_co_u32_e32 v6, vcc, s2, v3
	v_addc_co_u32_e32 v7, vcc, v7, v5, vcc
	global_store_byte v[6:7], v2, off
.LBB56_61:                              ;   in Loop: Header=BB56_3 Depth=1
	s_or_b64 exec, exec, s[0:1]
	v_add_u32_e32 v3, 2, v26
	v_cmp_gt_i32_e32 vcc, s16, v3
	s_and_b64 exec, exec, vcc
	s_cbranch_execz .LBB56_2
; %bb.62:                               ;   in Loop: Header=BB56_3 Depth=1
	v_sub_u32_e32 v6, v3, v25
	v_ashrrev_i32_e32 v7, 31, v6
	v_cmp_gt_i64_e32 vcc, s[8:9], v[6:7]
	s_and_saveexec_b64 s[0:1], vcc
	s_cbranch_execz .LBB56_64
; %bb.63:                               ;   in Loop: Header=BB56_3 Depth=1
	v_lshl_add_u32 v3, s49, 1, v4
	v_ashrrev_i32_e32 v5, 31, v3
	v_mov_b32_e32 v7, s3
	v_add_co_u32_e32 v6, vcc, s2, v3
	v_addc_co_u32_e32 v7, vcc, v7, v5, vcc
	global_store_byte v[6:7], v2, off
.LBB56_64:                              ;   in Loop: Header=BB56_3 Depth=1
	s_or_b64 exec, exec, s[0:1]
	v_add_u32_e32 v3, 3, v26
	v_cmp_gt_i32_e32 vcc, s16, v3
	s_and_b64 exec, exec, vcc
	s_cbranch_execz .LBB56_2
; %bb.65:                               ;   in Loop: Header=BB56_3 Depth=1
	v_sub_u32_e32 v6, v3, v25
	v_ashrrev_i32_e32 v7, 31, v6
	v_cmp_gt_i64_e32 vcc, s[8:9], v[6:7]
	s_and_b64 exec, exec, vcc
	s_cbranch_execz .LBB56_2
; %bb.66:                               ;   in Loop: Header=BB56_3 Depth=1
	v_mad_u64_u32 v[4:5], s[0:1], s49, 3, v[4:5]
	v_ashrrev_i32_e32 v3, 31, v4
	v_mov_b32_e32 v5, s3
	v_add_co_u32_e32 v4, vcc, s2, v4
	v_addc_co_u32_e32 v5, vcc, v5, v3, vcc
	global_store_byte v[4:5], v2, off
	s_branch .LBB56_2
.LBB56_67:
	s_endpgm
	.section	.rodata,"a",@progbits
	.p2align	6, 0x0
	.amdhsa_kernel _ZN2at6native16triu_tril_kernelIaiLb1ELi4ELb1EEEvNS_4cuda6detail10TensorInfoIT_T0_EENS4_IKS5_S6_EEllS6_
		.amdhsa_group_segment_fixed_size 0
		.amdhsa_private_segment_fixed_size 0
		.amdhsa_kernarg_size 712
		.amdhsa_user_sgpr_count 6
		.amdhsa_user_sgpr_private_segment_buffer 1
		.amdhsa_user_sgpr_dispatch_ptr 0
		.amdhsa_user_sgpr_queue_ptr 0
		.amdhsa_user_sgpr_kernarg_segment_ptr 1
		.amdhsa_user_sgpr_dispatch_id 0
		.amdhsa_user_sgpr_flat_scratch_init 0
		.amdhsa_user_sgpr_kernarg_preload_length 0
		.amdhsa_user_sgpr_kernarg_preload_offset 0
		.amdhsa_user_sgpr_private_segment_size 0
		.amdhsa_uses_dynamic_stack 0
		.amdhsa_system_sgpr_private_segment_wavefront_offset 0
		.amdhsa_system_sgpr_workgroup_id_x 1
		.amdhsa_system_sgpr_workgroup_id_y 0
		.amdhsa_system_sgpr_workgroup_id_z 0
		.amdhsa_system_sgpr_workgroup_info 0
		.amdhsa_system_vgpr_workitem_id 0
		.amdhsa_next_free_vgpr 30
		.amdhsa_next_free_sgpr 63
		.amdhsa_accum_offset 32
		.amdhsa_reserve_vcc 1
		.amdhsa_reserve_flat_scratch 0
		.amdhsa_float_round_mode_32 0
		.amdhsa_float_round_mode_16_64 0
		.amdhsa_float_denorm_mode_32 3
		.amdhsa_float_denorm_mode_16_64 3
		.amdhsa_dx10_clamp 1
		.amdhsa_ieee_mode 1
		.amdhsa_fp16_overflow 0
		.amdhsa_tg_split 0
		.amdhsa_exception_fp_ieee_invalid_op 0
		.amdhsa_exception_fp_denorm_src 0
		.amdhsa_exception_fp_ieee_div_zero 0
		.amdhsa_exception_fp_ieee_overflow 0
		.amdhsa_exception_fp_ieee_underflow 0
		.amdhsa_exception_fp_ieee_inexact 0
		.amdhsa_exception_int_div_zero 0
	.end_amdhsa_kernel
	.section	.text._ZN2at6native16triu_tril_kernelIaiLb1ELi4ELb1EEEvNS_4cuda6detail10TensorInfoIT_T0_EENS4_IKS5_S6_EEllS6_,"axG",@progbits,_ZN2at6native16triu_tril_kernelIaiLb1ELi4ELb1EEEvNS_4cuda6detail10TensorInfoIT_T0_EENS4_IKS5_S6_EEllS6_,comdat
.Lfunc_end56:
	.size	_ZN2at6native16triu_tril_kernelIaiLb1ELi4ELb1EEEvNS_4cuda6detail10TensorInfoIT_T0_EENS4_IKS5_S6_EEllS6_, .Lfunc_end56-_ZN2at6native16triu_tril_kernelIaiLb1ELi4ELb1EEEvNS_4cuda6detail10TensorInfoIT_T0_EENS4_IKS5_S6_EEllS6_
                                        ; -- End function
	.section	.AMDGPU.csdata,"",@progbits
; Kernel info:
; codeLenInByte = 10240
; NumSgprs: 67
; NumVgprs: 30
; NumAgprs: 0
; TotalNumVgprs: 30
; ScratchSize: 0
; MemoryBound: 0
; FloatMode: 240
; IeeeMode: 1
; LDSByteSize: 0 bytes/workgroup (compile time only)
; SGPRBlocks: 8
; VGPRBlocks: 3
; NumSGPRsForWavesPerEU: 67
; NumVGPRsForWavesPerEU: 30
; AccumOffset: 32
; Occupancy: 8
; WaveLimiterHint : 0
; COMPUTE_PGM_RSRC2:SCRATCH_EN: 0
; COMPUTE_PGM_RSRC2:USER_SGPR: 6
; COMPUTE_PGM_RSRC2:TRAP_HANDLER: 0
; COMPUTE_PGM_RSRC2:TGID_X_EN: 1
; COMPUTE_PGM_RSRC2:TGID_Y_EN: 0
; COMPUTE_PGM_RSRC2:TGID_Z_EN: 0
; COMPUTE_PGM_RSRC2:TIDIG_COMP_CNT: 0
; COMPUTE_PGM_RSRC3_GFX90A:ACCUM_OFFSET: 7
; COMPUTE_PGM_RSRC3_GFX90A:TG_SPLIT: 0
	.section	.text._ZN2at6native16triu_tril_kernelIaiLb1ELi4ELb0EEEvNS_4cuda6detail10TensorInfoIT_T0_EENS4_IKS5_S6_EEllS6_,"axG",@progbits,_ZN2at6native16triu_tril_kernelIaiLb1ELi4ELb0EEEvNS_4cuda6detail10TensorInfoIT_T0_EENS4_IKS5_S6_EEllS6_,comdat
	.protected	_ZN2at6native16triu_tril_kernelIaiLb1ELi4ELb0EEEvNS_4cuda6detail10TensorInfoIT_T0_EENS4_IKS5_S6_EEllS6_ ; -- Begin function _ZN2at6native16triu_tril_kernelIaiLb1ELi4ELb0EEEvNS_4cuda6detail10TensorInfoIT_T0_EENS4_IKS5_S6_EEllS6_
	.globl	_ZN2at6native16triu_tril_kernelIaiLb1ELi4ELb0EEEvNS_4cuda6detail10TensorInfoIT_T0_EENS4_IKS5_S6_EEllS6_
	.p2align	8
	.type	_ZN2at6native16triu_tril_kernelIaiLb1ELi4ELb0EEEvNS_4cuda6detail10TensorInfoIT_T0_EENS4_IKS5_S6_EEllS6_,@function
_ZN2at6native16triu_tril_kernelIaiLb1ELi4ELb0EEEvNS_4cuda6detail10TensorInfoIT_T0_EENS4_IKS5_S6_EEllS6_: ; @_ZN2at6native16triu_tril_kernelIaiLb1ELi4ELb0EEEvNS_4cuda6detail10TensorInfoIT_T0_EENS4_IKS5_S6_EEllS6_
; %bb.0:
	s_load_dword s2, s[4:5], 0x1d4
	s_load_dwordx4 s[8:11], s[4:5], 0x1b0
	s_add_u32 s0, s4, 0x1c8
	v_mov_b32_e32 v2, 0
	s_addc_u32 s1, s5, 0
	s_waitcnt lgkmcnt(0)
	s_and_b32 s2, s2, 0xffff
	v_mov_b32_e32 v1, v2
	v_mov_b32_e32 v3, s6
	v_mad_u64_u32 v[0:1], s[6:7], s2, v3, v[0:1]
	v_lshlrev_b64 v[0:1], 2, v[0:1]
	s_mov_b32 s33, 0xffff
	v_cmp_gt_i64_e32 vcc, s[10:11], v[0:1]
	s_and_saveexec_b64 s[6:7], vcc
	s_cbranch_execz .LBB57_58
; %bb.1:
	s_load_dword s20, s[4:5], 0x1a8
	s_add_u32 s38, s4, 0xd8
	s_addc_u32 s39, s5, 0
	s_load_dword s3, s[0:1], 0x0
	s_load_dwordx2 s[6:7], s[4:5], 0xd8
	s_mov_b64 s[26:27], 0
	s_waitcnt lgkmcnt(0)
	s_ashr_i32 s21, s20, 31
	s_lshl_b64 s[0:1], s[20:21], 2
	s_add_u32 s18, s0, -8
	s_addc_u32 s19, s1, -1
	s_add_u32 s0, s38, s18
	s_addc_u32 s1, s39, s19
	s_load_dwordx2 s[12:13], s[0:1], 0x8
	s_load_dword s40, s[4:5], 0x1c0
	s_load_dwordx2 s[16:17], s[0:1], 0x6c
	s_mul_i32 s3, s3, s2
	v_cmp_gt_i64_e64 s[14:15], s[20:21], 2
	s_waitcnt lgkmcnt(0)
	s_ashr_i32 s41, s12, 31
	v_cvt_f32_u32_e32 v3, s40
	s_ashr_i32 s42, s40, 31
	s_add_u32 s43, s4, 0x6c
	s_addc_u32 s44, s5, 0
	v_rcp_iflag_f32_e32 v3, v3
	s_add_u32 s0, s43, s18
	s_addc_u32 s1, s44, s19
	s_load_dwordx2 s[18:19], s[0:1], 0x0
	v_mul_f32_e32 v3, 0x4f7ffffe, v3
	s_load_dwordx2 s[4:5], s[4:5], 0x0
	s_add_i32 s45, s20, -3
	s_lshl_b32 s46, s3, 2
	s_and_b32 s48, s20, 3
	v_cvt_u32_f32_e32 v22, v3
	s_cmp_lg_u32 s48, 2
	s_mov_b32 s21, 0
	s_cselect_b64 s[22:23], -1, 0
	s_cmp_gt_u32 s45, 2
	s_mov_b32 s47, s21
	s_cselect_b64 s[24:25], -1, 0
	s_ashr_i32 s49, s17, 31
	s_mov_b32 s50, s17
	s_waitcnt lgkmcnt(0)
	s_ashr_i32 s51, s19, 31
	s_mov_b32 s52, s19
	s_branch .LBB57_3
.LBB57_2:                               ;   in Loop: Header=BB57_3 Depth=1
	s_or_b64 exec, exec, s[0:1]
	v_mov_b32_e32 v3, s47
	v_add_co_u32_e32 v0, vcc, s46, v0
	v_addc_co_u32_e32 v1, vcc, v1, v3, vcc
	v_cmp_le_i64_e32 vcc, s[10:11], v[0:1]
	s_or_b64 s[26:27], vcc, s[26:27]
	s_andn2_b64 exec, exec, s[26:27]
	s_cbranch_execz .LBB57_58
.LBB57_3:                               ; =>This Loop Header: Depth=1
                                        ;     Child Loop BB57_37 Depth 2
                                        ;     Child Loop BB57_18 Depth 2
	v_or_b32_e32 v3, s42, v1
	v_cmp_ne_u64_e32 vcc, 0, v[2:3]
                                        ; implicit-def: $vgpr4_vgpr5
                                        ; implicit-def: $vgpr14_vgpr15
	s_and_saveexec_b64 s[0:1], vcc
	s_xor_b64 s[28:29], exec, s[0:1]
	s_cbranch_execz .LBB57_5
; %bb.4:                                ;   in Loop: Header=BB57_3 Depth=1
	s_add_u32 s0, s40, s42
	s_mov_b32 s2, s42
	s_mov_b32 s3, s42
	s_addc_u32 s1, s42, s42
	s_xor_b64 s[30:31], s[0:1], s[2:3]
	v_cvt_f32_u32_e32 v3, s30
	v_cvt_f32_u32_e32 v4, s31
	s_sub_u32 s0, 0, s30
	s_subb_u32 s1, 0, s31
	v_mac_f32_e32 v3, 0x4f800000, v4
	v_rcp_f32_e32 v3, v3
	v_mul_f32_e32 v3, 0x5f7ffffc, v3
	v_mul_f32_e32 v4, 0x2f800000, v3
	v_trunc_f32_e32 v4, v4
	v_mac_f32_e32 v3, 0xcf800000, v4
	v_cvt_u32_f32_e32 v4, v4
	v_cvt_u32_f32_e32 v3, v3
	v_mul_lo_u32 v5, s0, v4
	v_mul_hi_u32 v7, s0, v3
	v_mul_lo_u32 v6, s1, v3
	v_add_u32_e32 v5, v7, v5
	v_mul_lo_u32 v8, s0, v3
	v_add_u32_e32 v5, v5, v6
	v_mul_lo_u32 v7, v3, v5
	v_mul_hi_u32 v9, v3, v8
	v_mul_hi_u32 v6, v3, v5
	v_add_co_u32_e32 v7, vcc, v9, v7
	v_addc_co_u32_e32 v6, vcc, 0, v6, vcc
	v_mul_hi_u32 v10, v4, v8
	v_mul_lo_u32 v8, v4, v8
	v_add_co_u32_e32 v7, vcc, v7, v8
	v_mul_hi_u32 v9, v4, v5
	v_addc_co_u32_e32 v6, vcc, v6, v10, vcc
	v_addc_co_u32_e32 v7, vcc, 0, v9, vcc
	v_mul_lo_u32 v5, v4, v5
	v_add_co_u32_e32 v5, vcc, v6, v5
	v_addc_co_u32_e32 v6, vcc, 0, v7, vcc
	v_add_co_u32_e32 v3, vcc, v3, v5
	v_addc_co_u32_e32 v4, vcc, v4, v6, vcc
	v_mul_lo_u32 v5, s0, v4
	v_mul_hi_u32 v6, s0, v3
	v_add_u32_e32 v5, v6, v5
	v_mul_lo_u32 v6, s1, v3
	v_add_u32_e32 v5, v5, v6
	v_mul_lo_u32 v7, s0, v3
	v_mul_hi_u32 v8, v4, v7
	v_mul_lo_u32 v9, v4, v7
	v_mul_lo_u32 v11, v3, v5
	v_mul_hi_u32 v7, v3, v7
	v_mul_hi_u32 v10, v3, v5
	v_add_co_u32_e32 v7, vcc, v7, v11
	v_addc_co_u32_e32 v10, vcc, 0, v10, vcc
	v_add_co_u32_e32 v7, vcc, v7, v9
	v_mul_hi_u32 v6, v4, v5
	v_addc_co_u32_e32 v7, vcc, v10, v8, vcc
	v_addc_co_u32_e32 v6, vcc, 0, v6, vcc
	v_mul_lo_u32 v5, v4, v5
	v_add_co_u32_e32 v5, vcc, v7, v5
	v_addc_co_u32_e32 v6, vcc, 0, v6, vcc
	v_add_co_u32_e32 v3, vcc, v3, v5
	v_addc_co_u32_e32 v6, vcc, v4, v6, vcc
	v_ashrrev_i32_e32 v8, 31, v1
	v_add_co_u32_e32 v4, vcc, v0, v8
	v_addc_co_u32_e32 v5, vcc, v1, v8, vcc
	v_xor_b32_e32 v10, v4, v8
	v_xor_b32_e32 v9, v5, v8
	v_mad_u64_u32 v[4:5], s[0:1], v10, v6, 0
	v_mul_hi_u32 v7, v10, v3
	v_add_co_u32_e32 v11, vcc, v7, v4
	v_addc_co_u32_e32 v12, vcc, 0, v5, vcc
	v_mad_u64_u32 v[4:5], s[0:1], v9, v6, 0
	v_mad_u64_u32 v[6:7], s[0:1], v9, v3, 0
	v_add_co_u32_e32 v3, vcc, v11, v6
	v_addc_co_u32_e32 v3, vcc, v12, v7, vcc
	v_addc_co_u32_e32 v5, vcc, 0, v5, vcc
	v_add_co_u32_e32 v3, vcc, v3, v4
	v_addc_co_u32_e32 v6, vcc, 0, v5, vcc
	v_mul_lo_u32 v7, s31, v3
	v_mul_lo_u32 v11, s30, v6
	v_mad_u64_u32 v[4:5], s[0:1], s30, v3, 0
	v_add3_u32 v5, v5, v11, v7
	v_sub_u32_e32 v7, v9, v5
	v_mov_b32_e32 v11, s31
	v_sub_co_u32_e32 v4, vcc, v10, v4
	v_subb_co_u32_e64 v7, s[0:1], v7, v11, vcc
	v_subrev_co_u32_e64 v10, s[0:1], s30, v4
	v_subbrev_co_u32_e64 v7, s[0:1], 0, v7, s[0:1]
	v_cmp_le_u32_e64 s[0:1], s31, v7
	v_cndmask_b32_e64 v11, 0, -1, s[0:1]
	v_cmp_le_u32_e64 s[0:1], s30, v10
	v_cndmask_b32_e64 v12, 0, -1, s[0:1]
	v_cmp_eq_u32_e64 s[0:1], s31, v7
	v_cndmask_b32_e64 v7, v11, v12, s[0:1]
	v_add_co_u32_e64 v11, s[0:1], 2, v3
	v_addc_co_u32_e64 v12, s[0:1], 0, v6, s[0:1]
	v_add_co_u32_e64 v13, s[0:1], 1, v3
	v_subb_co_u32_e32 v5, vcc, v9, v5, vcc
	v_addc_co_u32_e64 v14, s[0:1], 0, v6, s[0:1]
	v_cmp_le_u32_e32 vcc, s31, v5
	v_cmp_ne_u32_e64 s[0:1], 0, v7
	v_cndmask_b32_e64 v9, 0, -1, vcc
	v_cmp_le_u32_e32 vcc, s30, v4
	v_cndmask_b32_e64 v7, v14, v12, s[0:1]
	v_cndmask_b32_e64 v12, 0, -1, vcc
	v_cmp_eq_u32_e32 vcc, s31, v5
	v_cndmask_b32_e32 v5, v9, v12, vcc
	v_cmp_ne_u32_e32 vcc, 0, v5
	v_cndmask_b32_e32 v5, v6, v7, vcc
	v_cndmask_b32_e64 v6, v13, v11, s[0:1]
	v_cndmask_b32_e32 v3, v3, v6, vcc
	v_xor_b32_e32 v7, s2, v8
	v_xor_b32_e32 v6, s3, v8
	;; [unrolled: 1-line block ×4, first 2 shown]
	v_sub_co_u32_e64 v14, s[2:3], v3, v7
	v_subb_co_u32_e64 v15, s[2:3], v5, v6, s[2:3]
	v_subrev_co_u32_e64 v3, s[2:3], s30, v10
	v_cndmask_b32_e64 v3, v10, v3, s[0:1]
	v_cndmask_b32_e32 v3, v4, v3, vcc
	v_xor_b32_e32 v3, v3, v8
	v_sub_co_u32_e32 v4, vcc, v3, v8
.LBB57_5:                               ;   in Loop: Header=BB57_3 Depth=1
	s_andn2_saveexec_b64 s[2:3], s[28:29]
	s_cbranch_execz .LBB57_7
; %bb.6:                                ;   in Loop: Header=BB57_3 Depth=1
	s_sub_i32 s0, 0, s40
	v_mul_lo_u32 v3, s0, v22
	v_mul_hi_u32 v3, v22, v3
	v_add_u32_e32 v3, v22, v3
	v_mul_hi_u32 v3, v0, v3
	v_mul_lo_u32 v4, v3, s40
	v_sub_u32_e32 v4, v0, v4
	v_subrev_u32_e32 v5, s40, v4
	v_cmp_le_u32_e32 vcc, s40, v4
	v_cndmask_b32_e32 v4, v4, v5, vcc
	v_subrev_u32_e32 v5, s40, v4
	v_cmp_le_u32_e64 s[0:1], s40, v4
	v_cndmask_b32_e64 v4, v4, v5, s[0:1]
	v_add_u32_e32 v5, 1, v3
	v_cndmask_b32_e32 v3, v3, v5, vcc
	v_add_u32_e32 v5, 1, v3
	v_cndmask_b32_e64 v14, v3, v5, s[0:1]
	v_mov_b32_e32 v15, v2
.LBB57_7:                               ;   in Loop: Header=BB57_3 Depth=1
	s_or_b64 exec, exec, s[2:3]
	v_or_b32_e32 v3, s41, v15
	v_cmp_ne_u64_e32 vcc, 0, v[2:3]
                                        ; implicit-def: $vgpr8_vgpr9
	s_and_saveexec_b64 s[0:1], vcc
	s_xor_b64 s[2:3], exec, s[0:1]
	s_cbranch_execz .LBB57_9
; %bb.8:                                ;   in Loop: Header=BB57_3 Depth=1
	s_add_u32 s28, s12, s41
	s_mov_b32 s0, s41
	s_mov_b32 s1, s41
	s_addc_u32 s29, s41, s41
	s_xor_b64 s[28:29], s[28:29], s[0:1]
	v_cvt_f32_u32_e32 v5, s28
	v_cvt_f32_u32_e32 v6, s29
	s_sub_u32 s0, 0, s28
	s_subb_u32 s1, 0, s29
	v_mac_f32_e32 v5, 0x4f800000, v6
	v_rcp_f32_e32 v5, v5
	v_mul_f32_e32 v5, 0x5f7ffffc, v5
	v_mul_f32_e32 v6, 0x2f800000, v5
	v_trunc_f32_e32 v6, v6
	v_mac_f32_e32 v5, 0xcf800000, v6
	v_cvt_u32_f32_e32 v6, v6
	v_cvt_u32_f32_e32 v5, v5
	v_mul_lo_u32 v7, s0, v6
	v_mul_hi_u32 v9, s0, v5
	v_mul_lo_u32 v8, s1, v5
	v_add_u32_e32 v7, v9, v7
	v_mul_lo_u32 v10, s0, v5
	v_add_u32_e32 v7, v7, v8
	v_mul_lo_u32 v9, v5, v7
	v_mul_hi_u32 v11, v5, v10
	v_mul_hi_u32 v8, v5, v7
	v_add_co_u32_e32 v9, vcc, v11, v9
	v_addc_co_u32_e32 v8, vcc, 0, v8, vcc
	v_mul_hi_u32 v12, v6, v10
	v_mul_lo_u32 v10, v6, v10
	v_add_co_u32_e32 v9, vcc, v9, v10
	v_mul_hi_u32 v11, v6, v7
	v_addc_co_u32_e32 v8, vcc, v8, v12, vcc
	v_addc_co_u32_e32 v9, vcc, 0, v11, vcc
	v_mul_lo_u32 v7, v6, v7
	v_add_co_u32_e32 v7, vcc, v8, v7
	v_addc_co_u32_e32 v8, vcc, 0, v9, vcc
	v_add_co_u32_e32 v5, vcc, v5, v7
	v_addc_co_u32_e32 v6, vcc, v6, v8, vcc
	v_mul_lo_u32 v7, s0, v6
	v_mul_hi_u32 v8, s0, v5
	v_add_u32_e32 v7, v8, v7
	v_mul_lo_u32 v8, s1, v5
	v_add_u32_e32 v7, v7, v8
	v_mul_lo_u32 v9, s0, v5
	v_mul_hi_u32 v10, v6, v9
	v_mul_lo_u32 v11, v6, v9
	v_mul_lo_u32 v13, v5, v7
	v_mul_hi_u32 v9, v5, v9
	v_mul_hi_u32 v12, v5, v7
	v_add_co_u32_e32 v9, vcc, v9, v13
	v_addc_co_u32_e32 v12, vcc, 0, v12, vcc
	v_add_co_u32_e32 v9, vcc, v9, v11
	v_mul_hi_u32 v8, v6, v7
	v_addc_co_u32_e32 v9, vcc, v12, v10, vcc
	v_addc_co_u32_e32 v8, vcc, 0, v8, vcc
	v_mul_lo_u32 v7, v6, v7
	v_add_co_u32_e32 v7, vcc, v9, v7
	v_addc_co_u32_e32 v8, vcc, 0, v8, vcc
	v_add_co_u32_e32 v5, vcc, v5, v7
	v_addc_co_u32_e32 v8, vcc, v6, v8, vcc
	v_ashrrev_i32_e32 v10, 31, v15
	v_add_co_u32_e32 v6, vcc, v14, v10
	v_addc_co_u32_e32 v7, vcc, v15, v10, vcc
	v_xor_b32_e32 v12, v6, v10
	v_xor_b32_e32 v11, v7, v10
	v_mad_u64_u32 v[6:7], s[0:1], v12, v8, 0
	v_mul_hi_u32 v9, v12, v5
	v_add_co_u32_e32 v13, vcc, v9, v6
	v_addc_co_u32_e32 v16, vcc, 0, v7, vcc
	v_mad_u64_u32 v[6:7], s[0:1], v11, v8, 0
	v_mad_u64_u32 v[8:9], s[0:1], v11, v5, 0
	v_add_co_u32_e32 v5, vcc, v13, v8
	v_addc_co_u32_e32 v5, vcc, v16, v9, vcc
	v_addc_co_u32_e32 v7, vcc, 0, v7, vcc
	v_add_co_u32_e32 v5, vcc, v5, v6
	v_addc_co_u32_e32 v6, vcc, 0, v7, vcc
	v_mul_lo_u32 v8, s29, v5
	v_mul_lo_u32 v9, s28, v6
	v_mad_u64_u32 v[6:7], s[0:1], s28, v5, 0
	v_add3_u32 v5, v7, v9, v8
	v_sub_u32_e32 v7, v11, v5
	v_mov_b32_e32 v8, s29
	v_sub_co_u32_e32 v6, vcc, v12, v6
	v_subb_co_u32_e64 v7, s[0:1], v7, v8, vcc
	v_subrev_co_u32_e64 v8, s[0:1], s28, v6
	v_subbrev_co_u32_e64 v7, s[0:1], 0, v7, s[0:1]
	v_cmp_le_u32_e64 s[0:1], s29, v7
	v_subb_co_u32_e32 v5, vcc, v11, v5, vcc
	v_cndmask_b32_e64 v9, 0, -1, s[0:1]
	v_cmp_le_u32_e64 s[0:1], s28, v8
	v_cmp_le_u32_e32 vcc, s29, v5
	v_cndmask_b32_e64 v12, 0, -1, s[0:1]
	v_cmp_eq_u32_e64 s[0:1], s29, v7
	v_cndmask_b32_e64 v11, 0, -1, vcc
	v_cmp_le_u32_e32 vcc, s28, v6
	v_cndmask_b32_e64 v7, v9, v12, s[0:1]
	v_cndmask_b32_e64 v12, 0, -1, vcc
	v_cmp_eq_u32_e32 vcc, s29, v5
	v_subrev_co_u32_e64 v9, s[0:1], s28, v8
	v_cndmask_b32_e32 v5, v11, v12, vcc
	v_cmp_ne_u32_e32 vcc, 0, v7
	v_cndmask_b32_e32 v7, v8, v9, vcc
	v_cmp_ne_u32_e32 vcc, 0, v5
	v_cndmask_b32_e32 v5, v6, v7, vcc
	v_xor_b32_e32 v5, v5, v10
	v_sub_co_u32_e32 v8, vcc, v5, v10
.LBB57_9:                               ;   in Loop: Header=BB57_3 Depth=1
	s_andn2_saveexec_b64 s[0:1], s[2:3]
	s_cbranch_execz .LBB57_11
; %bb.10:                               ;   in Loop: Header=BB57_3 Depth=1
	v_cvt_f32_u32_e32 v5, s12
	s_sub_i32 s2, 0, s12
	v_rcp_iflag_f32_e32 v5, v5
	v_mul_f32_e32 v5, 0x4f7ffffe, v5
	v_cvt_u32_f32_e32 v5, v5
	v_mul_lo_u32 v6, s2, v5
	v_mul_hi_u32 v6, v5, v6
	v_add_u32_e32 v5, v5, v6
	v_mul_hi_u32 v5, v14, v5
	v_mul_lo_u32 v5, v5, s12
	v_sub_u32_e32 v5, v14, v5
	v_subrev_u32_e32 v6, s12, v5
	v_cmp_le_u32_e32 vcc, s12, v5
	v_cndmask_b32_e32 v5, v5, v6, vcc
	v_subrev_u32_e32 v6, s12, v5
	v_cmp_le_u32_e32 vcc, s12, v5
	v_cndmask_b32_e32 v8, v5, v6, vcc
.LBB57_11:                              ;   in Loop: Header=BB57_3 Depth=1
	s_or_b64 exec, exec, s[0:1]
	v_mul_lo_u32 v6, s17, v4
	v_mad_u64_u32 v[10:11], s[0:1], s16, v8, v[6:7]
	v_mul_lo_u32 v6, s19, v4
	s_andn2_b64 vcc, exec, s[14:15]
	v_mad_u64_u32 v[6:7], s[0:1], s18, v8, v[6:7]
	s_cbranch_vccnz .LBB57_41
; %bb.12:                               ;   in Loop: Header=BB57_3 Depth=1
	v_cmp_ne_u64_e32 vcc, 0, v[2:3]
                                        ; implicit-def: $vgpr12_vgpr13
	s_and_saveexec_b64 s[0:1], vcc
	s_xor_b64 s[2:3], exec, s[0:1]
	s_cbranch_execz .LBB57_14
; %bb.13:                               ;   in Loop: Header=BB57_3 Depth=1
	s_add_u32 s0, s12, s41
	s_mov_b32 s28, s41
	s_mov_b32 s29, s41
	s_addc_u32 s1, s41, s41
	s_xor_b64 s[30:31], s[0:1], s[28:29]
	v_cvt_f32_u32_e32 v3, s30
	v_cvt_f32_u32_e32 v5, s31
	s_sub_u32 s0, 0, s30
	s_subb_u32 s1, 0, s31
	v_mac_f32_e32 v3, 0x4f800000, v5
	v_rcp_f32_e32 v3, v3
	v_mul_f32_e32 v3, 0x5f7ffffc, v3
	v_mul_f32_e32 v5, 0x2f800000, v3
	v_trunc_f32_e32 v5, v5
	v_mac_f32_e32 v3, 0xcf800000, v5
	v_cvt_u32_f32_e32 v5, v5
	v_cvt_u32_f32_e32 v3, v3
	v_mul_lo_u32 v7, s0, v5
	v_mul_hi_u32 v11, s0, v3
	v_mul_lo_u32 v9, s1, v3
	v_add_u32_e32 v7, v11, v7
	v_mul_lo_u32 v12, s0, v3
	v_add_u32_e32 v7, v7, v9
	v_mul_lo_u32 v11, v3, v7
	v_mul_hi_u32 v13, v3, v12
	v_mul_hi_u32 v9, v3, v7
	v_add_co_u32_e32 v11, vcc, v13, v11
	v_addc_co_u32_e32 v9, vcc, 0, v9, vcc
	v_mul_hi_u32 v16, v5, v12
	v_mul_lo_u32 v12, v5, v12
	v_add_co_u32_e32 v11, vcc, v11, v12
	v_mul_hi_u32 v13, v5, v7
	v_addc_co_u32_e32 v9, vcc, v9, v16, vcc
	v_addc_co_u32_e32 v11, vcc, 0, v13, vcc
	v_mul_lo_u32 v7, v5, v7
	v_add_co_u32_e32 v7, vcc, v9, v7
	v_addc_co_u32_e32 v9, vcc, 0, v11, vcc
	v_add_co_u32_e32 v3, vcc, v3, v7
	v_addc_co_u32_e32 v5, vcc, v5, v9, vcc
	v_mul_lo_u32 v7, s0, v5
	v_mul_hi_u32 v9, s0, v3
	v_add_u32_e32 v7, v9, v7
	v_mul_lo_u32 v9, s1, v3
	v_add_u32_e32 v7, v7, v9
	v_mul_lo_u32 v11, s0, v3
	v_mul_hi_u32 v12, v5, v11
	v_mul_lo_u32 v13, v5, v11
	v_mul_lo_u32 v17, v3, v7
	v_mul_hi_u32 v11, v3, v11
	v_mul_hi_u32 v16, v3, v7
	v_add_co_u32_e32 v11, vcc, v11, v17
	v_addc_co_u32_e32 v16, vcc, 0, v16, vcc
	v_add_co_u32_e32 v11, vcc, v11, v13
	v_mul_hi_u32 v9, v5, v7
	v_addc_co_u32_e32 v11, vcc, v16, v12, vcc
	v_addc_co_u32_e32 v9, vcc, 0, v9, vcc
	v_mul_lo_u32 v7, v5, v7
	v_add_co_u32_e32 v7, vcc, v11, v7
	v_addc_co_u32_e32 v9, vcc, 0, v9, vcc
	v_add_co_u32_e32 v3, vcc, v3, v7
	v_addc_co_u32_e32 v5, vcc, v5, v9, vcc
	v_ashrrev_i32_e32 v7, 31, v15
	v_add_co_u32_e32 v9, vcc, v14, v7
	v_xor_b32_e32 v9, v9, v7
	v_addc_co_u32_e32 v11, vcc, v15, v7, vcc
	v_mad_u64_u32 v[12:13], s[0:1], v9, v5, 0
	v_mul_hi_u32 v14, v9, v3
	v_xor_b32_e32 v11, v11, v7
	v_add_co_u32_e32 v16, vcc, v14, v12
	v_addc_co_u32_e32 v17, vcc, 0, v13, vcc
	v_mad_u64_u32 v[14:15], s[0:1], v11, v3, 0
	v_add_co_u32_e32 v3, vcc, v16, v14
	v_mad_u64_u32 v[12:13], s[0:1], v11, v5, 0
	v_addc_co_u32_e32 v3, vcc, v17, v15, vcc
	v_addc_co_u32_e32 v5, vcc, 0, v13, vcc
	v_add_co_u32_e32 v3, vcc, v3, v12
	v_addc_co_u32_e32 v5, vcc, 0, v5, vcc
	v_mul_lo_u32 v14, s31, v3
	v_mul_lo_u32 v15, s30, v5
	v_mad_u64_u32 v[12:13], s[0:1], s30, v3, 0
	v_add3_u32 v13, v13, v15, v14
	v_sub_u32_e32 v14, v11, v13
	v_mov_b32_e32 v15, s31
	v_sub_co_u32_e32 v9, vcc, v9, v12
	v_subb_co_u32_e64 v12, s[0:1], v14, v15, vcc
	v_subrev_co_u32_e64 v14, s[0:1], s30, v9
	v_subbrev_co_u32_e64 v12, s[0:1], 0, v12, s[0:1]
	v_cmp_le_u32_e64 s[0:1], s31, v12
	v_cndmask_b32_e64 v15, 0, -1, s[0:1]
	v_cmp_le_u32_e64 s[0:1], s30, v14
	v_cndmask_b32_e64 v14, 0, -1, s[0:1]
	v_cmp_eq_u32_e64 s[0:1], s31, v12
	v_cndmask_b32_e64 v12, v15, v14, s[0:1]
	v_add_co_u32_e64 v14, s[0:1], 2, v3
	v_subb_co_u32_e32 v11, vcc, v11, v13, vcc
	v_addc_co_u32_e64 v15, s[0:1], 0, v5, s[0:1]
	v_cmp_le_u32_e32 vcc, s31, v11
	v_add_co_u32_e64 v16, s[0:1], 1, v3
	v_cndmask_b32_e64 v13, 0, -1, vcc
	v_cmp_le_u32_e32 vcc, s30, v9
	v_addc_co_u32_e64 v17, s[0:1], 0, v5, s[0:1]
	v_cndmask_b32_e64 v9, 0, -1, vcc
	v_cmp_eq_u32_e32 vcc, s31, v11
	v_cmp_ne_u32_e64 s[0:1], 0, v12
	v_cndmask_b32_e32 v9, v13, v9, vcc
	v_cmp_ne_u32_e32 vcc, 0, v9
	v_cndmask_b32_e64 v9, v16, v14, s[0:1]
	v_cndmask_b32_e64 v12, v17, v15, s[0:1]
	v_cndmask_b32_e32 v3, v3, v9, vcc
	v_xor_b32_e32 v9, s29, v7
	v_xor_b32_e32 v7, s28, v7
	v_cndmask_b32_e32 v5, v5, v12, vcc
	v_xor_b32_e32 v3, v3, v7
	v_xor_b32_e32 v5, v5, v9
	v_sub_co_u32_e32 v12, vcc, v3, v7
	v_subb_co_u32_e32 v13, vcc, v5, v9, vcc
                                        ; implicit-def: $vgpr14_vgpr15
.LBB57_14:                              ;   in Loop: Header=BB57_3 Depth=1
	s_andn2_saveexec_b64 s[0:1], s[2:3]
	s_cbranch_execz .LBB57_16
; %bb.15:                               ;   in Loop: Header=BB57_3 Depth=1
	v_cvt_f32_u32_e32 v3, s12
	s_sub_i32 s2, 0, s12
	v_mov_b32_e32 v13, v2
	v_rcp_iflag_f32_e32 v3, v3
	v_mul_f32_e32 v3, 0x4f7ffffe, v3
	v_cvt_u32_f32_e32 v3, v3
	v_mul_lo_u32 v5, s2, v3
	v_mul_hi_u32 v5, v3, v5
	v_add_u32_e32 v3, v3, v5
	v_mul_hi_u32 v3, v14, v3
	v_mul_lo_u32 v5, v3, s12
	v_sub_u32_e32 v5, v14, v5
	v_add_u32_e32 v7, 1, v3
	v_subrev_u32_e32 v9, s12, v5
	v_cmp_le_u32_e32 vcc, s12, v5
	v_cndmask_b32_e32 v5, v5, v9, vcc
	v_cndmask_b32_e32 v3, v3, v7, vcc
	v_add_u32_e32 v7, 1, v3
	v_cmp_le_u32_e32 vcc, s12, v5
	v_cndmask_b32_e32 v12, v3, v7, vcc
.LBB57_16:                              ;   in Loop: Header=BB57_3 Depth=1
	s_or_b64 exec, exec, s[0:1]
	s_andn2_b64 vcc, exec, s[22:23]
	s_mov_b32 s53, 1
	s_mov_b32 s20, s45
	s_cbranch_vccz .LBB57_37
.LBB57_17:                              ;   in Loop: Header=BB57_3 Depth=1
	s_and_b64 vcc, exec, s[24:25]
	s_cbranch_vccz .LBB57_41
.LBB57_18:                              ;   Parent Loop BB57_3 Depth=1
                                        ; =>  This Inner Loop Header: Depth=2
	s_lshl_b64 s[2:3], s[20:21], 2
	s_add_u32 s28, s38, s2
	s_addc_u32 s29, s39, s3
	s_load_dword s53, s[28:29], 0x8
                                        ; implicit-def: $vgpr14_vgpr15
	s_waitcnt lgkmcnt(0)
	s_ashr_i32 s0, s53, 31
	v_or_b32_e32 v3, s0, v13
	v_cmp_ne_u64_e32 vcc, 0, v[2:3]
	s_and_saveexec_b64 s[30:31], vcc
	s_xor_b64 s[30:31], exec, s[30:31]
	s_cbranch_execz .LBB57_20
; %bb.19:                               ;   in Loop: Header=BB57_18 Depth=2
	s_add_u32 s36, s53, s0
	s_mov_b32 s34, s0
	s_mov_b32 s35, s0
	s_addc_u32 s37, s0, s0
	s_xor_b64 s[36:37], s[36:37], s[34:35]
	v_cvt_f32_u32_e32 v3, s36
	v_cvt_f32_u32_e32 v5, s37
	s_sub_u32 s0, 0, s36
	s_subb_u32 s1, 0, s37
	v_mac_f32_e32 v3, 0x4f800000, v5
	v_rcp_f32_e32 v3, v3
	v_mul_f32_e32 v3, 0x5f7ffffc, v3
	v_mul_f32_e32 v5, 0x2f800000, v3
	v_trunc_f32_e32 v5, v5
	v_mac_f32_e32 v3, 0xcf800000, v5
	v_cvt_u32_f32_e32 v5, v5
	v_cvt_u32_f32_e32 v3, v3
	v_mul_lo_u32 v7, s0, v5
	v_mul_hi_u32 v11, s0, v3
	v_mul_lo_u32 v9, s1, v3
	v_add_u32_e32 v7, v11, v7
	v_mul_lo_u32 v14, s0, v3
	v_add_u32_e32 v7, v7, v9
	v_mul_lo_u32 v11, v3, v7
	v_mul_hi_u32 v15, v3, v14
	v_mul_hi_u32 v9, v3, v7
	v_add_co_u32_e32 v11, vcc, v15, v11
	v_addc_co_u32_e32 v9, vcc, 0, v9, vcc
	v_mul_hi_u32 v16, v5, v14
	v_mul_lo_u32 v14, v5, v14
	v_add_co_u32_e32 v11, vcc, v11, v14
	v_mul_hi_u32 v15, v5, v7
	v_addc_co_u32_e32 v9, vcc, v9, v16, vcc
	v_addc_co_u32_e32 v11, vcc, 0, v15, vcc
	v_mul_lo_u32 v7, v5, v7
	v_add_co_u32_e32 v7, vcc, v9, v7
	v_addc_co_u32_e32 v9, vcc, 0, v11, vcc
	v_add_co_u32_e32 v3, vcc, v3, v7
	v_addc_co_u32_e32 v5, vcc, v5, v9, vcc
	v_mul_lo_u32 v7, s0, v5
	v_mul_hi_u32 v9, s0, v3
	v_add_u32_e32 v7, v9, v7
	v_mul_lo_u32 v9, s1, v3
	v_add_u32_e32 v7, v7, v9
	v_mul_lo_u32 v11, s0, v3
	v_mul_hi_u32 v14, v5, v11
	v_mul_lo_u32 v15, v5, v11
	v_mul_lo_u32 v17, v3, v7
	v_mul_hi_u32 v11, v3, v11
	v_mul_hi_u32 v16, v3, v7
	v_add_co_u32_e32 v11, vcc, v11, v17
	v_addc_co_u32_e32 v16, vcc, 0, v16, vcc
	v_add_co_u32_e32 v11, vcc, v11, v15
	v_mul_hi_u32 v9, v5, v7
	v_addc_co_u32_e32 v11, vcc, v16, v14, vcc
	v_addc_co_u32_e32 v9, vcc, 0, v9, vcc
	v_mul_lo_u32 v7, v5, v7
	v_add_co_u32_e32 v7, vcc, v11, v7
	v_addc_co_u32_e32 v9, vcc, 0, v9, vcc
	v_add_co_u32_e32 v3, vcc, v3, v7
	v_addc_co_u32_e32 v5, vcc, v5, v9, vcc
	v_ashrrev_i32_e32 v7, 31, v13
	v_add_co_u32_e32 v9, vcc, v12, v7
	v_xor_b32_e32 v9, v9, v7
	v_addc_co_u32_e32 v11, vcc, v13, v7, vcc
	v_mad_u64_u32 v[14:15], s[0:1], v9, v5, 0
	v_mul_hi_u32 v13, v9, v3
	v_xor_b32_e32 v11, v11, v7
	v_add_co_u32_e32 v13, vcc, v13, v14
	v_addc_co_u32_e32 v18, vcc, 0, v15, vcc
	v_mad_u64_u32 v[16:17], s[0:1], v11, v3, 0
	v_add_co_u32_e32 v3, vcc, v13, v16
	v_mad_u64_u32 v[14:15], s[0:1], v11, v5, 0
	v_addc_co_u32_e32 v3, vcc, v18, v17, vcc
	v_addc_co_u32_e32 v5, vcc, 0, v15, vcc
	v_add_co_u32_e32 v3, vcc, v3, v14
	v_addc_co_u32_e32 v5, vcc, 0, v5, vcc
	v_mul_lo_u32 v13, s37, v3
	v_mul_lo_u32 v16, s36, v5
	v_mad_u64_u32 v[14:15], s[0:1], s36, v3, 0
	v_add3_u32 v13, v15, v16, v13
	v_sub_u32_e32 v15, v11, v13
	v_mov_b32_e32 v16, s37
	v_sub_co_u32_e32 v9, vcc, v9, v14
	v_subb_co_u32_e64 v14, s[0:1], v15, v16, vcc
	v_subrev_co_u32_e64 v15, s[0:1], s36, v9
	v_subbrev_co_u32_e64 v14, s[0:1], 0, v14, s[0:1]
	v_cmp_le_u32_e64 s[0:1], s37, v14
	v_cndmask_b32_e64 v16, 0, -1, s[0:1]
	v_cmp_le_u32_e64 s[0:1], s36, v15
	v_cndmask_b32_e64 v15, 0, -1, s[0:1]
	v_cmp_eq_u32_e64 s[0:1], s37, v14
	v_cndmask_b32_e64 v14, v16, v15, s[0:1]
	v_add_co_u32_e64 v15, s[0:1], 2, v3
	v_subb_co_u32_e32 v11, vcc, v11, v13, vcc
	v_addc_co_u32_e64 v16, s[0:1], 0, v5, s[0:1]
	v_cmp_le_u32_e32 vcc, s37, v11
	v_add_co_u32_e64 v17, s[0:1], 1, v3
	v_cndmask_b32_e64 v13, 0, -1, vcc
	v_cmp_le_u32_e32 vcc, s36, v9
	v_addc_co_u32_e64 v18, s[0:1], 0, v5, s[0:1]
	v_cndmask_b32_e64 v9, 0, -1, vcc
	v_cmp_eq_u32_e32 vcc, s37, v11
	v_cmp_ne_u32_e64 s[0:1], 0, v14
	v_cndmask_b32_e32 v9, v13, v9, vcc
	v_cmp_ne_u32_e32 vcc, 0, v9
	v_cndmask_b32_e64 v9, v17, v15, s[0:1]
	v_cndmask_b32_e64 v14, v18, v16, s[0:1]
	v_cndmask_b32_e32 v3, v3, v9, vcc
	v_xor_b32_e32 v9, s35, v7
	v_xor_b32_e32 v7, s34, v7
	v_cndmask_b32_e32 v5, v5, v14, vcc
	v_xor_b32_e32 v3, v3, v7
	v_xor_b32_e32 v5, v5, v9
	v_sub_co_u32_e32 v14, vcc, v3, v7
	v_subb_co_u32_e32 v15, vcc, v5, v9, vcc
.LBB57_20:                              ;   in Loop: Header=BB57_18 Depth=2
	s_andn2_saveexec_b64 s[0:1], s[30:31]
	s_cbranch_execz .LBB57_22
; %bb.21:                               ;   in Loop: Header=BB57_18 Depth=2
	v_cvt_f32_u32_e32 v3, s53
	s_sub_i32 s30, 0, s53
	v_mov_b32_e32 v15, v2
	v_rcp_iflag_f32_e32 v3, v3
	v_mul_f32_e32 v3, 0x4f7ffffe, v3
	v_cvt_u32_f32_e32 v3, v3
	v_mul_lo_u32 v5, s30, v3
	v_mul_hi_u32 v5, v3, v5
	v_add_u32_e32 v3, v3, v5
	v_mul_hi_u32 v3, v12, v3
	v_mul_lo_u32 v5, v3, s53
	v_sub_u32_e32 v5, v12, v5
	v_add_u32_e32 v7, 1, v3
	v_subrev_u32_e32 v9, s53, v5
	v_cmp_le_u32_e32 vcc, s53, v5
	v_cndmask_b32_e32 v5, v5, v9, vcc
	v_cndmask_b32_e32 v3, v3, v7, vcc
	v_add_u32_e32 v7, 1, v3
	v_cmp_le_u32_e32 vcc, s53, v5
	v_cndmask_b32_e32 v14, v3, v7, vcc
.LBB57_22:                              ;   in Loop: Header=BB57_18 Depth=2
	s_or_b64 exec, exec, s[0:1]
	s_add_u32 s0, s43, s2
	s_addc_u32 s1, s44, s3
	s_add_i32 s2, s20, -1
	s_mov_b32 s3, s21
	s_lshl_b64 s[30:31], s[2:3], 2
	s_add_u32 s2, s38, s30
	s_addc_u32 s3, s39, s31
	s_load_dword s54, s[2:3], 0x8
	s_load_dword s55, s[28:29], 0x6c
	;; [unrolled: 1-line block ×3, first 2 shown]
                                        ; implicit-def: $vgpr16_vgpr17
	s_waitcnt lgkmcnt(0)
	s_ashr_i32 s0, s54, 31
	v_or_b32_e32 v3, s0, v15
	v_cmp_ne_u64_e32 vcc, 0, v[2:3]
	s_and_saveexec_b64 s[28:29], vcc
	s_xor_b64 s[28:29], exec, s[28:29]
	s_cbranch_execz .LBB57_24
; %bb.23:                               ;   in Loop: Header=BB57_18 Depth=2
	s_add_u32 s36, s54, s0
	s_mov_b32 s34, s0
	s_mov_b32 s35, s0
	s_addc_u32 s37, s0, s0
	s_xor_b64 s[36:37], s[36:37], s[34:35]
	v_cvt_f32_u32_e32 v3, s36
	v_cvt_f32_u32_e32 v5, s37
	s_sub_u32 s0, 0, s36
	s_subb_u32 s1, 0, s37
	v_mac_f32_e32 v3, 0x4f800000, v5
	v_rcp_f32_e32 v3, v3
	v_mul_f32_e32 v3, 0x5f7ffffc, v3
	v_mul_f32_e32 v5, 0x2f800000, v3
	v_trunc_f32_e32 v5, v5
	v_mac_f32_e32 v3, 0xcf800000, v5
	v_cvt_u32_f32_e32 v5, v5
	v_cvt_u32_f32_e32 v3, v3
	v_mul_lo_u32 v7, s0, v5
	v_mul_hi_u32 v11, s0, v3
	v_mul_lo_u32 v9, s1, v3
	v_add_u32_e32 v7, v11, v7
	v_mul_lo_u32 v13, s0, v3
	v_add_u32_e32 v7, v7, v9
	v_mul_lo_u32 v11, v3, v7
	v_mul_hi_u32 v16, v3, v13
	v_mul_hi_u32 v9, v3, v7
	v_add_co_u32_e32 v11, vcc, v16, v11
	v_addc_co_u32_e32 v9, vcc, 0, v9, vcc
	v_mul_hi_u32 v17, v5, v13
	v_mul_lo_u32 v13, v5, v13
	v_add_co_u32_e32 v11, vcc, v11, v13
	v_mul_hi_u32 v16, v5, v7
	v_addc_co_u32_e32 v9, vcc, v9, v17, vcc
	v_addc_co_u32_e32 v11, vcc, 0, v16, vcc
	v_mul_lo_u32 v7, v5, v7
	v_add_co_u32_e32 v7, vcc, v9, v7
	v_addc_co_u32_e32 v9, vcc, 0, v11, vcc
	v_add_co_u32_e32 v3, vcc, v3, v7
	v_addc_co_u32_e32 v5, vcc, v5, v9, vcc
	v_mul_lo_u32 v7, s0, v5
	v_mul_hi_u32 v9, s0, v3
	v_add_u32_e32 v7, v9, v7
	v_mul_lo_u32 v9, s1, v3
	v_add_u32_e32 v7, v7, v9
	v_mul_lo_u32 v11, s0, v3
	v_mul_hi_u32 v13, v5, v11
	v_mul_lo_u32 v16, v5, v11
	v_mul_lo_u32 v18, v3, v7
	v_mul_hi_u32 v11, v3, v11
	v_mul_hi_u32 v17, v3, v7
	v_add_co_u32_e32 v11, vcc, v11, v18
	v_addc_co_u32_e32 v17, vcc, 0, v17, vcc
	v_add_co_u32_e32 v11, vcc, v11, v16
	v_mul_hi_u32 v9, v5, v7
	v_addc_co_u32_e32 v11, vcc, v17, v13, vcc
	v_addc_co_u32_e32 v9, vcc, 0, v9, vcc
	v_mul_lo_u32 v7, v5, v7
	v_add_co_u32_e32 v7, vcc, v11, v7
	v_addc_co_u32_e32 v9, vcc, 0, v9, vcc
	v_add_co_u32_e32 v3, vcc, v3, v7
	v_addc_co_u32_e32 v5, vcc, v5, v9, vcc
	v_ashrrev_i32_e32 v7, 31, v15
	v_add_co_u32_e32 v9, vcc, v14, v7
	v_xor_b32_e32 v9, v9, v7
	v_addc_co_u32_e32 v11, vcc, v15, v7, vcc
	v_mad_u64_u32 v[16:17], s[0:1], v9, v5, 0
	v_mul_hi_u32 v13, v9, v3
	v_xor_b32_e32 v11, v11, v7
	v_add_co_u32_e32 v13, vcc, v13, v16
	v_addc_co_u32_e32 v15, vcc, 0, v17, vcc
	v_mad_u64_u32 v[18:19], s[0:1], v11, v3, 0
	v_add_co_u32_e32 v3, vcc, v13, v18
	v_mad_u64_u32 v[16:17], s[0:1], v11, v5, 0
	v_addc_co_u32_e32 v3, vcc, v15, v19, vcc
	v_addc_co_u32_e32 v5, vcc, 0, v17, vcc
	v_add_co_u32_e32 v3, vcc, v3, v16
	v_addc_co_u32_e32 v5, vcc, 0, v5, vcc
	v_mul_lo_u32 v13, s37, v3
	v_mul_lo_u32 v15, s36, v5
	v_mad_u64_u32 v[16:17], s[0:1], s36, v3, 0
	v_add3_u32 v13, v17, v15, v13
	v_sub_u32_e32 v15, v11, v13
	v_mov_b32_e32 v17, s37
	v_sub_co_u32_e32 v9, vcc, v9, v16
	v_subb_co_u32_e64 v15, s[0:1], v15, v17, vcc
	v_subrev_co_u32_e64 v16, s[0:1], s36, v9
	v_subbrev_co_u32_e64 v15, s[0:1], 0, v15, s[0:1]
	v_cmp_le_u32_e64 s[0:1], s37, v15
	v_cndmask_b32_e64 v17, 0, -1, s[0:1]
	v_cmp_le_u32_e64 s[0:1], s36, v16
	v_cndmask_b32_e64 v16, 0, -1, s[0:1]
	v_cmp_eq_u32_e64 s[0:1], s37, v15
	v_cndmask_b32_e64 v15, v17, v16, s[0:1]
	v_add_co_u32_e64 v16, s[0:1], 2, v3
	v_subb_co_u32_e32 v11, vcc, v11, v13, vcc
	v_addc_co_u32_e64 v17, s[0:1], 0, v5, s[0:1]
	v_cmp_le_u32_e32 vcc, s37, v11
	v_add_co_u32_e64 v18, s[0:1], 1, v3
	v_cndmask_b32_e64 v13, 0, -1, vcc
	v_cmp_le_u32_e32 vcc, s36, v9
	v_addc_co_u32_e64 v19, s[0:1], 0, v5, s[0:1]
	v_cndmask_b32_e64 v9, 0, -1, vcc
	v_cmp_eq_u32_e32 vcc, s37, v11
	v_cmp_ne_u32_e64 s[0:1], 0, v15
	v_cndmask_b32_e32 v9, v13, v9, vcc
	v_cmp_ne_u32_e32 vcc, 0, v9
	v_cndmask_b32_e64 v9, v18, v16, s[0:1]
	v_cndmask_b32_e64 v15, v19, v17, s[0:1]
	v_cndmask_b32_e32 v3, v3, v9, vcc
	v_xor_b32_e32 v9, s35, v7
	v_xor_b32_e32 v7, s34, v7
	v_cndmask_b32_e32 v5, v5, v15, vcc
	v_xor_b32_e32 v3, v3, v7
	v_xor_b32_e32 v5, v5, v9
	v_sub_co_u32_e32 v16, vcc, v3, v7
	v_subb_co_u32_e32 v17, vcc, v5, v9, vcc
.LBB57_24:                              ;   in Loop: Header=BB57_18 Depth=2
	s_andn2_saveexec_b64 s[0:1], s[28:29]
	s_cbranch_execz .LBB57_26
; %bb.25:                               ;   in Loop: Header=BB57_18 Depth=2
	v_cvt_f32_u32_e32 v3, s54
	s_sub_i32 s28, 0, s54
	v_mov_b32_e32 v17, v2
	v_rcp_iflag_f32_e32 v3, v3
	v_mul_f32_e32 v3, 0x4f7ffffe, v3
	v_cvt_u32_f32_e32 v3, v3
	v_mul_lo_u32 v5, s28, v3
	v_mul_hi_u32 v5, v3, v5
	v_add_u32_e32 v3, v3, v5
	v_mul_hi_u32 v3, v14, v3
	v_mul_lo_u32 v5, v3, s54
	v_sub_u32_e32 v5, v14, v5
	v_add_u32_e32 v7, 1, v3
	v_subrev_u32_e32 v9, s54, v5
	v_cmp_le_u32_e32 vcc, s54, v5
	v_cndmask_b32_e32 v5, v5, v9, vcc
	v_cndmask_b32_e32 v3, v3, v7, vcc
	v_add_u32_e32 v7, 1, v3
	v_cmp_le_u32_e32 vcc, s54, v5
	v_cndmask_b32_e32 v16, v3, v7, vcc
.LBB57_26:                              ;   in Loop: Header=BB57_18 Depth=2
	s_or_b64 exec, exec, s[0:1]
	s_add_u32 s0, s43, s30
	s_addc_u32 s1, s44, s31
	s_add_i32 s28, s20, -2
	s_mov_b32 s29, s21
	s_lshl_b64 s[28:29], s[28:29], 2
	s_add_u32 s30, s38, s28
	s_addc_u32 s31, s39, s29
	s_load_dword s57, s[30:31], 0x8
	s_load_dword s59, s[2:3], 0x6c
	;; [unrolled: 1-line block ×3, first 2 shown]
                                        ; implicit-def: $vgpr18_vgpr19
	s_waitcnt lgkmcnt(0)
	s_ashr_i32 s0, s57, 31
	v_or_b32_e32 v3, s0, v17
	v_cmp_ne_u64_e32 vcc, 0, v[2:3]
	s_and_saveexec_b64 s[2:3], vcc
	s_xor_b64 s[2:3], exec, s[2:3]
	s_cbranch_execz .LBB57_28
; %bb.27:                               ;   in Loop: Header=BB57_18 Depth=2
	s_add_u32 s36, s57, s0
	s_mov_b32 s34, s0
	s_mov_b32 s35, s0
	s_addc_u32 s37, s0, s0
	s_xor_b64 s[36:37], s[36:37], s[34:35]
	v_cvt_f32_u32_e32 v3, s36
	v_cvt_f32_u32_e32 v5, s37
	s_sub_u32 s0, 0, s36
	s_subb_u32 s1, 0, s37
	v_mac_f32_e32 v3, 0x4f800000, v5
	v_rcp_f32_e32 v3, v3
	v_mul_f32_e32 v3, 0x5f7ffffc, v3
	v_mul_f32_e32 v5, 0x2f800000, v3
	v_trunc_f32_e32 v5, v5
	v_mac_f32_e32 v3, 0xcf800000, v5
	v_cvt_u32_f32_e32 v5, v5
	v_cvt_u32_f32_e32 v3, v3
	v_mul_lo_u32 v7, s0, v5
	v_mul_hi_u32 v11, s0, v3
	v_mul_lo_u32 v9, s1, v3
	v_add_u32_e32 v7, v11, v7
	v_mul_lo_u32 v13, s0, v3
	v_add_u32_e32 v7, v7, v9
	v_mul_lo_u32 v11, v3, v7
	v_mul_hi_u32 v15, v3, v13
	v_mul_hi_u32 v9, v3, v7
	v_add_co_u32_e32 v11, vcc, v15, v11
	v_addc_co_u32_e32 v9, vcc, 0, v9, vcc
	v_mul_hi_u32 v18, v5, v13
	v_mul_lo_u32 v13, v5, v13
	v_add_co_u32_e32 v11, vcc, v11, v13
	v_mul_hi_u32 v15, v5, v7
	v_addc_co_u32_e32 v9, vcc, v9, v18, vcc
	v_addc_co_u32_e32 v11, vcc, 0, v15, vcc
	v_mul_lo_u32 v7, v5, v7
	v_add_co_u32_e32 v7, vcc, v9, v7
	v_addc_co_u32_e32 v9, vcc, 0, v11, vcc
	v_add_co_u32_e32 v3, vcc, v3, v7
	v_addc_co_u32_e32 v5, vcc, v5, v9, vcc
	v_mul_lo_u32 v7, s0, v5
	v_mul_hi_u32 v9, s0, v3
	v_add_u32_e32 v7, v9, v7
	v_mul_lo_u32 v9, s1, v3
	v_add_u32_e32 v7, v7, v9
	v_mul_lo_u32 v11, s0, v3
	v_mul_hi_u32 v13, v5, v11
	v_mul_lo_u32 v15, v5, v11
	v_mul_lo_u32 v19, v3, v7
	v_mul_hi_u32 v11, v3, v11
	v_mul_hi_u32 v18, v3, v7
	v_add_co_u32_e32 v11, vcc, v11, v19
	v_addc_co_u32_e32 v18, vcc, 0, v18, vcc
	v_add_co_u32_e32 v11, vcc, v11, v15
	v_mul_hi_u32 v9, v5, v7
	v_addc_co_u32_e32 v11, vcc, v18, v13, vcc
	v_addc_co_u32_e32 v9, vcc, 0, v9, vcc
	v_mul_lo_u32 v7, v5, v7
	v_add_co_u32_e32 v7, vcc, v11, v7
	v_addc_co_u32_e32 v9, vcc, 0, v9, vcc
	v_add_co_u32_e32 v3, vcc, v3, v7
	v_addc_co_u32_e32 v5, vcc, v5, v9, vcc
	v_ashrrev_i32_e32 v7, 31, v17
	v_add_co_u32_e32 v9, vcc, v16, v7
	v_xor_b32_e32 v9, v9, v7
	v_addc_co_u32_e32 v11, vcc, v17, v7, vcc
	v_mad_u64_u32 v[18:19], s[0:1], v9, v5, 0
	v_mul_hi_u32 v13, v9, v3
	v_xor_b32_e32 v11, v11, v7
	v_add_co_u32_e32 v13, vcc, v13, v18
	v_addc_co_u32_e32 v15, vcc, 0, v19, vcc
	v_mad_u64_u32 v[20:21], s[0:1], v11, v3, 0
	v_add_co_u32_e32 v3, vcc, v13, v20
	v_mad_u64_u32 v[18:19], s[0:1], v11, v5, 0
	v_addc_co_u32_e32 v3, vcc, v15, v21, vcc
	v_addc_co_u32_e32 v5, vcc, 0, v19, vcc
	v_add_co_u32_e32 v3, vcc, v3, v18
	v_addc_co_u32_e32 v5, vcc, 0, v5, vcc
	v_mul_lo_u32 v13, s37, v3
	v_mul_lo_u32 v15, s36, v5
	v_mad_u64_u32 v[18:19], s[0:1], s36, v3, 0
	v_add3_u32 v13, v19, v15, v13
	v_sub_u32_e32 v15, v11, v13
	v_mov_b32_e32 v17, s37
	v_sub_co_u32_e32 v9, vcc, v9, v18
	v_subb_co_u32_e64 v15, s[0:1], v15, v17, vcc
	v_subrev_co_u32_e64 v17, s[0:1], s36, v9
	v_subbrev_co_u32_e64 v15, s[0:1], 0, v15, s[0:1]
	v_cmp_le_u32_e64 s[0:1], s37, v15
	v_cndmask_b32_e64 v18, 0, -1, s[0:1]
	v_cmp_le_u32_e64 s[0:1], s36, v17
	v_cndmask_b32_e64 v17, 0, -1, s[0:1]
	v_cmp_eq_u32_e64 s[0:1], s37, v15
	v_cndmask_b32_e64 v15, v18, v17, s[0:1]
	v_add_co_u32_e64 v17, s[0:1], 2, v3
	v_subb_co_u32_e32 v11, vcc, v11, v13, vcc
	v_addc_co_u32_e64 v18, s[0:1], 0, v5, s[0:1]
	v_cmp_le_u32_e32 vcc, s37, v11
	v_add_co_u32_e64 v19, s[0:1], 1, v3
	v_cndmask_b32_e64 v13, 0, -1, vcc
	v_cmp_le_u32_e32 vcc, s36, v9
	v_addc_co_u32_e64 v20, s[0:1], 0, v5, s[0:1]
	v_cndmask_b32_e64 v9, 0, -1, vcc
	v_cmp_eq_u32_e32 vcc, s37, v11
	v_cmp_ne_u32_e64 s[0:1], 0, v15
	v_cndmask_b32_e32 v9, v13, v9, vcc
	v_cmp_ne_u32_e32 vcc, 0, v9
	v_cndmask_b32_e64 v9, v19, v17, s[0:1]
	v_cndmask_b32_e64 v15, v20, v18, s[0:1]
	v_cndmask_b32_e32 v3, v3, v9, vcc
	v_xor_b32_e32 v9, s35, v7
	v_xor_b32_e32 v7, s34, v7
	v_cndmask_b32_e32 v5, v5, v15, vcc
	v_xor_b32_e32 v3, v3, v7
	v_xor_b32_e32 v5, v5, v9
	v_sub_co_u32_e32 v18, vcc, v3, v7
	v_subb_co_u32_e32 v19, vcc, v5, v9, vcc
.LBB57_28:                              ;   in Loop: Header=BB57_18 Depth=2
	s_andn2_saveexec_b64 s[0:1], s[2:3]
	s_cbranch_execz .LBB57_30
; %bb.29:                               ;   in Loop: Header=BB57_18 Depth=2
	v_cvt_f32_u32_e32 v3, s57
	s_sub_i32 s2, 0, s57
	v_mov_b32_e32 v19, v2
	v_rcp_iflag_f32_e32 v3, v3
	v_mul_f32_e32 v3, 0x4f7ffffe, v3
	v_cvt_u32_f32_e32 v3, v3
	v_mul_lo_u32 v5, s2, v3
	v_mul_hi_u32 v5, v3, v5
	v_add_u32_e32 v3, v3, v5
	v_mul_hi_u32 v3, v16, v3
	v_mul_lo_u32 v5, v3, s57
	v_sub_u32_e32 v5, v16, v5
	v_add_u32_e32 v7, 1, v3
	v_subrev_u32_e32 v9, s57, v5
	v_cmp_le_u32_e32 vcc, s57, v5
	v_cndmask_b32_e32 v5, v5, v9, vcc
	v_cndmask_b32_e32 v3, v3, v7, vcc
	v_add_u32_e32 v7, 1, v3
	v_cmp_le_u32_e32 vcc, s57, v5
	v_cndmask_b32_e32 v18, v3, v7, vcc
.LBB57_30:                              ;   in Loop: Header=BB57_18 Depth=2
	s_or_b64 exec, exec, s[0:1]
	s_add_u32 s0, s43, s28
	s_addc_u32 s1, s44, s29
	s_add_i32 s2, s20, -3
	s_mov_b32 s3, s21
	s_lshl_b64 s[2:3], s[2:3], 2
	s_add_u32 s28, s38, s2
	s_addc_u32 s29, s39, s3
	s_load_dword s60, s[28:29], 0x8
	s_load_dword s61, s[30:31], 0x6c
	;; [unrolled: 1-line block ×3, first 2 shown]
                                        ; implicit-def: $vgpr20_vgpr21
	s_waitcnt lgkmcnt(0)
	s_ashr_i32 s0, s60, 31
	v_or_b32_e32 v3, s0, v19
	v_cmp_ne_u64_e32 vcc, 0, v[2:3]
	s_and_saveexec_b64 s[30:31], vcc
	s_xor_b64 s[30:31], exec, s[30:31]
	s_cbranch_execz .LBB57_32
; %bb.31:                               ;   in Loop: Header=BB57_18 Depth=2
	s_add_u32 s36, s60, s0
	s_mov_b32 s34, s0
	s_mov_b32 s35, s0
	s_addc_u32 s37, s0, s0
	s_xor_b64 s[36:37], s[36:37], s[34:35]
	v_cvt_f32_u32_e32 v3, s36
	v_cvt_f32_u32_e32 v5, s37
	s_sub_u32 s0, 0, s36
	s_subb_u32 s1, 0, s37
	v_mac_f32_e32 v3, 0x4f800000, v5
	v_rcp_f32_e32 v3, v3
	v_mul_f32_e32 v3, 0x5f7ffffc, v3
	v_mul_f32_e32 v5, 0x2f800000, v3
	v_trunc_f32_e32 v5, v5
	v_mac_f32_e32 v3, 0xcf800000, v5
	v_cvt_u32_f32_e32 v5, v5
	v_cvt_u32_f32_e32 v3, v3
	v_mul_lo_u32 v7, s0, v5
	v_mul_hi_u32 v11, s0, v3
	v_mul_lo_u32 v9, s1, v3
	v_add_u32_e32 v7, v11, v7
	v_mul_lo_u32 v13, s0, v3
	v_add_u32_e32 v7, v7, v9
	v_mul_lo_u32 v11, v3, v7
	v_mul_hi_u32 v15, v3, v13
	v_mul_hi_u32 v9, v3, v7
	v_add_co_u32_e32 v11, vcc, v15, v11
	v_addc_co_u32_e32 v9, vcc, 0, v9, vcc
	v_mul_hi_u32 v17, v5, v13
	v_mul_lo_u32 v13, v5, v13
	v_add_co_u32_e32 v11, vcc, v11, v13
	v_mul_hi_u32 v15, v5, v7
	v_addc_co_u32_e32 v9, vcc, v9, v17, vcc
	v_addc_co_u32_e32 v11, vcc, 0, v15, vcc
	v_mul_lo_u32 v7, v5, v7
	v_add_co_u32_e32 v7, vcc, v9, v7
	v_addc_co_u32_e32 v9, vcc, 0, v11, vcc
	v_add_co_u32_e32 v3, vcc, v3, v7
	v_addc_co_u32_e32 v5, vcc, v5, v9, vcc
	v_mul_lo_u32 v7, s0, v5
	v_mul_hi_u32 v9, s0, v3
	v_add_u32_e32 v7, v9, v7
	v_mul_lo_u32 v9, s1, v3
	v_add_u32_e32 v7, v7, v9
	v_mul_lo_u32 v11, s0, v3
	v_mul_hi_u32 v13, v5, v11
	v_mul_lo_u32 v15, v5, v11
	v_mul_lo_u32 v20, v3, v7
	v_mul_hi_u32 v11, v3, v11
	v_mul_hi_u32 v17, v3, v7
	v_add_co_u32_e32 v11, vcc, v11, v20
	v_addc_co_u32_e32 v17, vcc, 0, v17, vcc
	v_add_co_u32_e32 v11, vcc, v11, v15
	v_mul_hi_u32 v9, v5, v7
	v_addc_co_u32_e32 v11, vcc, v17, v13, vcc
	v_addc_co_u32_e32 v9, vcc, 0, v9, vcc
	v_mul_lo_u32 v7, v5, v7
	v_add_co_u32_e32 v7, vcc, v11, v7
	v_addc_co_u32_e32 v9, vcc, 0, v9, vcc
	v_add_co_u32_e32 v3, vcc, v3, v7
	v_addc_co_u32_e32 v5, vcc, v5, v9, vcc
	v_ashrrev_i32_e32 v7, 31, v19
	v_add_co_u32_e32 v9, vcc, v18, v7
	v_xor_b32_e32 v9, v9, v7
	v_addc_co_u32_e32 v11, vcc, v19, v7, vcc
	v_mad_u64_u32 v[20:21], s[0:1], v9, v5, 0
	v_mul_hi_u32 v13, v9, v3
	v_xor_b32_e32 v11, v11, v7
	v_add_co_u32_e32 v13, vcc, v13, v20
	v_addc_co_u32_e32 v15, vcc, 0, v21, vcc
	v_mad_u64_u32 v[24:25], s[0:1], v11, v3, 0
	v_add_co_u32_e32 v3, vcc, v13, v24
	v_mad_u64_u32 v[20:21], s[0:1], v11, v5, 0
	v_addc_co_u32_e32 v3, vcc, v15, v25, vcc
	v_addc_co_u32_e32 v5, vcc, 0, v21, vcc
	v_add_co_u32_e32 v3, vcc, v3, v20
	v_addc_co_u32_e32 v5, vcc, 0, v5, vcc
	v_mul_lo_u32 v13, s37, v3
	v_mul_lo_u32 v15, s36, v5
	v_mad_u64_u32 v[20:21], s[0:1], s36, v3, 0
	v_add3_u32 v13, v21, v15, v13
	v_sub_u32_e32 v15, v11, v13
	v_mov_b32_e32 v17, s37
	v_sub_co_u32_e32 v9, vcc, v9, v20
	v_subb_co_u32_e64 v15, s[0:1], v15, v17, vcc
	v_subrev_co_u32_e64 v17, s[0:1], s36, v9
	v_subbrev_co_u32_e64 v15, s[0:1], 0, v15, s[0:1]
	v_cmp_le_u32_e64 s[0:1], s37, v15
	v_cndmask_b32_e64 v19, 0, -1, s[0:1]
	v_cmp_le_u32_e64 s[0:1], s36, v17
	v_cndmask_b32_e64 v17, 0, -1, s[0:1]
	v_cmp_eq_u32_e64 s[0:1], s37, v15
	v_cndmask_b32_e64 v15, v19, v17, s[0:1]
	v_add_co_u32_e64 v17, s[0:1], 2, v3
	v_subb_co_u32_e32 v11, vcc, v11, v13, vcc
	v_addc_co_u32_e64 v19, s[0:1], 0, v5, s[0:1]
	v_cmp_le_u32_e32 vcc, s37, v11
	v_add_co_u32_e64 v20, s[0:1], 1, v3
	v_cndmask_b32_e64 v13, 0, -1, vcc
	v_cmp_le_u32_e32 vcc, s36, v9
	v_addc_co_u32_e64 v21, s[0:1], 0, v5, s[0:1]
	v_cndmask_b32_e64 v9, 0, -1, vcc
	v_cmp_eq_u32_e32 vcc, s37, v11
	v_cmp_ne_u32_e64 s[0:1], 0, v15
	v_cndmask_b32_e32 v9, v13, v9, vcc
	v_cmp_ne_u32_e32 vcc, 0, v9
	v_cndmask_b32_e64 v9, v20, v17, s[0:1]
	v_cndmask_b32_e64 v15, v21, v19, s[0:1]
	v_cndmask_b32_e32 v3, v3, v9, vcc
	v_xor_b32_e32 v9, s35, v7
	v_xor_b32_e32 v7, s34, v7
	v_cndmask_b32_e32 v5, v5, v15, vcc
	v_xor_b32_e32 v3, v3, v7
	v_xor_b32_e32 v5, v5, v9
	v_sub_co_u32_e32 v20, vcc, v3, v7
	v_subb_co_u32_e32 v21, vcc, v5, v9, vcc
.LBB57_32:                              ;   in Loop: Header=BB57_18 Depth=2
	s_andn2_saveexec_b64 s[0:1], s[30:31]
	s_cbranch_execz .LBB57_34
; %bb.33:                               ;   in Loop: Header=BB57_18 Depth=2
	v_cvt_f32_u32_e32 v3, s60
	s_sub_i32 s30, 0, s60
	v_mov_b32_e32 v21, v2
	v_rcp_iflag_f32_e32 v3, v3
	v_mul_f32_e32 v3, 0x4f7ffffe, v3
	v_cvt_u32_f32_e32 v3, v3
	v_mul_lo_u32 v5, s30, v3
	v_mul_hi_u32 v5, v3, v5
	v_add_u32_e32 v3, v3, v5
	v_mul_hi_u32 v3, v18, v3
	v_mul_lo_u32 v5, v3, s60
	v_sub_u32_e32 v5, v18, v5
	v_add_u32_e32 v7, 1, v3
	v_subrev_u32_e32 v9, s60, v5
	v_cmp_le_u32_e32 vcc, s60, v5
	v_cndmask_b32_e32 v5, v5, v9, vcc
	v_cndmask_b32_e32 v3, v3, v7, vcc
	v_add_u32_e32 v7, 1, v3
	v_cmp_le_u32_e32 vcc, s60, v5
	v_cndmask_b32_e32 v20, v3, v7, vcc
.LBB57_34:                              ;   in Loop: Header=BB57_18 Depth=2
	s_or_b64 exec, exec, s[0:1]
	s_add_u32 s0, s43, s2
	v_mul_lo_u32 v3, v14, s53
	v_mul_lo_u32 v7, v16, s54
	s_load_dword s2, s[28:29], 0x6c
	s_addc_u32 s1, s44, s3
	s_load_dword s0, s[0:1], 0x0
	v_sub_u32_e32 v3, v12, v3
	v_sub_u32_e32 v7, v14, v7
	v_mul_lo_u32 v5, s55, v3
	v_mul_lo_u32 v3, s56, v3
	;; [unrolled: 1-line block ×4, first 2 shown]
	v_add3_u32 v5, v5, v10, v9
	v_add3_u32 v3, v3, v6, v7
	v_mul_lo_u32 v6, v18, s57
	v_mul_lo_u32 v9, v20, s60
	v_sub_u32_e32 v6, v16, v6
	v_sub_u32_e32 v9, v18, v9
	v_mul_lo_u32 v7, s61, v6
	s_waitcnt lgkmcnt(0)
	v_mul_lo_u32 v10, s2, v9
	v_mul_lo_u32 v6, s62, v6
	v_add3_u32 v10, v7, v5, v10
	v_mul_lo_u32 v5, s0, v9
	s_add_i32 s20, s20, -4
	s_cmp_eq_u32 s20, -1
	v_add3_u32 v6, v6, v3, v5
	s_cbranch_scc1 .LBB57_41
; %bb.35:                               ;   in Loop: Header=BB57_18 Depth=2
	v_pk_mov_b32 v[12:13], v[20:21], v[20:21] op_sel:[0,1]
	s_branch .LBB57_18
.LBB57_36:                              ;   in Loop: Header=BB57_37 Depth=2
	s_or_b64 exec, exec, s[0:1]
	s_load_dword s28, s[28:29], 0x6c
	s_add_u32 s0, s43, s2
	s_addc_u32 s1, s44, s3
	s_load_dword s2, s[0:1], 0x0
	v_mul_lo_u32 v3, v12, s54
	v_sub_u32_e32 v3, v14, v3
	s_waitcnt lgkmcnt(0)
	v_mad_u64_u32 v[10:11], s[0:1], s28, v3, v[10:11]
	s_add_i32 s20, s20, -1
	s_xor_b32 s0, s48, s53
	s_add_i32 s53, s53, 1
	s_cmp_lg_u32 s0, 2
	v_mad_u64_u32 v[6:7], s[0:1], s2, v3, v[6:7]
	s_cbranch_scc0 .LBB57_17
.LBB57_37:                              ;   Parent Loop BB57_3 Depth=1
                                        ; =>  This Inner Loop Header: Depth=2
	s_lshl_b64 s[2:3], s[20:21], 2
	s_add_u32 s28, s38, s2
	s_addc_u32 s29, s39, s3
	s_load_dword s54, s[28:29], 0x8
	v_pk_mov_b32 v[14:15], v[12:13], v[12:13] op_sel:[0,1]
                                        ; implicit-def: $vgpr12_vgpr13
	s_waitcnt lgkmcnt(0)
	s_ashr_i32 s0, s54, 31
	v_or_b32_e32 v3, s0, v15
	v_cmp_ne_u64_e32 vcc, 0, v[2:3]
	s_and_saveexec_b64 s[30:31], vcc
	s_xor_b64 s[30:31], exec, s[30:31]
	s_cbranch_execz .LBB57_39
; %bb.38:                               ;   in Loop: Header=BB57_37 Depth=2
	s_add_u32 s36, s54, s0
	s_mov_b32 s34, s0
	s_mov_b32 s35, s0
	s_addc_u32 s37, s0, s0
	s_xor_b64 s[36:37], s[36:37], s[34:35]
	v_cvt_f32_u32_e32 v3, s36
	v_cvt_f32_u32_e32 v5, s37
	s_sub_u32 s0, 0, s36
	s_subb_u32 s1, 0, s37
	v_mac_f32_e32 v3, 0x4f800000, v5
	v_rcp_f32_e32 v3, v3
	v_mul_f32_e32 v3, 0x5f7ffffc, v3
	v_mul_f32_e32 v5, 0x2f800000, v3
	v_trunc_f32_e32 v5, v5
	v_mac_f32_e32 v3, 0xcf800000, v5
	v_cvt_u32_f32_e32 v5, v5
	v_cvt_u32_f32_e32 v3, v3
	v_mul_lo_u32 v7, s0, v5
	v_mul_hi_u32 v11, s0, v3
	v_mul_lo_u32 v9, s1, v3
	v_add_u32_e32 v7, v11, v7
	v_mul_lo_u32 v12, s0, v3
	v_add_u32_e32 v7, v7, v9
	v_mul_lo_u32 v11, v3, v7
	v_mul_hi_u32 v13, v3, v12
	v_mul_hi_u32 v9, v3, v7
	v_add_co_u32_e32 v11, vcc, v13, v11
	v_addc_co_u32_e32 v9, vcc, 0, v9, vcc
	v_mul_hi_u32 v16, v5, v12
	v_mul_lo_u32 v12, v5, v12
	v_add_co_u32_e32 v11, vcc, v11, v12
	v_mul_hi_u32 v13, v5, v7
	v_addc_co_u32_e32 v9, vcc, v9, v16, vcc
	v_addc_co_u32_e32 v11, vcc, 0, v13, vcc
	v_mul_lo_u32 v7, v5, v7
	v_add_co_u32_e32 v7, vcc, v9, v7
	v_addc_co_u32_e32 v9, vcc, 0, v11, vcc
	v_add_co_u32_e32 v3, vcc, v3, v7
	v_addc_co_u32_e32 v5, vcc, v5, v9, vcc
	v_mul_lo_u32 v7, s0, v5
	v_mul_hi_u32 v9, s0, v3
	v_add_u32_e32 v7, v9, v7
	v_mul_lo_u32 v9, s1, v3
	v_add_u32_e32 v7, v7, v9
	v_mul_lo_u32 v11, s0, v3
	v_mul_hi_u32 v12, v5, v11
	v_mul_lo_u32 v13, v5, v11
	v_mul_lo_u32 v17, v3, v7
	v_mul_hi_u32 v11, v3, v11
	v_mul_hi_u32 v16, v3, v7
	v_add_co_u32_e32 v11, vcc, v11, v17
	v_addc_co_u32_e32 v16, vcc, 0, v16, vcc
	v_add_co_u32_e32 v11, vcc, v11, v13
	v_mul_hi_u32 v9, v5, v7
	v_addc_co_u32_e32 v11, vcc, v16, v12, vcc
	v_addc_co_u32_e32 v9, vcc, 0, v9, vcc
	v_mul_lo_u32 v7, v5, v7
	v_add_co_u32_e32 v7, vcc, v11, v7
	v_addc_co_u32_e32 v9, vcc, 0, v9, vcc
	v_add_co_u32_e32 v3, vcc, v3, v7
	v_addc_co_u32_e32 v5, vcc, v5, v9, vcc
	v_ashrrev_i32_e32 v7, 31, v15
	v_add_co_u32_e32 v9, vcc, v14, v7
	v_xor_b32_e32 v9, v9, v7
	v_addc_co_u32_e32 v11, vcc, v15, v7, vcc
	v_mad_u64_u32 v[12:13], s[0:1], v9, v5, 0
	v_mul_hi_u32 v15, v9, v3
	v_xor_b32_e32 v11, v11, v7
	v_add_co_u32_e32 v15, vcc, v15, v12
	v_addc_co_u32_e32 v18, vcc, 0, v13, vcc
	v_mad_u64_u32 v[16:17], s[0:1], v11, v3, 0
	v_add_co_u32_e32 v3, vcc, v15, v16
	v_mad_u64_u32 v[12:13], s[0:1], v11, v5, 0
	v_addc_co_u32_e32 v3, vcc, v18, v17, vcc
	v_addc_co_u32_e32 v5, vcc, 0, v13, vcc
	v_add_co_u32_e32 v3, vcc, v3, v12
	v_addc_co_u32_e32 v5, vcc, 0, v5, vcc
	v_mul_lo_u32 v15, s37, v3
	v_mul_lo_u32 v16, s36, v5
	v_mad_u64_u32 v[12:13], s[0:1], s36, v3, 0
	v_add3_u32 v13, v13, v16, v15
	v_sub_u32_e32 v15, v11, v13
	v_mov_b32_e32 v16, s37
	v_sub_co_u32_e32 v9, vcc, v9, v12
	v_subb_co_u32_e64 v12, s[0:1], v15, v16, vcc
	v_subrev_co_u32_e64 v15, s[0:1], s36, v9
	v_subbrev_co_u32_e64 v12, s[0:1], 0, v12, s[0:1]
	v_cmp_le_u32_e64 s[0:1], s37, v12
	v_cndmask_b32_e64 v16, 0, -1, s[0:1]
	v_cmp_le_u32_e64 s[0:1], s36, v15
	v_cndmask_b32_e64 v15, 0, -1, s[0:1]
	v_cmp_eq_u32_e64 s[0:1], s37, v12
	v_cndmask_b32_e64 v12, v16, v15, s[0:1]
	v_add_co_u32_e64 v15, s[0:1], 2, v3
	v_subb_co_u32_e32 v11, vcc, v11, v13, vcc
	v_addc_co_u32_e64 v16, s[0:1], 0, v5, s[0:1]
	v_cmp_le_u32_e32 vcc, s37, v11
	v_add_co_u32_e64 v17, s[0:1], 1, v3
	v_cndmask_b32_e64 v13, 0, -1, vcc
	v_cmp_le_u32_e32 vcc, s36, v9
	v_addc_co_u32_e64 v18, s[0:1], 0, v5, s[0:1]
	v_cndmask_b32_e64 v9, 0, -1, vcc
	v_cmp_eq_u32_e32 vcc, s37, v11
	v_cmp_ne_u32_e64 s[0:1], 0, v12
	v_cndmask_b32_e32 v9, v13, v9, vcc
	v_cmp_ne_u32_e32 vcc, 0, v9
	v_cndmask_b32_e64 v9, v17, v15, s[0:1]
	v_cndmask_b32_e64 v12, v18, v16, s[0:1]
	v_cndmask_b32_e32 v3, v3, v9, vcc
	v_xor_b32_e32 v9, s35, v7
	v_xor_b32_e32 v7, s34, v7
	v_cndmask_b32_e32 v5, v5, v12, vcc
	v_xor_b32_e32 v3, v3, v7
	v_xor_b32_e32 v5, v5, v9
	v_sub_co_u32_e32 v12, vcc, v3, v7
	v_subb_co_u32_e32 v13, vcc, v5, v9, vcc
.LBB57_39:                              ;   in Loop: Header=BB57_37 Depth=2
	s_andn2_saveexec_b64 s[0:1], s[30:31]
	s_cbranch_execz .LBB57_36
; %bb.40:                               ;   in Loop: Header=BB57_37 Depth=2
	v_cvt_f32_u32_e32 v3, s54
	s_sub_i32 s30, 0, s54
	v_mov_b32_e32 v13, v2
	v_rcp_iflag_f32_e32 v3, v3
	v_mul_f32_e32 v3, 0x4f7ffffe, v3
	v_cvt_u32_f32_e32 v3, v3
	v_mul_lo_u32 v5, s30, v3
	v_mul_hi_u32 v5, v3, v5
	v_add_u32_e32 v3, v3, v5
	v_mul_hi_u32 v3, v14, v3
	v_mul_lo_u32 v5, v3, s54
	v_sub_u32_e32 v5, v14, v5
	v_add_u32_e32 v7, 1, v3
	v_subrev_u32_e32 v9, s54, v5
	v_cmp_le_u32_e32 vcc, s54, v5
	v_cndmask_b32_e32 v5, v5, v9, vcc
	v_cndmask_b32_e32 v3, v3, v7, vcc
	v_add_u32_e32 v7, 1, v3
	v_cmp_le_u32_e32 vcc, s54, v5
	v_cndmask_b32_e32 v12, v3, v7, vcc
	s_branch .LBB57_36
.LBB57_41:                              ;   in Loop: Header=BB57_3 Depth=1
	v_mov_b32_e32 v3, v4
	v_sub_u32_e32 v4, v4, v8
	v_add_u32_e32 v4, 4, v4
	v_ashrrev_i32_e32 v5, 31, v4
	v_cmp_le_i64_e32 vcc, s[8:9], v[4:5]
                                        ; implicit-def: $vgpr7
	s_and_saveexec_b64 s[0:1], vcc
	s_xor_b64 s[0:1], exec, s[0:1]
	s_cbranch_execnz .LBB57_44
; %bb.42:                               ;   in Loop: Header=BB57_3 Depth=1
	s_andn2_saveexec_b64 s[0:1], s[0:1]
	s_cbranch_execnz .LBB57_53
.LBB57_43:                              ;   in Loop: Header=BB57_3 Depth=1
	s_or_b64 exec, exec, s[0:1]
	v_cmp_gt_i32_e32 vcc, s13, v3
	s_and_saveexec_b64 s[0:1], vcc
	s_cbranch_execz .LBB57_2
	s_branch .LBB57_54
.LBB57_44:                              ;   in Loop: Header=BB57_3 Depth=1
	v_cmp_gt_i32_e32 vcc, s13, v3
	v_mov_b32_e32 v7, 0
	s_and_saveexec_b64 s[2:3], vcc
	s_cbranch_execz .LBB57_52
; %bb.45:                               ;   in Loop: Header=BB57_3 Depth=1
	v_ashrrev_i32_e32 v5, 31, v10
	v_mov_b32_e32 v7, s7
	v_add_co_u32_e32 v4, vcc, s6, v10
	v_addc_co_u32_e32 v5, vcc, v7, v5, vcc
	global_load_ubyte v7, v[4:5], off
	v_add_u32_e32 v9, 1, v3
	v_cmp_gt_i32_e32 vcc, s13, v9
	s_and_saveexec_b64 s[28:29], vcc
	s_xor_b64 s[28:29], exec, s[28:29]
	s_cbranch_execz .LBB57_51
; %bb.46:                               ;   in Loop: Header=BB57_3 Depth=1
	v_mov_b32_e32 v9, s49
	v_add_co_u32_e32 v4, vcc, s50, v4
	v_addc_co_u32_e32 v5, vcc, v5, v9, vcc
	global_load_ubyte v4, v[4:5], off
	v_add_u32_e32 v5, 2, v3
	v_cmp_gt_i32_e32 vcc, s13, v5
	s_waitcnt vmcnt(0)
	v_lshlrev_b16_e32 v4, 8, v4
	v_or_b32_e32 v4, v7, v4
	v_and_b32_e32 v7, 0xffff, v4
	s_and_saveexec_b64 s[30:31], vcc
	s_xor_b64 s[30:31], exec, s[30:31]
	s_cbranch_execz .LBB57_50
; %bb.47:                               ;   in Loop: Header=BB57_3 Depth=1
	s_add_i32 s20, s50, s50
	v_add_u32_e32 v4, s20, v10
	v_ashrrev_i32_e32 v5, 31, v4
	v_mov_b32_e32 v9, s7
	v_add_co_u32_e32 v10, vcc, s6, v4
	v_addc_co_u32_e32 v11, vcc, v9, v5, vcc
	global_load_ubyte v5, v[10:11], off
	v_add_u32_e32 v9, 3, v3
	v_cmp_gt_i32_e32 vcc, s13, v9
	s_waitcnt vmcnt(0)
	v_lshl_or_b32 v7, v5, 16, v7
	s_and_saveexec_b64 s[34:35], vcc
	s_xor_b64 s[34:35], exec, s[34:35]
	s_cbranch_execz .LBB57_49
; %bb.48:                               ;   in Loop: Header=BB57_3 Depth=1
	v_add_u32_e32 v4, s50, v4
	v_ashrrev_i32_e32 v5, 31, v4
	v_mov_b32_e32 v9, s7
	v_add_co_u32_e32 v4, vcc, s6, v4
	v_addc_co_u32_e32 v5, vcc, v9, v5, vcc
	global_load_ubyte v4, v[4:5], off
	s_waitcnt vmcnt(0)
	v_lshlrev_b16_e32 v4, 8, v4
	v_or_b32_sdwa v4, v7, v4 dst_sel:WORD_1 dst_unused:UNUSED_PAD src0_sel:WORD_1 src1_sel:DWORD
	v_and_or_b32 v7, v7, s33, v4
.LBB57_49:                              ;   in Loop: Header=BB57_3 Depth=1
	s_or_b64 exec, exec, s[34:35]
.LBB57_50:                              ;   in Loop: Header=BB57_3 Depth=1
	s_or_b64 exec, exec, s[30:31]
.LBB57_51:                              ;   in Loop: Header=BB57_3 Depth=1
	s_or_b64 exec, exec, s[28:29]
.LBB57_52:                              ;   in Loop: Header=BB57_3 Depth=1
	s_or_b64 exec, exec, s[2:3]
	v_sub_u32_e32 v4, v3, v8
	v_ashrrev_i32_e32 v5, 31, v4
	v_add_u32_e32 v8, 1, v4
	v_cmp_le_i64_e32 vcc, s[8:9], v[4:5]
	v_ashrrev_i32_e32 v9, 31, v8
	s_waitcnt vmcnt(0)
	v_cndmask_b32_e32 v11, 0, v7, vcc
	v_cmp_le_i64_e32 vcc, s[8:9], v[8:9]
	v_add_u32_e32 v8, 2, v4
	v_lshrrev_b32_e32 v5, 8, v7
	v_ashrrev_i32_e32 v9, 31, v8
	v_add_u32_e32 v4, 3, v4
	v_lshrrev_b32_e32 v10, 16, v7
	v_cndmask_b32_e32 v12, 0, v5, vcc
	v_cmp_le_i64_e32 vcc, s[8:9], v[8:9]
	v_ashrrev_i32_e32 v5, 31, v4
	v_cndmask_b32_e32 v8, 0, v10, vcc
	v_lshrrev_b32_e32 v7, 24, v7
	v_cmp_le_i64_e32 vcc, s[8:9], v[4:5]
	v_cndmask_b32_e32 v4, 0, v7, vcc
	v_lshlrev_b16_e32 v5, 8, v12
	v_lshlrev_b16_e32 v4, 8, v4
	v_or_b32_sdwa v5, v11, v5 dst_sel:DWORD dst_unused:UNUSED_PAD src0_sel:BYTE_0 src1_sel:DWORD
	v_or_b32_sdwa v4, v8, v4 dst_sel:WORD_1 dst_unused:UNUSED_PAD src0_sel:BYTE_0 src1_sel:DWORD
	v_or_b32_sdwa v7, v5, v4 dst_sel:DWORD dst_unused:UNUSED_PAD src0_sel:WORD_0 src1_sel:DWORD
	s_andn2_saveexec_b64 s[0:1], s[0:1]
	s_cbranch_execz .LBB57_43
.LBB57_53:                              ;   in Loop: Header=BB57_3 Depth=1
	v_mov_b32_e32 v7, 0
	s_or_b64 exec, exec, s[0:1]
	v_cmp_gt_i32_e32 vcc, s13, v3
	s_and_saveexec_b64 s[0:1], vcc
	s_cbranch_execz .LBB57_2
.LBB57_54:                              ;   in Loop: Header=BB57_3 Depth=1
	v_ashrrev_i32_e32 v5, 31, v6
	v_mov_b32_e32 v8, s5
	v_add_co_u32_e32 v4, vcc, s4, v6
	v_addc_co_u32_e32 v5, vcc, v8, v5, vcc
	v_add_u32_e32 v8, 1, v3
	v_cmp_gt_i32_e32 vcc, s13, v8
	global_store_byte v[4:5], v7, off
	s_and_saveexec_b64 s[2:3], vcc
	s_xor_b64 s[2:3], exec, s[2:3]
	s_cbranch_execz .LBB57_2
; %bb.55:                               ;   in Loop: Header=BB57_3 Depth=1
	v_mov_b32_e32 v9, s51
	v_add_co_u32_e32 v4, vcc, s52, v4
	v_lshrrev_b32_e32 v8, 8, v7
	v_addc_co_u32_e32 v5, vcc, v5, v9, vcc
	global_store_byte v[4:5], v8, off
	v_add_u32_e32 v4, 2, v3
	v_cmp_gt_i32_e32 vcc, s13, v4
	s_and_saveexec_b64 s[2:3], vcc
	s_xor_b64 s[2:3], exec, s[2:3]
	s_cbranch_execz .LBB57_2
; %bb.56:                               ;   in Loop: Header=BB57_3 Depth=1
	s_add_i32 s2, s52, s52
	v_add_u32_e32 v4, s2, v6
	v_ashrrev_i32_e32 v5, 31, v4
	v_mov_b32_e32 v6, s5
	v_add_co_u32_e32 v8, vcc, s4, v4
	v_addc_co_u32_e32 v9, vcc, v6, v5, vcc
	v_add_u32_e32 v3, 3, v3
	v_cmp_gt_i32_e32 vcc, s13, v3
	global_store_byte_d16_hi v[8:9], v7, off
	s_and_saveexec_b64 s[2:3], vcc
	s_xor_b64 s[2:3], exec, s[2:3]
	s_cbranch_execz .LBB57_2
; %bb.57:                               ;   in Loop: Header=BB57_3 Depth=1
	v_add_u32_e32 v4, s52, v4
	v_ashrrev_i32_e32 v5, 31, v4
	v_mov_b32_e32 v6, s5
	v_add_co_u32_e32 v4, vcc, s4, v4
	v_lshrrev_b32_e32 v3, 24, v7
	v_addc_co_u32_e32 v5, vcc, v6, v5, vcc
	global_store_byte v[4:5], v3, off
	s_branch .LBB57_2
.LBB57_58:
	s_endpgm
	.section	.rodata,"a",@progbits
	.p2align	6, 0x0
	.amdhsa_kernel _ZN2at6native16triu_tril_kernelIaiLb1ELi4ELb0EEEvNS_4cuda6detail10TensorInfoIT_T0_EENS4_IKS5_S6_EEllS6_
		.amdhsa_group_segment_fixed_size 0
		.amdhsa_private_segment_fixed_size 0
		.amdhsa_kernarg_size 712
		.amdhsa_user_sgpr_count 6
		.amdhsa_user_sgpr_private_segment_buffer 1
		.amdhsa_user_sgpr_dispatch_ptr 0
		.amdhsa_user_sgpr_queue_ptr 0
		.amdhsa_user_sgpr_kernarg_segment_ptr 1
		.amdhsa_user_sgpr_dispatch_id 0
		.amdhsa_user_sgpr_flat_scratch_init 0
		.amdhsa_user_sgpr_kernarg_preload_length 0
		.amdhsa_user_sgpr_kernarg_preload_offset 0
		.amdhsa_user_sgpr_private_segment_size 0
		.amdhsa_uses_dynamic_stack 0
		.amdhsa_system_sgpr_private_segment_wavefront_offset 0
		.amdhsa_system_sgpr_workgroup_id_x 1
		.amdhsa_system_sgpr_workgroup_id_y 0
		.amdhsa_system_sgpr_workgroup_id_z 0
		.amdhsa_system_sgpr_workgroup_info 0
		.amdhsa_system_vgpr_workitem_id 0
		.amdhsa_next_free_vgpr 26
		.amdhsa_next_free_sgpr 63
		.amdhsa_accum_offset 28
		.amdhsa_reserve_vcc 1
		.amdhsa_reserve_flat_scratch 0
		.amdhsa_float_round_mode_32 0
		.amdhsa_float_round_mode_16_64 0
		.amdhsa_float_denorm_mode_32 3
		.amdhsa_float_denorm_mode_16_64 3
		.amdhsa_dx10_clamp 1
		.amdhsa_ieee_mode 1
		.amdhsa_fp16_overflow 0
		.amdhsa_tg_split 0
		.amdhsa_exception_fp_ieee_invalid_op 0
		.amdhsa_exception_fp_denorm_src 0
		.amdhsa_exception_fp_ieee_div_zero 0
		.amdhsa_exception_fp_ieee_overflow 0
		.amdhsa_exception_fp_ieee_underflow 0
		.amdhsa_exception_fp_ieee_inexact 0
		.amdhsa_exception_int_div_zero 0
	.end_amdhsa_kernel
	.section	.text._ZN2at6native16triu_tril_kernelIaiLb1ELi4ELb0EEEvNS_4cuda6detail10TensorInfoIT_T0_EENS4_IKS5_S6_EEllS6_,"axG",@progbits,_ZN2at6native16triu_tril_kernelIaiLb1ELi4ELb0EEEvNS_4cuda6detail10TensorInfoIT_T0_EENS4_IKS5_S6_EEllS6_,comdat
.Lfunc_end57:
	.size	_ZN2at6native16triu_tril_kernelIaiLb1ELi4ELb0EEEvNS_4cuda6detail10TensorInfoIT_T0_EENS4_IKS5_S6_EEllS6_, .Lfunc_end57-_ZN2at6native16triu_tril_kernelIaiLb1ELi4ELb0EEEvNS_4cuda6detail10TensorInfoIT_T0_EENS4_IKS5_S6_EEllS6_
                                        ; -- End function
	.section	.AMDGPU.csdata,"",@progbits
; Kernel info:
; codeLenInByte = 7960
; NumSgprs: 67
; NumVgprs: 26
; NumAgprs: 0
; TotalNumVgprs: 26
; ScratchSize: 0
; MemoryBound: 0
; FloatMode: 240
; IeeeMode: 1
; LDSByteSize: 0 bytes/workgroup (compile time only)
; SGPRBlocks: 8
; VGPRBlocks: 3
; NumSGPRsForWavesPerEU: 67
; NumVGPRsForWavesPerEU: 26
; AccumOffset: 28
; Occupancy: 8
; WaveLimiterHint : 0
; COMPUTE_PGM_RSRC2:SCRATCH_EN: 0
; COMPUTE_PGM_RSRC2:USER_SGPR: 6
; COMPUTE_PGM_RSRC2:TRAP_HANDLER: 0
; COMPUTE_PGM_RSRC2:TGID_X_EN: 1
; COMPUTE_PGM_RSRC2:TGID_Y_EN: 0
; COMPUTE_PGM_RSRC2:TGID_Z_EN: 0
; COMPUTE_PGM_RSRC2:TIDIG_COMP_CNT: 0
; COMPUTE_PGM_RSRC3_GFX90A:ACCUM_OFFSET: 6
; COMPUTE_PGM_RSRC3_GFX90A:TG_SPLIT: 0
	.section	.text._ZN2at6native16triu_tril_kernelIalLb1ELi4ELb1EEEvNS_4cuda6detail10TensorInfoIT_T0_EENS4_IKS5_S6_EEllS6_,"axG",@progbits,_ZN2at6native16triu_tril_kernelIalLb1ELi4ELb1EEEvNS_4cuda6detail10TensorInfoIT_T0_EENS4_IKS5_S6_EEllS6_,comdat
	.protected	_ZN2at6native16triu_tril_kernelIalLb1ELi4ELb1EEEvNS_4cuda6detail10TensorInfoIT_T0_EENS4_IKS5_S6_EEllS6_ ; -- Begin function _ZN2at6native16triu_tril_kernelIalLb1ELi4ELb1EEEvNS_4cuda6detail10TensorInfoIT_T0_EENS4_IKS5_S6_EEllS6_
	.globl	_ZN2at6native16triu_tril_kernelIalLb1ELi4ELb1EEEvNS_4cuda6detail10TensorInfoIT_T0_EENS4_IKS5_S6_EEllS6_
	.p2align	8
	.type	_ZN2at6native16triu_tril_kernelIalLb1ELi4ELb1EEEvNS_4cuda6detail10TensorInfoIT_T0_EENS4_IKS5_S6_EEllS6_,@function
_ZN2at6native16triu_tril_kernelIalLb1ELi4ELb1EEEvNS_4cuda6detail10TensorInfoIT_T0_EENS4_IKS5_S6_EEllS6_: ; @_ZN2at6native16triu_tril_kernelIalLb1ELi4ELb1EEEvNS_4cuda6detail10TensorInfoIT_T0_EENS4_IKS5_S6_EEllS6_
; %bb.0:
	s_load_dword s2, s[4:5], 0x364
	s_load_dwordx4 s[8:11], s[4:5], 0x340
	s_add_u32 s0, s4, 0x358
	v_mov_b32_e32 v2, 0
	s_addc_u32 s1, s5, 0
	s_waitcnt lgkmcnt(0)
	s_and_b32 s12, s2, 0xffff
	v_mov_b32_e32 v1, v2
	v_mov_b32_e32 v3, s6
	v_mad_u64_u32 v[0:1], s[2:3], s12, v3, v[0:1]
	v_lshlrev_b64 v[0:1], 2, v[0:1]
	v_cmp_gt_i64_e32 vcc, s[10:11], v[0:1]
	s_and_saveexec_b64 s[2:3], vcc
	s_cbranch_execz .LBB58_27
; %bb.1:
	s_load_dword s13, s[0:1], 0x0
	s_load_dword s18, s[4:5], 0x338
	s_load_dwordx2 s[2:3], s[4:5], 0x350
	s_load_dwordx2 s[6:7], s[4:5], 0x0
	s_mov_b32 s48, 0
	s_waitcnt lgkmcnt(0)
	s_mul_i32 s20, s13, s12
	s_ashr_i32 s19, s18, 31
	s_add_u32 s24, s4, 0x1a8
	s_addc_u32 s25, s5, 0
	s_lshl_b64 s[0:1], s[18:19], 3
	s_add_u32 s16, s0, -16
	s_addc_u32 s17, s1, -1
	s_add_u32 s14, s24, s16
	s_addc_u32 s15, s25, s17
	v_cmp_gt_i64_e64 s[12:13], s[18:19], 2
	s_add_u32 s19, s0, -8
	s_addc_u32 s21, s1, -1
	s_add_u32 s26, s4, 0xd0
	s_addc_u32 s27, s5, 0
	s_add_u32 s4, s26, s19
	v_cvt_f32_u32_e32 v3, s2
	s_addc_u32 s5, s27, s21
	s_add_u32 s16, s26, s16
	s_addc_u32 s17, s27, s17
	s_add_i32 s0, s18, -3
	s_ashr_i32 s1, s0, 31
	v_rcp_iflag_f32_e32 v3, v3
	s_add_u32 s18, s24, s19
	s_addc_u32 s19, s25, s21
	s_lshl_b32 s33, s20, 2
	s_lshl_b64 s[22:23], s[0:1], 3
	s_add_u32 s20, s26, s22
	s_load_dwordx2 s[14:15], s[14:15], 0x0
	s_addc_u32 s21, s27, s23
	v_mul_f32_e32 v3, 0x4f7ffffe, v3
	s_add_u32 s22, s24, s22
	v_cvt_u32_f32_e32 v12, v3
	s_addc_u32 s23, s25, s23
	s_add_u32 s24, s0, 1
	s_addc_u32 s25, s1, 0
	s_mov_b64 s[26:27], 0
	s_branch .LBB58_3
.LBB58_2:                               ;   in Loop: Header=BB58_3 Depth=1
	s_or_b64 exec, exec, s[28:29]
	v_mov_b32_e32 v3, s48
	v_add_co_u32_e32 v0, vcc, s33, v0
	v_addc_co_u32_e32 v1, vcc, v1, v3, vcc
	v_cmp_le_i64_e32 vcc, s[10:11], v[0:1]
	s_or_b64 s[26:27], vcc, s[26:27]
	s_andn2_b64 exec, exec, s[26:27]
	s_cbranch_execz .LBB58_27
.LBB58_3:                               ; =>This Loop Header: Depth=1
                                        ;     Child Loop BB58_23 Depth 2
	v_or_b32_e32 v3, s3, v1
	v_cmp_ne_u64_e32 vcc, 0, v[2:3]
                                        ; implicit-def: $vgpr8_vgpr9
	s_and_saveexec_b64 s[0:1], vcc
	s_xor_b64 s[28:29], exec, s[0:1]
	s_cbranch_execz .LBB58_5
; %bb.4:                                ;   in Loop: Header=BB58_3 Depth=1
	s_ashr_i32 s30, s3, 31
	s_add_u32 s0, s2, s30
	s_mov_b32 s31, s30
	s_addc_u32 s1, s3, s30
	s_xor_b64 s[34:35], s[0:1], s[30:31]
	v_cvt_f32_u32_e32 v3, s34
	v_cvt_f32_u32_e32 v4, s35
	s_sub_u32 s0, 0, s34
	s_subb_u32 s1, 0, s35
	v_mac_f32_e32 v3, 0x4f800000, v4
	v_rcp_f32_e32 v3, v3
	v_mul_f32_e32 v3, 0x5f7ffffc, v3
	v_mul_f32_e32 v4, 0x2f800000, v3
	v_trunc_f32_e32 v4, v4
	v_mac_f32_e32 v3, 0xcf800000, v4
	v_cvt_u32_f32_e32 v4, v4
	v_cvt_u32_f32_e32 v3, v3
	v_mul_lo_u32 v5, s0, v4
	v_mul_hi_u32 v7, s0, v3
	v_mul_lo_u32 v6, s1, v3
	v_add_u32_e32 v5, v7, v5
	v_mul_lo_u32 v8, s0, v3
	v_add_u32_e32 v5, v5, v6
	v_mul_lo_u32 v7, v3, v5
	v_mul_hi_u32 v9, v3, v8
	v_mul_hi_u32 v6, v3, v5
	v_add_co_u32_e32 v7, vcc, v9, v7
	v_addc_co_u32_e32 v6, vcc, 0, v6, vcc
	v_mul_hi_u32 v10, v4, v8
	v_mul_lo_u32 v8, v4, v8
	v_add_co_u32_e32 v7, vcc, v7, v8
	v_mul_hi_u32 v9, v4, v5
	v_addc_co_u32_e32 v6, vcc, v6, v10, vcc
	v_addc_co_u32_e32 v7, vcc, 0, v9, vcc
	v_mul_lo_u32 v5, v4, v5
	v_add_co_u32_e32 v5, vcc, v6, v5
	v_addc_co_u32_e32 v6, vcc, 0, v7, vcc
	v_add_co_u32_e32 v3, vcc, v3, v5
	v_addc_co_u32_e32 v4, vcc, v4, v6, vcc
	v_mul_lo_u32 v5, s0, v4
	v_mul_hi_u32 v6, s0, v3
	v_add_u32_e32 v5, v6, v5
	v_mul_lo_u32 v6, s1, v3
	v_add_u32_e32 v5, v5, v6
	v_mul_lo_u32 v7, s0, v3
	v_mul_hi_u32 v8, v4, v7
	v_mul_lo_u32 v9, v4, v7
	v_mul_lo_u32 v11, v3, v5
	v_mul_hi_u32 v7, v3, v7
	v_mul_hi_u32 v10, v3, v5
	v_add_co_u32_e32 v7, vcc, v7, v11
	v_addc_co_u32_e32 v10, vcc, 0, v10, vcc
	v_add_co_u32_e32 v7, vcc, v7, v9
	v_mul_hi_u32 v6, v4, v5
	v_addc_co_u32_e32 v7, vcc, v10, v8, vcc
	v_addc_co_u32_e32 v6, vcc, 0, v6, vcc
	v_mul_lo_u32 v5, v4, v5
	v_add_co_u32_e32 v5, vcc, v7, v5
	v_addc_co_u32_e32 v6, vcc, 0, v6, vcc
	v_add_co_u32_e32 v3, vcc, v3, v5
	v_addc_co_u32_e32 v6, vcc, v4, v6, vcc
	v_ashrrev_i32_e32 v8, 31, v1
	v_add_co_u32_e32 v4, vcc, v0, v8
	v_addc_co_u32_e32 v5, vcc, v1, v8, vcc
	v_xor_b32_e32 v10, v4, v8
	v_xor_b32_e32 v9, v5, v8
	v_mad_u64_u32 v[4:5], s[0:1], v10, v6, 0
	v_mul_hi_u32 v7, v10, v3
	v_add_co_u32_e32 v11, vcc, v7, v4
	v_addc_co_u32_e32 v13, vcc, 0, v5, vcc
	v_mad_u64_u32 v[4:5], s[0:1], v9, v6, 0
	v_mad_u64_u32 v[6:7], s[0:1], v9, v3, 0
	v_add_co_u32_e32 v3, vcc, v11, v6
	v_addc_co_u32_e32 v3, vcc, v13, v7, vcc
	v_addc_co_u32_e32 v5, vcc, 0, v5, vcc
	v_add_co_u32_e32 v3, vcc, v3, v4
	v_addc_co_u32_e32 v6, vcc, 0, v5, vcc
	v_mul_lo_u32 v7, s35, v3
	v_mul_lo_u32 v11, s34, v6
	v_mad_u64_u32 v[4:5], s[0:1], s34, v3, 0
	v_add3_u32 v5, v5, v11, v7
	v_sub_u32_e32 v7, v9, v5
	v_mov_b32_e32 v11, s35
	v_sub_co_u32_e32 v4, vcc, v10, v4
	v_subb_co_u32_e64 v7, s[0:1], v7, v11, vcc
	v_subrev_co_u32_e64 v10, s[0:1], s34, v4
	v_subbrev_co_u32_e64 v7, s[0:1], 0, v7, s[0:1]
	v_cmp_le_u32_e64 s[0:1], s35, v7
	v_cndmask_b32_e64 v11, 0, -1, s[0:1]
	v_cmp_le_u32_e64 s[0:1], s34, v10
	v_cndmask_b32_e64 v10, 0, -1, s[0:1]
	v_cmp_eq_u32_e64 s[0:1], s35, v7
	v_cndmask_b32_e64 v7, v11, v10, s[0:1]
	v_add_co_u32_e64 v10, s[0:1], 2, v3
	v_subb_co_u32_e32 v5, vcc, v9, v5, vcc
	v_addc_co_u32_e64 v11, s[0:1], 0, v6, s[0:1]
	v_cmp_le_u32_e32 vcc, s35, v5
	v_add_co_u32_e64 v13, s[0:1], 1, v3
	v_cndmask_b32_e64 v9, 0, -1, vcc
	v_cmp_le_u32_e32 vcc, s34, v4
	v_addc_co_u32_e64 v14, s[0:1], 0, v6, s[0:1]
	v_cndmask_b32_e64 v4, 0, -1, vcc
	v_cmp_eq_u32_e32 vcc, s35, v5
	v_cmp_ne_u32_e64 s[0:1], 0, v7
	v_cndmask_b32_e32 v4, v9, v4, vcc
	v_cmp_ne_u32_e32 vcc, 0, v4
	v_cndmask_b32_e64 v5, v13, v10, s[0:1]
	v_cndmask_b32_e64 v7, v14, v11, s[0:1]
	v_cndmask_b32_e32 v3, v3, v5, vcc
	v_xor_b32_e32 v5, s30, v8
	v_cndmask_b32_e32 v4, v6, v7, vcc
	v_xor_b32_e32 v3, v3, v5
	v_xor_b32_e32 v4, v4, v5
	v_sub_co_u32_e32 v8, vcc, v3, v5
	v_subb_co_u32_e32 v9, vcc, v4, v5, vcc
.LBB58_5:                               ;   in Loop: Header=BB58_3 Depth=1
	s_andn2_saveexec_b64 s[0:1], s[28:29]
	s_cbranch_execz .LBB58_7
; %bb.6:                                ;   in Loop: Header=BB58_3 Depth=1
	s_sub_i32 s28, 0, s2
	v_mul_lo_u32 v3, s28, v12
	v_mul_hi_u32 v3, v12, v3
	v_add_u32_e32 v3, v12, v3
	v_mul_hi_u32 v3, v0, v3
	v_mul_lo_u32 v4, v3, s2
	v_sub_u32_e32 v4, v0, v4
	v_subrev_u32_e32 v5, s2, v4
	v_cmp_le_u32_e32 vcc, s2, v4
	v_cndmask_b32_e32 v4, v4, v5, vcc
	v_add_u32_e32 v5, 1, v3
	v_cndmask_b32_e32 v3, v3, v5, vcc
	v_add_u32_e32 v5, 1, v3
	v_cmp_le_u32_e32 vcc, s2, v4
	v_cndmask_b32_e32 v8, v3, v5, vcc
	v_mov_b32_e32 v9, v2
.LBB58_7:                               ;   in Loop: Header=BB58_3 Depth=1
	s_or_b64 exec, exec, s[0:1]
	s_waitcnt lgkmcnt(0)
	v_or_b32_e32 v3, s15, v9
	v_cmp_ne_u64_e32 vcc, 0, v[2:3]
                                        ; implicit-def: $vgpr6_vgpr7
	s_and_saveexec_b64 s[0:1], vcc
	s_xor_b64 s[28:29], exec, s[0:1]
	s_cbranch_execz .LBB58_9
; %bb.8:                                ;   in Loop: Header=BB58_3 Depth=1
	s_ashr_i32 s30, s15, 31
	s_add_u32 s0, s14, s30
	s_mov_b32 s31, s30
	s_addc_u32 s1, s15, s30
	s_xor_b64 s[34:35], s[0:1], s[30:31]
	v_cvt_f32_u32_e32 v3, s34
	v_cvt_f32_u32_e32 v4, s35
	s_sub_u32 s0, 0, s34
	s_subb_u32 s1, 0, s35
	v_mac_f32_e32 v3, 0x4f800000, v4
	v_rcp_f32_e32 v3, v3
	v_mul_f32_e32 v3, 0x5f7ffffc, v3
	v_mul_f32_e32 v4, 0x2f800000, v3
	v_trunc_f32_e32 v4, v4
	v_mac_f32_e32 v3, 0xcf800000, v4
	v_cvt_u32_f32_e32 v4, v4
	v_cvt_u32_f32_e32 v3, v3
	v_mul_lo_u32 v5, s0, v4
	v_mul_hi_u32 v7, s0, v3
	v_mul_lo_u32 v6, s1, v3
	v_add_u32_e32 v5, v7, v5
	v_mul_lo_u32 v10, s0, v3
	v_add_u32_e32 v5, v5, v6
	v_mul_lo_u32 v7, v3, v5
	v_mul_hi_u32 v11, v3, v10
	v_mul_hi_u32 v6, v3, v5
	v_add_co_u32_e32 v7, vcc, v11, v7
	v_addc_co_u32_e32 v6, vcc, 0, v6, vcc
	v_mul_hi_u32 v13, v4, v10
	v_mul_lo_u32 v10, v4, v10
	v_add_co_u32_e32 v7, vcc, v7, v10
	v_mul_hi_u32 v11, v4, v5
	v_addc_co_u32_e32 v6, vcc, v6, v13, vcc
	v_addc_co_u32_e32 v7, vcc, 0, v11, vcc
	v_mul_lo_u32 v5, v4, v5
	v_add_co_u32_e32 v5, vcc, v6, v5
	v_addc_co_u32_e32 v6, vcc, 0, v7, vcc
	v_add_co_u32_e32 v3, vcc, v3, v5
	v_addc_co_u32_e32 v4, vcc, v4, v6, vcc
	v_mul_lo_u32 v5, s0, v4
	v_mul_hi_u32 v6, s0, v3
	v_add_u32_e32 v5, v6, v5
	v_mul_lo_u32 v6, s1, v3
	v_add_u32_e32 v5, v5, v6
	v_mul_lo_u32 v7, s0, v3
	v_mul_hi_u32 v10, v4, v7
	v_mul_lo_u32 v11, v4, v7
	v_mul_lo_u32 v14, v3, v5
	v_mul_hi_u32 v7, v3, v7
	v_mul_hi_u32 v13, v3, v5
	v_add_co_u32_e32 v7, vcc, v7, v14
	v_addc_co_u32_e32 v13, vcc, 0, v13, vcc
	v_add_co_u32_e32 v7, vcc, v7, v11
	v_mul_hi_u32 v6, v4, v5
	v_addc_co_u32_e32 v7, vcc, v13, v10, vcc
	v_addc_co_u32_e32 v6, vcc, 0, v6, vcc
	v_mul_lo_u32 v5, v4, v5
	v_add_co_u32_e32 v5, vcc, v7, v5
	v_addc_co_u32_e32 v6, vcc, 0, v6, vcc
	v_add_co_u32_e32 v3, vcc, v3, v5
	v_addc_co_u32_e32 v6, vcc, v4, v6, vcc
	v_ashrrev_i32_e32 v10, 31, v9
	v_add_co_u32_e32 v4, vcc, v8, v10
	v_addc_co_u32_e32 v5, vcc, v9, v10, vcc
	v_xor_b32_e32 v13, v4, v10
	v_xor_b32_e32 v11, v5, v10
	v_mad_u64_u32 v[4:5], s[0:1], v13, v6, 0
	v_mul_hi_u32 v7, v13, v3
	v_add_co_u32_e32 v14, vcc, v7, v4
	v_addc_co_u32_e32 v15, vcc, 0, v5, vcc
	v_mad_u64_u32 v[4:5], s[0:1], v11, v6, 0
	v_mad_u64_u32 v[6:7], s[0:1], v11, v3, 0
	v_add_co_u32_e32 v3, vcc, v14, v6
	v_addc_co_u32_e32 v3, vcc, v15, v7, vcc
	v_addc_co_u32_e32 v5, vcc, 0, v5, vcc
	v_add_co_u32_e32 v3, vcc, v3, v4
	v_addc_co_u32_e32 v6, vcc, 0, v5, vcc
	v_mul_lo_u32 v7, s35, v3
	v_mul_lo_u32 v14, s34, v6
	v_mad_u64_u32 v[4:5], s[0:1], s34, v3, 0
	v_add3_u32 v5, v5, v14, v7
	v_sub_u32_e32 v7, v11, v5
	v_mov_b32_e32 v14, s35
	v_sub_co_u32_e32 v4, vcc, v13, v4
	v_subb_co_u32_e64 v7, s[0:1], v7, v14, vcc
	v_subrev_co_u32_e64 v13, s[0:1], s34, v4
	v_subbrev_co_u32_e64 v7, s[0:1], 0, v7, s[0:1]
	v_cmp_le_u32_e64 s[0:1], s35, v7
	v_cndmask_b32_e64 v14, 0, -1, s[0:1]
	v_cmp_le_u32_e64 s[0:1], s34, v13
	v_cndmask_b32_e64 v13, 0, -1, s[0:1]
	v_cmp_eq_u32_e64 s[0:1], s35, v7
	v_cndmask_b32_e64 v7, v14, v13, s[0:1]
	v_add_co_u32_e64 v13, s[0:1], 2, v3
	v_subb_co_u32_e32 v5, vcc, v11, v5, vcc
	v_addc_co_u32_e64 v14, s[0:1], 0, v6, s[0:1]
	v_cmp_le_u32_e32 vcc, s35, v5
	v_add_co_u32_e64 v15, s[0:1], 1, v3
	v_cndmask_b32_e64 v11, 0, -1, vcc
	v_cmp_le_u32_e32 vcc, s34, v4
	v_addc_co_u32_e64 v16, s[0:1], 0, v6, s[0:1]
	v_cndmask_b32_e64 v4, 0, -1, vcc
	v_cmp_eq_u32_e32 vcc, s35, v5
	v_cmp_ne_u32_e64 s[0:1], 0, v7
	v_cndmask_b32_e32 v4, v11, v4, vcc
	v_cmp_ne_u32_e32 vcc, 0, v4
	v_cndmask_b32_e64 v5, v15, v13, s[0:1]
	v_cndmask_b32_e64 v7, v16, v14, s[0:1]
	v_cndmask_b32_e32 v3, v3, v5, vcc
	v_xor_b32_e32 v5, s30, v10
	v_cndmask_b32_e32 v4, v6, v7, vcc
	v_xor_b32_e32 v3, v3, v5
	v_xor_b32_e32 v4, v4, v5
	v_sub_co_u32_e32 v6, vcc, v3, v5
	v_subb_co_u32_e32 v7, vcc, v4, v5, vcc
.LBB58_9:                               ;   in Loop: Header=BB58_3 Depth=1
	s_andn2_saveexec_b64 s[0:1], s[28:29]
	s_cbranch_execz .LBB58_11
; %bb.10:                               ;   in Loop: Header=BB58_3 Depth=1
	v_cvt_f32_u32_e32 v3, s14
	s_sub_i32 s28, 0, s14
	v_mov_b32_e32 v7, v2
	v_rcp_iflag_f32_e32 v3, v3
	v_mul_f32_e32 v3, 0x4f7ffffe, v3
	v_cvt_u32_f32_e32 v3, v3
	v_mul_lo_u32 v4, s28, v3
	v_mul_hi_u32 v4, v3, v4
	v_add_u32_e32 v3, v3, v4
	v_mul_hi_u32 v3, v8, v3
	v_mul_lo_u32 v4, v3, s14
	v_sub_u32_e32 v4, v8, v4
	v_add_u32_e32 v5, 1, v3
	v_subrev_u32_e32 v6, s14, v4
	v_cmp_le_u32_e32 vcc, s14, v4
	v_cndmask_b32_e32 v4, v4, v6, vcc
	v_cndmask_b32_e32 v3, v3, v5, vcc
	v_add_u32_e32 v5, 1, v3
	v_cmp_le_u32_e32 vcc, s14, v4
	v_cndmask_b32_e32 v6, v3, v5, vcc
.LBB58_11:                              ;   in Loop: Header=BB58_3 Depth=1
	s_or_b64 exec, exec, s[0:1]
	v_mul_lo_u32 v3, v9, s2
	v_mul_lo_u32 v10, v8, s3
	v_mad_u64_u32 v[4:5], s[0:1], v8, s2, 0
	v_add3_u32 v3, v5, v10, v3
	v_sub_co_u32_e32 v4, vcc, v0, v4
	v_subb_co_u32_e32 v5, vcc, v1, v3, vcc
	v_mul_lo_u32 v3, v7, s14
	v_mul_lo_u32 v13, v6, s15
	v_mad_u64_u32 v[10:11], s[0:1], v6, s14, 0
	v_add3_u32 v3, v11, v13, v3
	v_sub_co_u32_e32 v13, vcc, v8, v10
	v_subb_co_u32_e32 v14, vcc, v9, v3, vcc
	v_sub_co_u32_e32 v8, vcc, v4, v13
	v_subb_co_u32_e32 v9, vcc, v5, v14, vcc
	v_cmp_gt_i64_e32 vcc, s[8:9], v[8:9]
	s_and_saveexec_b64 s[28:29], vcc
	s_cbranch_execz .LBB58_2
; %bb.12:                               ;   in Loop: Header=BB58_3 Depth=1
	s_load_dwordx2 s[30:31], s[4:5], 0x0
	s_load_dwordx2 s[0:1], s[16:17], 0x0
	s_and_b64 vcc, exec, s[12:13]
	s_mov_b64 s[36:37], s[22:23]
	s_mov_b64 s[38:39], s[20:21]
	s_waitcnt lgkmcnt(0)
	v_mul_lo_u32 v3, s31, v4
	v_mul_lo_u32 v10, s30, v5
	v_mad_u64_u32 v[8:9], s[34:35], s30, v4, 0
	v_add3_u32 v9, v9, v10, v3
	v_mad_u64_u32 v[8:9], s[34:35], s0, v13, v[8:9]
	v_mul_lo_u32 v3, s0, v14
	v_mul_lo_u32 v10, s1, v13
	v_add3_u32 v9, v10, v9, v3
	s_mov_b64 s[34:35], s[24:25]
	s_cbranch_vccnz .LBB58_23
.LBB58_13:                              ;   in Loop: Header=BB58_3 Depth=1
	s_load_dwordx2 s[0:1], s[18:19], 0x0
	s_waitcnt lgkmcnt(0)
	v_cmp_gt_i64_e32 vcc, s[0:1], v[4:5]
	s_and_b64 exec, exec, vcc
	s_cbranch_execz .LBB58_2
; %bb.14:                               ;   in Loop: Header=BB58_3 Depth=1
	v_mov_b32_e32 v3, s7
	v_add_co_u32_e32 v6, vcc, s6, v8
	v_addc_co_u32_e32 v7, vcc, v3, v9, vcc
	v_add_co_u32_e32 v8, vcc, 1, v4
	v_addc_co_u32_e32 v9, vcc, 0, v5, vcc
	v_cmp_gt_i64_e32 vcc, s[0:1], v[8:9]
	global_store_byte v[6:7], v2, off
	s_and_b64 exec, exec, vcc
	s_cbranch_execz .LBB58_2
; %bb.15:                               ;   in Loop: Header=BB58_3 Depth=1
	v_sub_co_u32_e32 v8, vcc, v8, v13
	v_subb_co_u32_e32 v9, vcc, v9, v14, vcc
	v_cmp_gt_i64_e32 vcc, s[8:9], v[8:9]
	s_and_saveexec_b64 s[34:35], vcc
	s_cbranch_execz .LBB58_17
; %bb.16:                               ;   in Loop: Header=BB58_3 Depth=1
	v_mov_b32_e32 v3, s31
	v_add_co_u32_e32 v8, vcc, s30, v6
	v_addc_co_u32_e32 v9, vcc, v7, v3, vcc
	global_store_byte v[8:9], v2, off
.LBB58_17:                              ;   in Loop: Header=BB58_3 Depth=1
	s_or_b64 exec, exec, s[34:35]
	v_add_co_u32_e32 v8, vcc, 2, v4
	v_addc_co_u32_e32 v9, vcc, 0, v5, vcc
	v_cmp_gt_i64_e32 vcc, s[0:1], v[8:9]
	s_and_b64 exec, exec, vcc
	s_cbranch_execz .LBB58_2
; %bb.18:                               ;   in Loop: Header=BB58_3 Depth=1
	v_sub_co_u32_e32 v8, vcc, v8, v13
	v_subb_co_u32_e32 v9, vcc, v9, v14, vcc
	v_cmp_gt_i64_e32 vcc, s[8:9], v[8:9]
	s_and_saveexec_b64 s[34:35], vcc
	s_cbranch_execz .LBB58_20
; %bb.19:                               ;   in Loop: Header=BB58_3 Depth=1
	s_lshl_b64 s[36:37], s[30:31], 1
	v_mov_b32_e32 v3, s37
	v_add_co_u32_e32 v8, vcc, s36, v6
	v_addc_co_u32_e32 v9, vcc, v7, v3, vcc
	global_store_byte v[8:9], v2, off
.LBB58_20:                              ;   in Loop: Header=BB58_3 Depth=1
	s_or_b64 exec, exec, s[34:35]
	v_add_co_u32_e32 v4, vcc, 3, v4
	v_addc_co_u32_e32 v5, vcc, 0, v5, vcc
	v_cmp_gt_i64_e32 vcc, s[0:1], v[4:5]
	v_sub_co_u32_e64 v4, s[0:1], v4, v13
	v_subb_co_u32_e64 v5, s[0:1], v5, v14, s[0:1]
	v_cmp_gt_i64_e64 s[0:1], s[8:9], v[4:5]
	s_and_b64 s[0:1], vcc, s[0:1]
	s_and_b64 exec, exec, s[0:1]
	s_cbranch_execz .LBB58_2
; %bb.21:                               ;   in Loop: Header=BB58_3 Depth=1
	v_mad_u64_u32 v[4:5], s[0:1], s30, 3, v[6:7]
	v_mov_b32_e32 v6, v5
	v_mad_u64_u32 v[6:7], s[0:1], s31, 3, v[6:7]
	v_mov_b32_e32 v5, v6
	global_store_byte v[4:5], v2, off
	s_branch .LBB58_2
.LBB58_22:                              ;   in Loop: Header=BB58_23 Depth=2
	s_or_b64 exec, exec, s[0:1]
	v_mad_u64_u32 v[16:17], s[0:1], v10, s40, 0
	s_load_dwordx2 s[0:1], s[38:39], 0x0
	s_add_u32 s38, s38, -8
	s_addc_u32 s39, s39, -1
	v_mul_lo_u32 v3, v11, s40
	v_mul_lo_u32 v15, v10, s41
	s_add_u32 s36, s36, -8
	v_add3_u32 v3, v17, v15, v3
	v_sub_co_u32_e32 v6, vcc, v6, v16
	s_addc_u32 s37, s37, -1
	v_subb_co_u32_e32 v3, vcc, v7, v3, vcc
	s_add_u32 s34, s34, -1
	s_waitcnt lgkmcnt(0)
	v_mul_lo_u32 v3, s0, v3
	v_mul_lo_u32 v7, s1, v6
	v_mad_u64_u32 v[8:9], s[0:1], s0, v6, v[8:9]
	s_addc_u32 s35, s35, -1
	v_cmp_lt_i64_e64 s[0:1], s[34:35], 1
	v_add3_u32 v9, v7, v9, v3
	s_and_b64 vcc, exec, s[0:1]
	v_pk_mov_b32 v[6:7], v[10:11], v[10:11] op_sel:[0,1]
	s_cbranch_vccnz .LBB58_13
.LBB58_23:                              ;   Parent Loop BB58_3 Depth=1
                                        ; =>  This Inner Loop Header: Depth=2
	s_load_dwordx2 s[40:41], s[36:37], 0x0
                                        ; implicit-def: $vgpr10_vgpr11
	s_waitcnt lgkmcnt(0)
	v_or_b32_e32 v3, s41, v7
	v_cmp_ne_u64_e32 vcc, 0, v[2:3]
	s_and_saveexec_b64 s[0:1], vcc
	s_xor_b64 s[42:43], exec, s[0:1]
	s_cbranch_execz .LBB58_25
; %bb.24:                               ;   in Loop: Header=BB58_23 Depth=2
	s_ashr_i32 s44, s41, 31
	s_add_u32 s0, s40, s44
	s_mov_b32 s45, s44
	s_addc_u32 s1, s41, s44
	s_xor_b64 s[46:47], s[0:1], s[44:45]
	v_cvt_f32_u32_e32 v3, s46
	v_cvt_f32_u32_e32 v10, s47
	s_sub_u32 s0, 0, s46
	s_subb_u32 s1, 0, s47
	v_mac_f32_e32 v3, 0x4f800000, v10
	v_rcp_f32_e32 v3, v3
	v_mul_f32_e32 v3, 0x5f7ffffc, v3
	v_mul_f32_e32 v10, 0x2f800000, v3
	v_trunc_f32_e32 v10, v10
	v_mac_f32_e32 v3, 0xcf800000, v10
	v_cvt_u32_f32_e32 v10, v10
	v_cvt_u32_f32_e32 v3, v3
	v_mul_lo_u32 v11, s0, v10
	v_mul_hi_u32 v16, s0, v3
	v_mul_lo_u32 v15, s1, v3
	v_add_u32_e32 v11, v16, v11
	v_mul_lo_u32 v17, s0, v3
	v_add_u32_e32 v11, v11, v15
	v_mul_lo_u32 v16, v3, v11
	v_mul_hi_u32 v18, v3, v17
	v_mul_hi_u32 v15, v3, v11
	v_add_co_u32_e32 v16, vcc, v18, v16
	v_addc_co_u32_e32 v15, vcc, 0, v15, vcc
	v_mul_hi_u32 v19, v10, v17
	v_mul_lo_u32 v17, v10, v17
	v_add_co_u32_e32 v16, vcc, v16, v17
	v_mul_hi_u32 v18, v10, v11
	v_addc_co_u32_e32 v15, vcc, v15, v19, vcc
	v_addc_co_u32_e32 v16, vcc, 0, v18, vcc
	v_mul_lo_u32 v11, v10, v11
	v_add_co_u32_e32 v11, vcc, v15, v11
	v_addc_co_u32_e32 v15, vcc, 0, v16, vcc
	v_add_co_u32_e32 v3, vcc, v3, v11
	v_addc_co_u32_e32 v10, vcc, v10, v15, vcc
	v_mul_lo_u32 v11, s0, v10
	v_mul_hi_u32 v15, s0, v3
	v_add_u32_e32 v11, v15, v11
	v_mul_lo_u32 v15, s1, v3
	v_add_u32_e32 v11, v11, v15
	v_mul_lo_u32 v16, s0, v3
	v_mul_hi_u32 v17, v10, v16
	v_mul_lo_u32 v18, v10, v16
	v_mul_lo_u32 v20, v3, v11
	v_mul_hi_u32 v16, v3, v16
	v_mul_hi_u32 v19, v3, v11
	v_add_co_u32_e32 v16, vcc, v16, v20
	v_addc_co_u32_e32 v19, vcc, 0, v19, vcc
	v_add_co_u32_e32 v16, vcc, v16, v18
	v_mul_hi_u32 v15, v10, v11
	v_addc_co_u32_e32 v16, vcc, v19, v17, vcc
	v_addc_co_u32_e32 v15, vcc, 0, v15, vcc
	v_mul_lo_u32 v11, v10, v11
	v_add_co_u32_e32 v11, vcc, v16, v11
	v_addc_co_u32_e32 v15, vcc, 0, v15, vcc
	v_add_co_u32_e32 v3, vcc, v3, v11
	v_addc_co_u32_e32 v15, vcc, v10, v15, vcc
	v_ashrrev_i32_e32 v18, 31, v7
	v_add_co_u32_e32 v10, vcc, v6, v18
	v_addc_co_u32_e32 v11, vcc, v7, v18, vcc
	v_xor_b32_e32 v20, v10, v18
	v_xor_b32_e32 v19, v11, v18
	v_mad_u64_u32 v[10:11], s[0:1], v20, v15, 0
	v_mul_hi_u32 v16, v20, v3
	v_add_co_u32_e32 v21, vcc, v16, v10
	v_addc_co_u32_e32 v22, vcc, 0, v11, vcc
	v_mad_u64_u32 v[16:17], s[0:1], v19, v3, 0
	v_add_co_u32_e32 v3, vcc, v21, v16
	v_mad_u64_u32 v[10:11], s[0:1], v19, v15, 0
	v_addc_co_u32_e32 v3, vcc, v22, v17, vcc
	v_addc_co_u32_e32 v11, vcc, 0, v11, vcc
	v_add_co_u32_e32 v3, vcc, v3, v10
	v_addc_co_u32_e32 v15, vcc, 0, v11, vcc
	v_mul_lo_u32 v16, s47, v3
	v_mul_lo_u32 v17, s46, v15
	v_mad_u64_u32 v[10:11], s[0:1], s46, v3, 0
	v_add3_u32 v11, v11, v17, v16
	v_sub_u32_e32 v16, v19, v11
	v_mov_b32_e32 v17, s47
	v_sub_co_u32_e32 v10, vcc, v20, v10
	v_subb_co_u32_e64 v16, s[0:1], v16, v17, vcc
	v_subrev_co_u32_e64 v17, s[0:1], s46, v10
	v_subbrev_co_u32_e64 v16, s[0:1], 0, v16, s[0:1]
	v_cmp_le_u32_e64 s[0:1], s47, v16
	v_cndmask_b32_e64 v20, 0, -1, s[0:1]
	v_cmp_le_u32_e64 s[0:1], s46, v17
	v_cndmask_b32_e64 v17, 0, -1, s[0:1]
	v_cmp_eq_u32_e64 s[0:1], s47, v16
	v_cndmask_b32_e64 v16, v20, v17, s[0:1]
	v_add_co_u32_e64 v17, s[0:1], 2, v3
	v_subb_co_u32_e32 v11, vcc, v19, v11, vcc
	v_addc_co_u32_e64 v20, s[0:1], 0, v15, s[0:1]
	v_cmp_le_u32_e32 vcc, s47, v11
	v_add_co_u32_e64 v21, s[0:1], 1, v3
	v_cndmask_b32_e64 v19, 0, -1, vcc
	v_cmp_le_u32_e32 vcc, s46, v10
	v_addc_co_u32_e64 v22, s[0:1], 0, v15, s[0:1]
	v_cndmask_b32_e64 v10, 0, -1, vcc
	v_cmp_eq_u32_e32 vcc, s47, v11
	v_cmp_ne_u32_e64 s[0:1], 0, v16
	v_cndmask_b32_e32 v10, v19, v10, vcc
	v_cmp_ne_u32_e32 vcc, 0, v10
	v_cndmask_b32_e64 v11, v21, v17, s[0:1]
	v_cndmask_b32_e64 v16, v22, v20, s[0:1]
	v_cndmask_b32_e32 v3, v3, v11, vcc
	v_xor_b32_e32 v11, s44, v18
	v_cndmask_b32_e32 v10, v15, v16, vcc
	v_xor_b32_e32 v3, v3, v11
	v_xor_b32_e32 v15, v10, v11
	v_sub_co_u32_e32 v10, vcc, v3, v11
	v_subb_co_u32_e32 v11, vcc, v15, v11, vcc
.LBB58_25:                              ;   in Loop: Header=BB58_23 Depth=2
	s_andn2_saveexec_b64 s[0:1], s[42:43]
	s_cbranch_execz .LBB58_22
; %bb.26:                               ;   in Loop: Header=BB58_23 Depth=2
	v_cvt_f32_u32_e32 v3, s40
	s_sub_i32 s42, 0, s40
	v_rcp_iflag_f32_e32 v3, v3
	v_mul_f32_e32 v3, 0x4f7ffffe, v3
	v_cvt_u32_f32_e32 v3, v3
	v_mul_lo_u32 v10, s42, v3
	v_mul_hi_u32 v10, v3, v10
	v_add_u32_e32 v3, v3, v10
	v_mul_hi_u32 v3, v6, v3
	v_mul_lo_u32 v10, v3, s40
	v_sub_u32_e32 v10, v6, v10
	v_add_u32_e32 v11, 1, v3
	v_subrev_u32_e32 v15, s40, v10
	v_cmp_le_u32_e32 vcc, s40, v10
	v_cndmask_b32_e32 v10, v10, v15, vcc
	v_cndmask_b32_e32 v3, v3, v11, vcc
	v_add_u32_e32 v11, 1, v3
	v_cmp_le_u32_e32 vcc, s40, v10
	v_cndmask_b32_e32 v10, v3, v11, vcc
	v_mov_b32_e32 v11, v2
	s_branch .LBB58_22
.LBB58_27:
	s_endpgm
	.section	.rodata,"a",@progbits
	.p2align	6, 0x0
	.amdhsa_kernel _ZN2at6native16triu_tril_kernelIalLb1ELi4ELb1EEEvNS_4cuda6detail10TensorInfoIT_T0_EENS4_IKS5_S6_EEllS6_
		.amdhsa_group_segment_fixed_size 0
		.amdhsa_private_segment_fixed_size 0
		.amdhsa_kernarg_size 1112
		.amdhsa_user_sgpr_count 6
		.amdhsa_user_sgpr_private_segment_buffer 1
		.amdhsa_user_sgpr_dispatch_ptr 0
		.amdhsa_user_sgpr_queue_ptr 0
		.amdhsa_user_sgpr_kernarg_segment_ptr 1
		.amdhsa_user_sgpr_dispatch_id 0
		.amdhsa_user_sgpr_flat_scratch_init 0
		.amdhsa_user_sgpr_kernarg_preload_length 0
		.amdhsa_user_sgpr_kernarg_preload_offset 0
		.amdhsa_user_sgpr_private_segment_size 0
		.amdhsa_uses_dynamic_stack 0
		.amdhsa_system_sgpr_private_segment_wavefront_offset 0
		.amdhsa_system_sgpr_workgroup_id_x 1
		.amdhsa_system_sgpr_workgroup_id_y 0
		.amdhsa_system_sgpr_workgroup_id_z 0
		.amdhsa_system_sgpr_workgroup_info 0
		.amdhsa_system_vgpr_workitem_id 0
		.amdhsa_next_free_vgpr 23
		.amdhsa_next_free_sgpr 49
		.amdhsa_accum_offset 24
		.amdhsa_reserve_vcc 1
		.amdhsa_reserve_flat_scratch 0
		.amdhsa_float_round_mode_32 0
		.amdhsa_float_round_mode_16_64 0
		.amdhsa_float_denorm_mode_32 3
		.amdhsa_float_denorm_mode_16_64 3
		.amdhsa_dx10_clamp 1
		.amdhsa_ieee_mode 1
		.amdhsa_fp16_overflow 0
		.amdhsa_tg_split 0
		.amdhsa_exception_fp_ieee_invalid_op 0
		.amdhsa_exception_fp_denorm_src 0
		.amdhsa_exception_fp_ieee_div_zero 0
		.amdhsa_exception_fp_ieee_overflow 0
		.amdhsa_exception_fp_ieee_underflow 0
		.amdhsa_exception_fp_ieee_inexact 0
		.amdhsa_exception_int_div_zero 0
	.end_amdhsa_kernel
	.section	.text._ZN2at6native16triu_tril_kernelIalLb1ELi4ELb1EEEvNS_4cuda6detail10TensorInfoIT_T0_EENS4_IKS5_S6_EEllS6_,"axG",@progbits,_ZN2at6native16triu_tril_kernelIalLb1ELi4ELb1EEEvNS_4cuda6detail10TensorInfoIT_T0_EENS4_IKS5_S6_EEllS6_,comdat
.Lfunc_end58:
	.size	_ZN2at6native16triu_tril_kernelIalLb1ELi4ELb1EEEvNS_4cuda6detail10TensorInfoIT_T0_EENS4_IKS5_S6_EEllS6_, .Lfunc_end58-_ZN2at6native16triu_tril_kernelIalLb1ELi4ELb1EEEvNS_4cuda6detail10TensorInfoIT_T0_EENS4_IKS5_S6_EEllS6_
                                        ; -- End function
	.section	.AMDGPU.csdata,"",@progbits
; Kernel info:
; codeLenInByte = 3320
; NumSgprs: 53
; NumVgprs: 23
; NumAgprs: 0
; TotalNumVgprs: 23
; ScratchSize: 0
; MemoryBound: 0
; FloatMode: 240
; IeeeMode: 1
; LDSByteSize: 0 bytes/workgroup (compile time only)
; SGPRBlocks: 6
; VGPRBlocks: 2
; NumSGPRsForWavesPerEU: 53
; NumVGPRsForWavesPerEU: 23
; AccumOffset: 24
; Occupancy: 8
; WaveLimiterHint : 0
; COMPUTE_PGM_RSRC2:SCRATCH_EN: 0
; COMPUTE_PGM_RSRC2:USER_SGPR: 6
; COMPUTE_PGM_RSRC2:TRAP_HANDLER: 0
; COMPUTE_PGM_RSRC2:TGID_X_EN: 1
; COMPUTE_PGM_RSRC2:TGID_Y_EN: 0
; COMPUTE_PGM_RSRC2:TGID_Z_EN: 0
; COMPUTE_PGM_RSRC2:TIDIG_COMP_CNT: 0
; COMPUTE_PGM_RSRC3_GFX90A:ACCUM_OFFSET: 5
; COMPUTE_PGM_RSRC3_GFX90A:TG_SPLIT: 0
	.section	.text._ZN2at6native16triu_tril_kernelIalLb1ELi4ELb0EEEvNS_4cuda6detail10TensorInfoIT_T0_EENS4_IKS5_S6_EEllS6_,"axG",@progbits,_ZN2at6native16triu_tril_kernelIalLb1ELi4ELb0EEEvNS_4cuda6detail10TensorInfoIT_T0_EENS4_IKS5_S6_EEllS6_,comdat
	.protected	_ZN2at6native16triu_tril_kernelIalLb1ELi4ELb0EEEvNS_4cuda6detail10TensorInfoIT_T0_EENS4_IKS5_S6_EEllS6_ ; -- Begin function _ZN2at6native16triu_tril_kernelIalLb1ELi4ELb0EEEvNS_4cuda6detail10TensorInfoIT_T0_EENS4_IKS5_S6_EEllS6_
	.globl	_ZN2at6native16triu_tril_kernelIalLb1ELi4ELb0EEEvNS_4cuda6detail10TensorInfoIT_T0_EENS4_IKS5_S6_EEllS6_
	.p2align	8
	.type	_ZN2at6native16triu_tril_kernelIalLb1ELi4ELb0EEEvNS_4cuda6detail10TensorInfoIT_T0_EENS4_IKS5_S6_EEllS6_,@function
_ZN2at6native16triu_tril_kernelIalLb1ELi4ELb0EEEvNS_4cuda6detail10TensorInfoIT_T0_EENS4_IKS5_S6_EEllS6_: ; @_ZN2at6native16triu_tril_kernelIalLb1ELi4ELb0EEEvNS_4cuda6detail10TensorInfoIT_T0_EENS4_IKS5_S6_EEllS6_
; %bb.0:
	s_load_dword s2, s[4:5], 0x364
	s_load_dwordx4 s[8:11], s[4:5], 0x340
	s_add_u32 s0, s4, 0x358
	v_mov_b32_e32 v2, 0
	s_addc_u32 s1, s5, 0
	s_waitcnt lgkmcnt(0)
	s_and_b32 s7, s2, 0xffff
	v_mov_b32_e32 v1, v2
	v_mov_b32_e32 v3, s6
	v_mad_u64_u32 v[0:1], s[2:3], s7, v3, v[0:1]
	v_lshlrev_b64 v[0:1], 2, v[0:1]
	s_mov_b32 s33, 0xffff
	v_cmp_gt_i64_e32 vcc, s[10:11], v[0:1]
	s_and_saveexec_b64 s[2:3], vcc
	s_cbranch_execz .LBB59_32
; %bb.1:
	s_load_dword s6, s[0:1], 0x0
	s_load_dwordx2 s[2:3], s[4:5], 0x350
	s_load_dword s26, s[4:5], 0x338
	s_add_u32 s12, s4, 0x1a0
	s_addc_u32 s13, s5, 0
	s_waitcnt lgkmcnt(0)
	s_mul_i32 s28, s6, s7
	v_cvt_f32_u32_e32 v3, s2
	s_ashr_i32 s27, s26, 31
	s_add_u32 s30, s4, 0x1a8
	s_addc_u32 s31, s5, 0
	s_lshl_b64 s[0:1], s[26:27], 3
	s_add_u32 s22, s0, -16
	s_addc_u32 s23, s1, -1
	s_add_u32 s0, s30, s22
	s_addc_u32 s1, s31, s23
	s_add_u32 s20, s12, s22
	s_addc_u32 s21, s13, s23
	v_cmp_gt_i64_e64 s[24:25], s[26:27], 2
	s_add_u32 s27, s4, 0xd0
	s_addc_u32 s34, s5, 0
	s_load_dwordx4 s[12:15], s[0:1], 0x0
	s_load_dwordx4 s[16:19], s[20:21], 0xd0
	s_add_u32 s0, s27, s22
	s_addc_u32 s1, s34, s23
	s_load_dwordx2 s[6:7], s[4:5], 0x1a0
	s_load_dwordx4 s[20:23], s[0:1], 0x0
	v_rcp_iflag_f32_e32 v3, v3
	s_load_dwordx2 s[4:5], s[4:5], 0x0
	s_add_i32 s0, s26, -3
	s_ashr_i32 s1, s0, 31
	s_lshl_b32 s50, s28, 2
	s_lshl_b64 s[28:29], s[0:1], 3
	s_add_u32 s26, s27, s28
	s_addc_u32 s27, s34, s29
	v_mul_f32_e32 v3, 0x4f7ffffe, v3
	s_add_u32 s28, s30, s28
	v_cvt_u32_f32_e32 v14, v3
	s_addc_u32 s29, s31, s29
	s_add_u32 s30, s0, 1
	s_mov_b32 s51, 0
	s_addc_u32 s31, s1, 0
	s_mov_b64 s[34:35], 0
	s_branch .LBB59_3
.LBB59_2:                               ;   in Loop: Header=BB59_3 Depth=1
	s_or_b64 exec, exec, s[0:1]
	v_mov_b32_e32 v3, s51
	v_add_co_u32_e32 v0, vcc, s50, v0
	v_addc_co_u32_e32 v1, vcc, v1, v3, vcc
	v_cmp_le_i64_e32 vcc, s[10:11], v[0:1]
	s_or_b64 s[34:35], vcc, s[34:35]
	s_andn2_b64 exec, exec, s[34:35]
	s_cbranch_execz .LBB59_32
.LBB59_3:                               ; =>This Loop Header: Depth=1
                                        ;     Child Loop BB59_28 Depth 2
	v_or_b32_e32 v3, s3, v1
	v_cmp_ne_u64_e32 vcc, 0, v[2:3]
                                        ; implicit-def: $vgpr6_vgpr7
	s_and_saveexec_b64 s[0:1], vcc
	s_xor_b64 s[36:37], exec, s[0:1]
	s_cbranch_execz .LBB59_5
; %bb.4:                                ;   in Loop: Header=BB59_3 Depth=1
	s_ashr_i32 s38, s3, 31
	s_add_u32 s0, s2, s38
	s_mov_b32 s39, s38
	s_addc_u32 s1, s3, s38
	s_xor_b64 s[40:41], s[0:1], s[38:39]
	v_cvt_f32_u32_e32 v3, s40
	v_cvt_f32_u32_e32 v4, s41
	s_sub_u32 s0, 0, s40
	s_subb_u32 s1, 0, s41
	v_mac_f32_e32 v3, 0x4f800000, v4
	v_rcp_f32_e32 v3, v3
	v_mul_f32_e32 v3, 0x5f7ffffc, v3
	v_mul_f32_e32 v4, 0x2f800000, v3
	v_trunc_f32_e32 v4, v4
	v_mac_f32_e32 v3, 0xcf800000, v4
	v_cvt_u32_f32_e32 v4, v4
	v_cvt_u32_f32_e32 v3, v3
	v_mul_lo_u32 v5, s0, v4
	v_mul_hi_u32 v7, s0, v3
	v_mul_lo_u32 v6, s1, v3
	v_add_u32_e32 v5, v7, v5
	v_mul_lo_u32 v8, s0, v3
	v_add_u32_e32 v5, v5, v6
	v_mul_lo_u32 v7, v3, v5
	v_mul_hi_u32 v9, v3, v8
	v_mul_hi_u32 v6, v3, v5
	v_add_co_u32_e32 v7, vcc, v9, v7
	v_addc_co_u32_e32 v6, vcc, 0, v6, vcc
	v_mul_hi_u32 v10, v4, v8
	v_mul_lo_u32 v8, v4, v8
	v_add_co_u32_e32 v7, vcc, v7, v8
	v_mul_hi_u32 v9, v4, v5
	v_addc_co_u32_e32 v6, vcc, v6, v10, vcc
	v_addc_co_u32_e32 v7, vcc, 0, v9, vcc
	v_mul_lo_u32 v5, v4, v5
	v_add_co_u32_e32 v5, vcc, v6, v5
	v_addc_co_u32_e32 v6, vcc, 0, v7, vcc
	v_add_co_u32_e32 v3, vcc, v3, v5
	v_addc_co_u32_e32 v4, vcc, v4, v6, vcc
	v_mul_lo_u32 v5, s0, v4
	v_mul_hi_u32 v6, s0, v3
	v_add_u32_e32 v5, v6, v5
	v_mul_lo_u32 v6, s1, v3
	v_add_u32_e32 v5, v5, v6
	v_mul_lo_u32 v7, s0, v3
	v_mul_hi_u32 v8, v4, v7
	v_mul_lo_u32 v9, v4, v7
	v_mul_lo_u32 v11, v3, v5
	v_mul_hi_u32 v7, v3, v7
	v_mul_hi_u32 v10, v3, v5
	v_add_co_u32_e32 v7, vcc, v7, v11
	v_addc_co_u32_e32 v10, vcc, 0, v10, vcc
	v_add_co_u32_e32 v7, vcc, v7, v9
	v_mul_hi_u32 v6, v4, v5
	v_addc_co_u32_e32 v7, vcc, v10, v8, vcc
	v_addc_co_u32_e32 v6, vcc, 0, v6, vcc
	v_mul_lo_u32 v5, v4, v5
	v_add_co_u32_e32 v5, vcc, v7, v5
	v_addc_co_u32_e32 v6, vcc, 0, v6, vcc
	v_add_co_u32_e32 v3, vcc, v3, v5
	v_addc_co_u32_e32 v6, vcc, v4, v6, vcc
	v_ashrrev_i32_e32 v8, 31, v1
	v_add_co_u32_e32 v4, vcc, v0, v8
	v_addc_co_u32_e32 v5, vcc, v1, v8, vcc
	v_xor_b32_e32 v10, v4, v8
	v_xor_b32_e32 v9, v5, v8
	v_mad_u64_u32 v[4:5], s[0:1], v10, v6, 0
	v_mul_hi_u32 v7, v10, v3
	v_add_co_u32_e32 v11, vcc, v7, v4
	v_addc_co_u32_e32 v12, vcc, 0, v5, vcc
	v_mad_u64_u32 v[4:5], s[0:1], v9, v6, 0
	v_mad_u64_u32 v[6:7], s[0:1], v9, v3, 0
	v_add_co_u32_e32 v3, vcc, v11, v6
	v_addc_co_u32_e32 v3, vcc, v12, v7, vcc
	v_addc_co_u32_e32 v5, vcc, 0, v5, vcc
	v_add_co_u32_e32 v3, vcc, v3, v4
	v_addc_co_u32_e32 v6, vcc, 0, v5, vcc
	v_mul_lo_u32 v7, s41, v3
	v_mul_lo_u32 v11, s40, v6
	v_mad_u64_u32 v[4:5], s[0:1], s40, v3, 0
	v_add3_u32 v5, v5, v11, v7
	v_sub_u32_e32 v7, v9, v5
	v_mov_b32_e32 v11, s41
	v_sub_co_u32_e32 v4, vcc, v10, v4
	v_subb_co_u32_e64 v7, s[0:1], v7, v11, vcc
	v_subrev_co_u32_e64 v10, s[0:1], s40, v4
	v_subbrev_co_u32_e64 v7, s[0:1], 0, v7, s[0:1]
	v_cmp_le_u32_e64 s[0:1], s41, v7
	v_cndmask_b32_e64 v11, 0, -1, s[0:1]
	v_cmp_le_u32_e64 s[0:1], s40, v10
	v_cndmask_b32_e64 v10, 0, -1, s[0:1]
	v_cmp_eq_u32_e64 s[0:1], s41, v7
	v_cndmask_b32_e64 v7, v11, v10, s[0:1]
	v_add_co_u32_e64 v10, s[0:1], 2, v3
	v_subb_co_u32_e32 v5, vcc, v9, v5, vcc
	v_addc_co_u32_e64 v11, s[0:1], 0, v6, s[0:1]
	v_cmp_le_u32_e32 vcc, s41, v5
	v_add_co_u32_e64 v12, s[0:1], 1, v3
	v_cndmask_b32_e64 v9, 0, -1, vcc
	v_cmp_le_u32_e32 vcc, s40, v4
	v_addc_co_u32_e64 v13, s[0:1], 0, v6, s[0:1]
	v_cndmask_b32_e64 v4, 0, -1, vcc
	v_cmp_eq_u32_e32 vcc, s41, v5
	v_cmp_ne_u32_e64 s[0:1], 0, v7
	v_cndmask_b32_e32 v4, v9, v4, vcc
	v_cmp_ne_u32_e32 vcc, 0, v4
	v_cndmask_b32_e64 v5, v12, v10, s[0:1]
	v_cndmask_b32_e64 v7, v13, v11, s[0:1]
	v_cndmask_b32_e32 v3, v3, v5, vcc
	v_xor_b32_e32 v5, s38, v8
	v_cndmask_b32_e32 v4, v6, v7, vcc
	v_xor_b32_e32 v3, v3, v5
	v_xor_b32_e32 v4, v4, v5
	v_sub_co_u32_e32 v6, vcc, v3, v5
	v_subb_co_u32_e32 v7, vcc, v4, v5, vcc
.LBB59_5:                               ;   in Loop: Header=BB59_3 Depth=1
	s_andn2_saveexec_b64 s[0:1], s[36:37]
	s_cbranch_execz .LBB59_7
; %bb.6:                                ;   in Loop: Header=BB59_3 Depth=1
	s_sub_i32 s36, 0, s2
	v_mul_lo_u32 v3, s36, v14
	v_mul_hi_u32 v3, v14, v3
	v_add_u32_e32 v3, v14, v3
	v_mul_hi_u32 v3, v0, v3
	v_mul_lo_u32 v4, v3, s2
	v_sub_u32_e32 v4, v0, v4
	v_subrev_u32_e32 v5, s2, v4
	v_cmp_le_u32_e32 vcc, s2, v4
	v_cndmask_b32_e32 v4, v4, v5, vcc
	v_add_u32_e32 v5, 1, v3
	v_cndmask_b32_e32 v3, v3, v5, vcc
	v_add_u32_e32 v5, 1, v3
	v_cmp_le_u32_e32 vcc, s2, v4
	v_cndmask_b32_e32 v6, v3, v5, vcc
	v_mov_b32_e32 v7, v2
.LBB59_7:                               ;   in Loop: Header=BB59_3 Depth=1
	s_or_b64 exec, exec, s[0:1]
	s_waitcnt lgkmcnt(0)
	v_or_b32_e32 v3, s13, v7
	v_cmp_ne_u64_e32 vcc, 0, v[2:3]
                                        ; implicit-def: $vgpr10_vgpr11
	s_and_saveexec_b64 s[0:1], vcc
	s_xor_b64 s[36:37], exec, s[0:1]
	s_cbranch_execz .LBB59_9
; %bb.8:                                ;   in Loop: Header=BB59_3 Depth=1
	s_ashr_i32 s38, s13, 31
	s_add_u32 s0, s12, s38
	s_mov_b32 s39, s38
	s_addc_u32 s1, s13, s38
	s_xor_b64 s[40:41], s[0:1], s[38:39]
	v_cvt_f32_u32_e32 v3, s40
	v_cvt_f32_u32_e32 v4, s41
	s_sub_u32 s0, 0, s40
	s_subb_u32 s1, 0, s41
	v_mac_f32_e32 v3, 0x4f800000, v4
	v_rcp_f32_e32 v3, v3
	v_mul_f32_e32 v3, 0x5f7ffffc, v3
	v_mul_f32_e32 v4, 0x2f800000, v3
	v_trunc_f32_e32 v4, v4
	v_mac_f32_e32 v3, 0xcf800000, v4
	v_cvt_u32_f32_e32 v4, v4
	v_cvt_u32_f32_e32 v3, v3
	v_mul_lo_u32 v5, s0, v4
	v_mul_hi_u32 v9, s0, v3
	v_mul_lo_u32 v8, s1, v3
	v_add_u32_e32 v5, v9, v5
	v_mul_lo_u32 v10, s0, v3
	v_add_u32_e32 v5, v5, v8
	v_mul_lo_u32 v9, v3, v5
	v_mul_hi_u32 v11, v3, v10
	v_mul_hi_u32 v8, v3, v5
	v_add_co_u32_e32 v9, vcc, v11, v9
	v_addc_co_u32_e32 v8, vcc, 0, v8, vcc
	v_mul_hi_u32 v12, v4, v10
	v_mul_lo_u32 v10, v4, v10
	v_add_co_u32_e32 v9, vcc, v9, v10
	v_mul_hi_u32 v11, v4, v5
	v_addc_co_u32_e32 v8, vcc, v8, v12, vcc
	v_addc_co_u32_e32 v9, vcc, 0, v11, vcc
	v_mul_lo_u32 v5, v4, v5
	v_add_co_u32_e32 v5, vcc, v8, v5
	v_addc_co_u32_e32 v8, vcc, 0, v9, vcc
	v_add_co_u32_e32 v3, vcc, v3, v5
	v_addc_co_u32_e32 v4, vcc, v4, v8, vcc
	v_mul_lo_u32 v5, s0, v4
	v_mul_hi_u32 v8, s0, v3
	v_add_u32_e32 v5, v8, v5
	v_mul_lo_u32 v8, s1, v3
	v_add_u32_e32 v5, v5, v8
	v_mul_lo_u32 v9, s0, v3
	v_mul_hi_u32 v10, v4, v9
	v_mul_lo_u32 v11, v4, v9
	v_mul_lo_u32 v13, v3, v5
	v_mul_hi_u32 v9, v3, v9
	v_mul_hi_u32 v12, v3, v5
	v_add_co_u32_e32 v9, vcc, v9, v13
	v_addc_co_u32_e32 v12, vcc, 0, v12, vcc
	v_add_co_u32_e32 v9, vcc, v9, v11
	v_mul_hi_u32 v8, v4, v5
	v_addc_co_u32_e32 v9, vcc, v12, v10, vcc
	v_addc_co_u32_e32 v8, vcc, 0, v8, vcc
	v_mul_lo_u32 v5, v4, v5
	v_add_co_u32_e32 v5, vcc, v9, v5
	v_addc_co_u32_e32 v8, vcc, 0, v8, vcc
	v_add_co_u32_e32 v3, vcc, v3, v5
	v_addc_co_u32_e32 v8, vcc, v4, v8, vcc
	v_ashrrev_i32_e32 v10, 31, v7
	v_add_co_u32_e32 v4, vcc, v6, v10
	v_addc_co_u32_e32 v5, vcc, v7, v10, vcc
	v_xor_b32_e32 v12, v4, v10
	v_xor_b32_e32 v11, v5, v10
	v_mad_u64_u32 v[4:5], s[0:1], v12, v8, 0
	v_mul_hi_u32 v9, v12, v3
	v_add_co_u32_e32 v13, vcc, v9, v4
	v_addc_co_u32_e32 v15, vcc, 0, v5, vcc
	v_mad_u64_u32 v[4:5], s[0:1], v11, v8, 0
	v_mad_u64_u32 v[8:9], s[0:1], v11, v3, 0
	v_add_co_u32_e32 v3, vcc, v13, v8
	v_addc_co_u32_e32 v3, vcc, v15, v9, vcc
	v_addc_co_u32_e32 v5, vcc, 0, v5, vcc
	v_add_co_u32_e32 v3, vcc, v3, v4
	v_addc_co_u32_e32 v8, vcc, 0, v5, vcc
	v_mul_lo_u32 v9, s41, v3
	v_mul_lo_u32 v13, s40, v8
	v_mad_u64_u32 v[4:5], s[0:1], s40, v3, 0
	v_add3_u32 v5, v5, v13, v9
	v_sub_u32_e32 v9, v11, v5
	v_mov_b32_e32 v13, s41
	v_sub_co_u32_e32 v4, vcc, v12, v4
	v_subb_co_u32_e64 v9, s[0:1], v9, v13, vcc
	v_subrev_co_u32_e64 v12, s[0:1], s40, v4
	v_subbrev_co_u32_e64 v9, s[0:1], 0, v9, s[0:1]
	v_cmp_le_u32_e64 s[0:1], s41, v9
	v_cndmask_b32_e64 v13, 0, -1, s[0:1]
	v_cmp_le_u32_e64 s[0:1], s40, v12
	v_cndmask_b32_e64 v12, 0, -1, s[0:1]
	v_cmp_eq_u32_e64 s[0:1], s41, v9
	v_cndmask_b32_e64 v9, v13, v12, s[0:1]
	v_add_co_u32_e64 v12, s[0:1], 2, v3
	v_subb_co_u32_e32 v5, vcc, v11, v5, vcc
	v_addc_co_u32_e64 v13, s[0:1], 0, v8, s[0:1]
	v_cmp_le_u32_e32 vcc, s41, v5
	v_add_co_u32_e64 v15, s[0:1], 1, v3
	v_cndmask_b32_e64 v11, 0, -1, vcc
	v_cmp_le_u32_e32 vcc, s40, v4
	v_addc_co_u32_e64 v16, s[0:1], 0, v8, s[0:1]
	v_cndmask_b32_e64 v4, 0, -1, vcc
	v_cmp_eq_u32_e32 vcc, s41, v5
	v_cmp_ne_u32_e64 s[0:1], 0, v9
	v_cndmask_b32_e32 v4, v11, v4, vcc
	v_cmp_ne_u32_e32 vcc, 0, v4
	v_cndmask_b32_e64 v5, v15, v12, s[0:1]
	v_cndmask_b32_e64 v9, v16, v13, s[0:1]
	v_cndmask_b32_e32 v3, v3, v5, vcc
	v_xor_b32_e32 v5, s38, v10
	v_cndmask_b32_e32 v4, v8, v9, vcc
	v_xor_b32_e32 v3, v3, v5
	v_xor_b32_e32 v4, v4, v5
	v_sub_co_u32_e32 v10, vcc, v3, v5
	v_subb_co_u32_e32 v11, vcc, v4, v5, vcc
.LBB59_9:                               ;   in Loop: Header=BB59_3 Depth=1
	s_andn2_saveexec_b64 s[0:1], s[36:37]
	s_cbranch_execz .LBB59_11
; %bb.10:                               ;   in Loop: Header=BB59_3 Depth=1
	v_cvt_f32_u32_e32 v3, s12
	s_sub_i32 s36, 0, s12
	v_mov_b32_e32 v11, v2
	v_rcp_iflag_f32_e32 v3, v3
	v_mul_f32_e32 v3, 0x4f7ffffe, v3
	v_cvt_u32_f32_e32 v3, v3
	v_mul_lo_u32 v4, s36, v3
	v_mul_hi_u32 v4, v3, v4
	v_add_u32_e32 v3, v3, v4
	v_mul_hi_u32 v3, v6, v3
	v_mul_lo_u32 v4, v3, s12
	v_sub_u32_e32 v4, v6, v4
	v_add_u32_e32 v5, 1, v3
	v_subrev_u32_e32 v8, s12, v4
	v_cmp_le_u32_e32 vcc, s12, v4
	v_cndmask_b32_e32 v4, v4, v8, vcc
	v_cndmask_b32_e32 v3, v3, v5, vcc
	v_add_u32_e32 v5, 1, v3
	v_cmp_le_u32_e32 vcc, s12, v4
	v_cndmask_b32_e32 v10, v3, v5, vcc
.LBB59_11:                              ;   in Loop: Header=BB59_3 Depth=1
	s_or_b64 exec, exec, s[0:1]
	v_mul_lo_u32 v3, v7, s2
	v_mul_lo_u32 v8, v6, s3
	v_mad_u64_u32 v[4:5], s[0:1], v6, s2, 0
	v_add3_u32 v3, v5, v8, v3
	v_sub_co_u32_e32 v4, vcc, v0, v4
	v_subb_co_u32_e32 v5, vcc, v1, v3, vcc
	v_mul_lo_u32 v3, v11, s12
	v_mul_lo_u32 v12, v10, s13
	v_mad_u64_u32 v[8:9], s[0:1], v10, s12, 0
	v_add3_u32 v3, v9, v12, v3
	v_sub_co_u32_e32 v15, vcc, v6, v8
	v_subb_co_u32_e32 v16, vcc, v7, v3, vcc
	v_mul_lo_u32 v3, s19, v4
	v_mul_lo_u32 v8, s18, v5
	v_mad_u64_u32 v[6:7], s[0:1], s18, v4, 0
	v_add3_u32 v7, v7, v8, v3
	v_mul_lo_u32 v3, s23, v4
	v_mul_lo_u32 v8, s22, v5
	v_mad_u64_u32 v[12:13], s[0:1], s22, v4, 0
	v_add3_u32 v13, v13, v8, v3
	v_mad_u64_u32 v[8:9], s[0:1], s16, v15, v[6:7]
	v_mul_lo_u32 v3, s16, v16
	v_mul_lo_u32 v6, s17, v15
	v_add3_u32 v9, v6, v9, v3
	v_mad_u64_u32 v[6:7], s[0:1], s20, v15, v[12:13]
	v_mul_lo_u32 v3, s20, v16
	v_mul_lo_u32 v12, s21, v15
	v_add3_u32 v7, v12, v7, v3
	s_and_b64 vcc, exec, s[24:25]
	s_mov_b64 s[36:37], s[30:31]
	s_mov_b64 s[38:39], s[28:29]
	;; [unrolled: 1-line block ×3, first 2 shown]
	s_cbranch_vccnz .LBB59_28
.LBB59_12:                              ;   in Loop: Header=BB59_3 Depth=1
	v_sub_co_u32_e32 v10, vcc, v4, v15
	v_subb_co_u32_e32 v11, vcc, v5, v16, vcc
	v_add_co_u32_e32 v12, vcc, 4, v10
	v_addc_co_u32_e32 v13, vcc, 0, v11, vcc
	v_cmp_le_i64_e32 vcc, s[8:9], v[12:13]
	v_mov_b32_e32 v3, 0
	s_and_saveexec_b64 s[0:1], vcc
	s_cbranch_execz .LBB59_22
; %bb.13:                               ;   in Loop: Header=BB59_3 Depth=1
	v_cmp_gt_i64_e32 vcc, s[14:15], v[4:5]
	v_mov_b32_e32 v3, 0
	s_and_saveexec_b64 s[36:37], vcc
	s_cbranch_execz .LBB59_21
; %bb.14:                               ;   in Loop: Header=BB59_3 Depth=1
	v_mov_b32_e32 v3, s7
	v_add_co_u32_e32 v8, vcc, s6, v8
	v_addc_co_u32_e32 v9, vcc, v3, v9, vcc
	global_load_ubyte v3, v[8:9], off
	v_add_co_u32_e32 v12, vcc, 1, v4
	v_addc_co_u32_e32 v13, vcc, 0, v5, vcc
	v_cmp_gt_i64_e32 vcc, s[14:15], v[12:13]
	s_and_saveexec_b64 s[38:39], vcc
	s_xor_b64 s[38:39], exec, s[38:39]
	s_cbranch_execz .LBB59_20
; %bb.15:                               ;   in Loop: Header=BB59_3 Depth=1
	v_mov_b32_e32 v12, s19
	v_add_co_u32_e32 v8, vcc, s18, v8
	v_addc_co_u32_e32 v9, vcc, v9, v12, vcc
	global_load_ubyte v15, v[8:9], off
	v_add_co_u32_e32 v12, vcc, 2, v4
	v_addc_co_u32_e32 v13, vcc, 0, v5, vcc
	v_cmp_gt_i64_e32 vcc, s[14:15], v[12:13]
	s_waitcnt vmcnt(0)
	v_lshlrev_b16_e32 v15, 8, v15
	v_or_b32_e32 v3, v3, v15
	v_and_b32_e32 v3, 0xffff, v3
	s_and_saveexec_b64 s[40:41], vcc
	s_xor_b64 s[40:41], exec, s[40:41]
	s_cbranch_execz .LBB59_19
; %bb.16:                               ;   in Loop: Header=BB59_3 Depth=1
	v_mov_b32_e32 v12, s19
	v_add_co_u32_e32 v8, vcc, s18, v8
	v_addc_co_u32_e32 v9, vcc, v9, v12, vcc
	global_load_ubyte v15, v[8:9], off
	v_add_co_u32_e32 v12, vcc, 3, v4
	v_addc_co_u32_e32 v13, vcc, 0, v5, vcc
	v_cmp_gt_i64_e32 vcc, s[14:15], v[12:13]
	s_waitcnt vmcnt(0)
	v_lshl_or_b32 v3, v15, 16, v3
	s_and_saveexec_b64 s[42:43], vcc
	s_xor_b64 s[42:43], exec, s[42:43]
	s_cbranch_execz .LBB59_18
; %bb.17:                               ;   in Loop: Header=BB59_3 Depth=1
	v_mov_b32_e32 v12, s19
	v_add_co_u32_e32 v8, vcc, s18, v8
	v_addc_co_u32_e32 v9, vcc, v9, v12, vcc
	global_load_ubyte v8, v[8:9], off
	s_waitcnt vmcnt(0)
	v_lshlrev_b16_e32 v8, 8, v8
	v_or_b32_sdwa v8, v3, v8 dst_sel:WORD_1 dst_unused:UNUSED_PAD src0_sel:WORD_1 src1_sel:DWORD
	v_and_or_b32 v3, v3, s33, v8
.LBB59_18:                              ;   in Loop: Header=BB59_3 Depth=1
	s_or_b64 exec, exec, s[42:43]
.LBB59_19:                              ;   in Loop: Header=BB59_3 Depth=1
	s_or_b64 exec, exec, s[40:41]
.LBB59_20:                              ;   in Loop: Header=BB59_3 Depth=1
	s_or_b64 exec, exec, s[38:39]
.LBB59_21:                              ;   in Loop: Header=BB59_3 Depth=1
	s_or_b64 exec, exec, s[36:37]
	v_cmp_le_i64_e32 vcc, s[8:9], v[10:11]
	s_waitcnt vmcnt(0)
	v_cndmask_b32_e32 v13, 0, v3, vcc
	v_add_co_u32_e32 v8, vcc, 1, v10
	v_addc_co_u32_e32 v9, vcc, 0, v11, vcc
	v_lshrrev_b32_e32 v15, 8, v3
	v_cmp_le_i64_e32 vcc, s[8:9], v[8:9]
	v_cndmask_b32_e32 v15, 0, v15, vcc
	v_add_co_u32_e32 v8, vcc, 2, v10
	v_addc_co_u32_e32 v9, vcc, 0, v11, vcc
	v_lshrrev_b32_e32 v12, 16, v3
	v_cmp_le_i64_e32 vcc, s[8:9], v[8:9]
	;; [unrolled: 5-line block ×3, first 2 shown]
	v_cndmask_b32_e32 v3, 0, v3, vcc
	v_lshlrev_b16_e32 v3, 8, v3
	v_lshlrev_b16_e32 v8, 8, v15
	v_or_b32_sdwa v3, v12, v3 dst_sel:WORD_1 dst_unused:UNUSED_PAD src0_sel:BYTE_0 src1_sel:DWORD
	v_or_b32_sdwa v8, v13, v8 dst_sel:DWORD dst_unused:UNUSED_PAD src0_sel:BYTE_0 src1_sel:DWORD
	v_or_b32_sdwa v3, v8, v3 dst_sel:DWORD dst_unused:UNUSED_PAD src0_sel:WORD_0 src1_sel:DWORD
.LBB59_22:                              ;   in Loop: Header=BB59_3 Depth=1
	s_or_b64 exec, exec, s[0:1]
	v_cmp_gt_i64_e32 vcc, s[14:15], v[4:5]
	s_and_saveexec_b64 s[0:1], vcc
	s_cbranch_execz .LBB59_2
; %bb.23:                               ;   in Loop: Header=BB59_3 Depth=1
	v_mov_b32_e32 v8, s5
	v_add_co_u32_e32 v6, vcc, s4, v6
	v_addc_co_u32_e32 v7, vcc, v8, v7, vcc
	v_add_co_u32_e32 v8, vcc, 1, v4
	v_addc_co_u32_e32 v9, vcc, 0, v5, vcc
	v_cmp_gt_i64_e32 vcc, s[14:15], v[8:9]
	global_store_byte v[6:7], v3, off
	s_and_saveexec_b64 s[36:37], vcc
	s_xor_b64 s[36:37], exec, s[36:37]
	s_cbranch_execz .LBB59_2
; %bb.24:                               ;   in Loop: Header=BB59_3 Depth=1
	v_mov_b32_e32 v9, s23
	v_add_co_u32_e32 v6, vcc, s22, v6
	v_lshrrev_b32_e32 v8, 8, v3
	v_addc_co_u32_e32 v7, vcc, v7, v9, vcc
	global_store_byte v[6:7], v8, off
	v_add_co_u32_e32 v8, vcc, 2, v4
	v_addc_co_u32_e32 v9, vcc, 0, v5, vcc
	v_cmp_gt_i64_e32 vcc, s[14:15], v[8:9]
	s_and_saveexec_b64 s[36:37], vcc
	s_xor_b64 s[36:37], exec, s[36:37]
	s_cbranch_execz .LBB59_2
; %bb.25:                               ;   in Loop: Header=BB59_3 Depth=1
	v_mov_b32_e32 v8, s23
	v_add_co_u32_e32 v6, vcc, s22, v6
	v_addc_co_u32_e32 v7, vcc, v7, v8, vcc
	v_add_co_u32_e32 v4, vcc, 3, v4
	v_addc_co_u32_e32 v5, vcc, 0, v5, vcc
	v_cmp_gt_i64_e32 vcc, s[14:15], v[4:5]
	global_store_byte_d16_hi v[6:7], v3, off
	s_and_saveexec_b64 s[36:37], vcc
	s_xor_b64 s[36:37], exec, s[36:37]
	s_cbranch_execz .LBB59_2
; %bb.26:                               ;   in Loop: Header=BB59_3 Depth=1
	v_mov_b32_e32 v5, s23
	v_add_co_u32_e32 v4, vcc, s22, v6
	v_lshrrev_b32_e32 v3, 24, v3
	v_addc_co_u32_e32 v5, vcc, v7, v5, vcc
	global_store_byte v[4:5], v3, off
	s_branch .LBB59_2
.LBB59_27:                              ;   in Loop: Header=BB59_28 Depth=2
	s_or_b64 exec, exec, s[0:1]
	v_mad_u64_u32 v[18:19], s[0:1], v12, s42, 0
	v_mul_lo_u32 v3, v13, s42
	v_mul_lo_u32 v17, v12, s43
	s_load_dwordx2 s[0:1], s[38:39], 0xc8
	s_load_dwordx2 s[42:43], s[40:41], 0x0
	s_add_u32 s40, s40, -8
	s_addc_u32 s41, s41, -1
	s_add_u32 s38, s38, -8
	v_add3_u32 v3, v19, v17, v3
	v_sub_co_u32_e32 v10, vcc, v10, v18
	s_addc_u32 s39, s39, -1
	v_subb_co_u32_e32 v3, vcc, v11, v3, vcc
	s_add_u32 s36, s36, -1
	s_waitcnt lgkmcnt(0)
	v_mul_lo_u32 v11, s0, v3
	v_mul_lo_u32 v17, s1, v10
	v_mad_u64_u32 v[8:9], s[0:1], s0, v10, v[8:9]
	v_mad_u64_u32 v[6:7], s[0:1], s42, v10, v[6:7]
	s_addc_u32 s37, s37, -1
	v_add3_u32 v9, v17, v9, v11
	v_mul_lo_u32 v3, s42, v3
	v_mul_lo_u32 v11, s43, v10
	v_cmp_lt_i64_e64 s[0:1], s[36:37], 1
	v_add3_u32 v7, v11, v7, v3
	s_and_b64 vcc, exec, s[0:1]
	v_pk_mov_b32 v[10:11], v[12:13], v[12:13] op_sel:[0,1]
	s_cbranch_vccnz .LBB59_12
.LBB59_28:                              ;   Parent Loop BB59_3 Depth=1
                                        ; =>  This Inner Loop Header: Depth=2
	s_load_dwordx2 s[42:43], s[38:39], 0x0
                                        ; implicit-def: $vgpr12_vgpr13
	s_waitcnt lgkmcnt(0)
	v_or_b32_e32 v3, s43, v11
	v_cmp_ne_u64_e32 vcc, 0, v[2:3]
	s_and_saveexec_b64 s[0:1], vcc
	s_xor_b64 s[44:45], exec, s[0:1]
	s_cbranch_execz .LBB59_30
; %bb.29:                               ;   in Loop: Header=BB59_28 Depth=2
	s_ashr_i32 s46, s43, 31
	s_add_u32 s0, s42, s46
	s_mov_b32 s47, s46
	s_addc_u32 s1, s43, s46
	s_xor_b64 s[48:49], s[0:1], s[46:47]
	v_cvt_f32_u32_e32 v3, s48
	v_cvt_f32_u32_e32 v12, s49
	s_sub_u32 s0, 0, s48
	s_subb_u32 s1, 0, s49
	v_mac_f32_e32 v3, 0x4f800000, v12
	v_rcp_f32_e32 v3, v3
	v_mul_f32_e32 v3, 0x5f7ffffc, v3
	v_mul_f32_e32 v12, 0x2f800000, v3
	v_trunc_f32_e32 v12, v12
	v_mac_f32_e32 v3, 0xcf800000, v12
	v_cvt_u32_f32_e32 v12, v12
	v_cvt_u32_f32_e32 v3, v3
	v_mul_lo_u32 v13, s0, v12
	v_mul_hi_u32 v18, s0, v3
	v_mul_lo_u32 v17, s1, v3
	v_add_u32_e32 v13, v18, v13
	v_mul_lo_u32 v19, s0, v3
	v_add_u32_e32 v13, v13, v17
	v_mul_lo_u32 v18, v3, v13
	v_mul_hi_u32 v20, v3, v19
	v_mul_hi_u32 v17, v3, v13
	v_add_co_u32_e32 v18, vcc, v20, v18
	v_addc_co_u32_e32 v17, vcc, 0, v17, vcc
	v_mul_hi_u32 v21, v12, v19
	v_mul_lo_u32 v19, v12, v19
	v_add_co_u32_e32 v18, vcc, v18, v19
	v_mul_hi_u32 v20, v12, v13
	v_addc_co_u32_e32 v17, vcc, v17, v21, vcc
	v_addc_co_u32_e32 v18, vcc, 0, v20, vcc
	v_mul_lo_u32 v13, v12, v13
	v_add_co_u32_e32 v13, vcc, v17, v13
	v_addc_co_u32_e32 v17, vcc, 0, v18, vcc
	v_add_co_u32_e32 v3, vcc, v3, v13
	v_addc_co_u32_e32 v12, vcc, v12, v17, vcc
	v_mul_lo_u32 v13, s0, v12
	v_mul_hi_u32 v17, s0, v3
	v_add_u32_e32 v13, v17, v13
	v_mul_lo_u32 v17, s1, v3
	v_add_u32_e32 v13, v13, v17
	v_mul_lo_u32 v18, s0, v3
	v_mul_hi_u32 v19, v12, v18
	v_mul_lo_u32 v20, v12, v18
	v_mul_lo_u32 v22, v3, v13
	v_mul_hi_u32 v18, v3, v18
	v_mul_hi_u32 v21, v3, v13
	v_add_co_u32_e32 v18, vcc, v18, v22
	v_addc_co_u32_e32 v21, vcc, 0, v21, vcc
	v_add_co_u32_e32 v18, vcc, v18, v20
	v_mul_hi_u32 v17, v12, v13
	v_addc_co_u32_e32 v18, vcc, v21, v19, vcc
	v_addc_co_u32_e32 v17, vcc, 0, v17, vcc
	v_mul_lo_u32 v13, v12, v13
	v_add_co_u32_e32 v13, vcc, v18, v13
	v_addc_co_u32_e32 v17, vcc, 0, v17, vcc
	v_add_co_u32_e32 v3, vcc, v3, v13
	v_addc_co_u32_e32 v17, vcc, v12, v17, vcc
	v_ashrrev_i32_e32 v20, 31, v11
	v_add_co_u32_e32 v12, vcc, v10, v20
	v_addc_co_u32_e32 v13, vcc, v11, v20, vcc
	v_xor_b32_e32 v22, v12, v20
	v_xor_b32_e32 v21, v13, v20
	v_mad_u64_u32 v[12:13], s[0:1], v22, v17, 0
	v_mul_hi_u32 v18, v22, v3
	v_add_co_u32_e32 v23, vcc, v18, v12
	v_addc_co_u32_e32 v24, vcc, 0, v13, vcc
	v_mad_u64_u32 v[18:19], s[0:1], v21, v3, 0
	v_add_co_u32_e32 v3, vcc, v23, v18
	v_mad_u64_u32 v[12:13], s[0:1], v21, v17, 0
	v_addc_co_u32_e32 v3, vcc, v24, v19, vcc
	v_addc_co_u32_e32 v13, vcc, 0, v13, vcc
	v_add_co_u32_e32 v3, vcc, v3, v12
	v_addc_co_u32_e32 v17, vcc, 0, v13, vcc
	v_mul_lo_u32 v18, s49, v3
	v_mul_lo_u32 v19, s48, v17
	v_mad_u64_u32 v[12:13], s[0:1], s48, v3, 0
	v_add3_u32 v13, v13, v19, v18
	v_sub_u32_e32 v18, v21, v13
	v_mov_b32_e32 v19, s49
	v_sub_co_u32_e32 v12, vcc, v22, v12
	v_subb_co_u32_e64 v18, s[0:1], v18, v19, vcc
	v_subrev_co_u32_e64 v19, s[0:1], s48, v12
	v_subbrev_co_u32_e64 v18, s[0:1], 0, v18, s[0:1]
	v_cmp_le_u32_e64 s[0:1], s49, v18
	v_cndmask_b32_e64 v22, 0, -1, s[0:1]
	v_cmp_le_u32_e64 s[0:1], s48, v19
	v_cndmask_b32_e64 v19, 0, -1, s[0:1]
	v_cmp_eq_u32_e64 s[0:1], s49, v18
	v_cndmask_b32_e64 v18, v22, v19, s[0:1]
	v_add_co_u32_e64 v19, s[0:1], 2, v3
	v_subb_co_u32_e32 v13, vcc, v21, v13, vcc
	v_addc_co_u32_e64 v22, s[0:1], 0, v17, s[0:1]
	v_cmp_le_u32_e32 vcc, s49, v13
	v_add_co_u32_e64 v23, s[0:1], 1, v3
	v_cndmask_b32_e64 v21, 0, -1, vcc
	v_cmp_le_u32_e32 vcc, s48, v12
	v_addc_co_u32_e64 v24, s[0:1], 0, v17, s[0:1]
	v_cndmask_b32_e64 v12, 0, -1, vcc
	v_cmp_eq_u32_e32 vcc, s49, v13
	v_cmp_ne_u32_e64 s[0:1], 0, v18
	v_cndmask_b32_e32 v12, v21, v12, vcc
	v_cmp_ne_u32_e32 vcc, 0, v12
	v_cndmask_b32_e64 v13, v23, v19, s[0:1]
	v_cndmask_b32_e64 v18, v24, v22, s[0:1]
	v_cndmask_b32_e32 v3, v3, v13, vcc
	v_xor_b32_e32 v13, s46, v20
	v_cndmask_b32_e32 v12, v17, v18, vcc
	v_xor_b32_e32 v3, v3, v13
	v_xor_b32_e32 v17, v12, v13
	v_sub_co_u32_e32 v12, vcc, v3, v13
	v_subb_co_u32_e32 v13, vcc, v17, v13, vcc
.LBB59_30:                              ;   in Loop: Header=BB59_28 Depth=2
	s_andn2_saveexec_b64 s[0:1], s[44:45]
	s_cbranch_execz .LBB59_27
; %bb.31:                               ;   in Loop: Header=BB59_28 Depth=2
	v_cvt_f32_u32_e32 v3, s42
	s_sub_i32 s44, 0, s42
	v_rcp_iflag_f32_e32 v3, v3
	v_mul_f32_e32 v3, 0x4f7ffffe, v3
	v_cvt_u32_f32_e32 v3, v3
	v_mul_lo_u32 v12, s44, v3
	v_mul_hi_u32 v12, v3, v12
	v_add_u32_e32 v3, v3, v12
	v_mul_hi_u32 v3, v10, v3
	v_mul_lo_u32 v12, v3, s42
	v_sub_u32_e32 v12, v10, v12
	v_add_u32_e32 v13, 1, v3
	v_subrev_u32_e32 v17, s42, v12
	v_cmp_le_u32_e32 vcc, s42, v12
	v_cndmask_b32_e32 v12, v12, v17, vcc
	v_cndmask_b32_e32 v3, v3, v13, vcc
	v_add_u32_e32 v13, 1, v3
	v_cmp_le_u32_e32 vcc, s42, v12
	v_cndmask_b32_e32 v12, v3, v13, vcc
	v_mov_b32_e32 v13, v2
	s_branch .LBB59_27
.LBB59_32:
	s_endpgm
	.section	.rodata,"a",@progbits
	.p2align	6, 0x0
	.amdhsa_kernel _ZN2at6native16triu_tril_kernelIalLb1ELi4ELb0EEEvNS_4cuda6detail10TensorInfoIT_T0_EENS4_IKS5_S6_EEllS6_
		.amdhsa_group_segment_fixed_size 0
		.amdhsa_private_segment_fixed_size 0
		.amdhsa_kernarg_size 1112
		.amdhsa_user_sgpr_count 6
		.amdhsa_user_sgpr_private_segment_buffer 1
		.amdhsa_user_sgpr_dispatch_ptr 0
		.amdhsa_user_sgpr_queue_ptr 0
		.amdhsa_user_sgpr_kernarg_segment_ptr 1
		.amdhsa_user_sgpr_dispatch_id 0
		.amdhsa_user_sgpr_flat_scratch_init 0
		.amdhsa_user_sgpr_kernarg_preload_length 0
		.amdhsa_user_sgpr_kernarg_preload_offset 0
		.amdhsa_user_sgpr_private_segment_size 0
		.amdhsa_uses_dynamic_stack 0
		.amdhsa_system_sgpr_private_segment_wavefront_offset 0
		.amdhsa_system_sgpr_workgroup_id_x 1
		.amdhsa_system_sgpr_workgroup_id_y 0
		.amdhsa_system_sgpr_workgroup_id_z 0
		.amdhsa_system_sgpr_workgroup_info 0
		.amdhsa_system_vgpr_workitem_id 0
		.amdhsa_next_free_vgpr 25
		.amdhsa_next_free_sgpr 52
		.amdhsa_accum_offset 28
		.amdhsa_reserve_vcc 1
		.amdhsa_reserve_flat_scratch 0
		.amdhsa_float_round_mode_32 0
		.amdhsa_float_round_mode_16_64 0
		.amdhsa_float_denorm_mode_32 3
		.amdhsa_float_denorm_mode_16_64 3
		.amdhsa_dx10_clamp 1
		.amdhsa_ieee_mode 1
		.amdhsa_fp16_overflow 0
		.amdhsa_tg_split 0
		.amdhsa_exception_fp_ieee_invalid_op 0
		.amdhsa_exception_fp_denorm_src 0
		.amdhsa_exception_fp_ieee_div_zero 0
		.amdhsa_exception_fp_ieee_overflow 0
		.amdhsa_exception_fp_ieee_underflow 0
		.amdhsa_exception_fp_ieee_inexact 0
		.amdhsa_exception_int_div_zero 0
	.end_amdhsa_kernel
	.section	.text._ZN2at6native16triu_tril_kernelIalLb1ELi4ELb0EEEvNS_4cuda6detail10TensorInfoIT_T0_EENS4_IKS5_S6_EEllS6_,"axG",@progbits,_ZN2at6native16triu_tril_kernelIalLb1ELi4ELb0EEEvNS_4cuda6detail10TensorInfoIT_T0_EENS4_IKS5_S6_EEllS6_,comdat
.Lfunc_end59:
	.size	_ZN2at6native16triu_tril_kernelIalLb1ELi4ELb0EEEvNS_4cuda6detail10TensorInfoIT_T0_EENS4_IKS5_S6_EEllS6_, .Lfunc_end59-_ZN2at6native16triu_tril_kernelIalLb1ELi4ELb0EEEvNS_4cuda6detail10TensorInfoIT_T0_EENS4_IKS5_S6_EEllS6_
                                        ; -- End function
	.section	.AMDGPU.csdata,"",@progbits
; Kernel info:
; codeLenInByte = 3708
; NumSgprs: 56
; NumVgprs: 25
; NumAgprs: 0
; TotalNumVgprs: 25
; ScratchSize: 0
; MemoryBound: 0
; FloatMode: 240
; IeeeMode: 1
; LDSByteSize: 0 bytes/workgroup (compile time only)
; SGPRBlocks: 6
; VGPRBlocks: 3
; NumSGPRsForWavesPerEU: 56
; NumVGPRsForWavesPerEU: 25
; AccumOffset: 28
; Occupancy: 8
; WaveLimiterHint : 0
; COMPUTE_PGM_RSRC2:SCRATCH_EN: 0
; COMPUTE_PGM_RSRC2:USER_SGPR: 6
; COMPUTE_PGM_RSRC2:TRAP_HANDLER: 0
; COMPUTE_PGM_RSRC2:TGID_X_EN: 1
; COMPUTE_PGM_RSRC2:TGID_Y_EN: 0
; COMPUTE_PGM_RSRC2:TGID_Z_EN: 0
; COMPUTE_PGM_RSRC2:TIDIG_COMP_CNT: 0
; COMPUTE_PGM_RSRC3_GFX90A:ACCUM_OFFSET: 6
; COMPUTE_PGM_RSRC3_GFX90A:TG_SPLIT: 0
	.section	.text._ZN2at6native16triu_tril_kernelIiiLb1ELi2ELb1EEEvNS_4cuda6detail10TensorInfoIT_T0_EENS4_IKS5_S6_EEllS6_,"axG",@progbits,_ZN2at6native16triu_tril_kernelIiiLb1ELi2ELb1EEEvNS_4cuda6detail10TensorInfoIT_T0_EENS4_IKS5_S6_EEllS6_,comdat
	.protected	_ZN2at6native16triu_tril_kernelIiiLb1ELi2ELb1EEEvNS_4cuda6detail10TensorInfoIT_T0_EENS4_IKS5_S6_EEllS6_ ; -- Begin function _ZN2at6native16triu_tril_kernelIiiLb1ELi2ELb1EEEvNS_4cuda6detail10TensorInfoIT_T0_EENS4_IKS5_S6_EEllS6_
	.globl	_ZN2at6native16triu_tril_kernelIiiLb1ELi2ELb1EEEvNS_4cuda6detail10TensorInfoIT_T0_EENS4_IKS5_S6_EEllS6_
	.p2align	8
	.type	_ZN2at6native16triu_tril_kernelIiiLb1ELi2ELb1EEEvNS_4cuda6detail10TensorInfoIT_T0_EENS4_IKS5_S6_EEllS6_,@function
_ZN2at6native16triu_tril_kernelIiiLb1ELi2ELb1EEEvNS_4cuda6detail10TensorInfoIT_T0_EENS4_IKS5_S6_EEllS6_: ; @_ZN2at6native16triu_tril_kernelIiiLb1ELi2ELb1EEEvNS_4cuda6detail10TensorInfoIT_T0_EENS4_IKS5_S6_EEllS6_
; %bb.0:
	s_load_dword s2, s[4:5], 0x1d4
	s_load_dwordx4 s[8:11], s[4:5], 0x1b0
	s_add_u32 s0, s4, 0x1c8
	v_mov_b32_e32 v2, 0
	s_addc_u32 s1, s5, 0
	s_waitcnt lgkmcnt(0)
	s_and_b32 s7, s2, 0xffff
	v_mov_b32_e32 v1, v2
	v_mov_b32_e32 v3, s6
	v_mad_u64_u32 v[0:1], s[2:3], s7, v3, v[0:1]
	v_lshlrev_b64 v[0:1], 1, v[0:1]
	v_cmp_gt_i64_e32 vcc, s[10:11], v[0:1]
	s_and_saveexec_b64 s[2:3], vcc
	s_cbranch_execz .LBB60_61
; %bb.1:
	s_load_dword s33, s[4:5], 0x1c0
	s_load_dword s14, s[4:5], 0x1a8
	;; [unrolled: 1-line block ×3, first 2 shown]
	s_load_dwordx2 s[2:3], s[4:5], 0x0
	s_mov_b64 s[22:23], 0
	s_waitcnt lgkmcnt(0)
	s_ashr_i32 s38, s33, 31
	s_ashr_i32 s15, s14, 31
	s_add_u32 s39, s4, 0xe0
	s_addc_u32 s40, s5, 0
	s_add_i32 s0, s14, -2
	s_ashr_i32 s1, s0, 31
	s_lshl_b64 s[12:13], s[0:1], 2
	s_add_u32 s16, s39, s12
	s_addc_u32 s17, s40, s13
	s_load_dword s41, s[16:17], 0x0
	s_lshl_b64 s[16:17], s[14:15], 2
	s_mul_i32 s1, s6, s7
	v_cmp_gt_i64_e64 s[6:7], s[14:15], 2
	v_cvt_f32_u32_e32 v3, s33
	s_waitcnt lgkmcnt(0)
	s_ashr_i32 s42, s41, 31
	s_add_u32 s15, s16, -4
	s_addc_u32 s16, s17, -1
	s_add_u32 s43, s4, 0x6c
	s_addc_u32 s44, s5, 0
	s_add_u32 s4, s43, s15
	v_rcp_iflag_f32_e32 v3, v3
	s_addc_u32 s5, s44, s16
	s_add_u32 s12, s43, s12
	s_addc_u32 s13, s44, s13
	s_add_i32 s45, s14, -3
	s_add_u32 s14, s39, s15
	v_mul_f32_e32 v3, 0x4f7ffffe, v3
	s_addc_u32 s15, s40, s16
	s_lshl_b32 s46, s1, 1
	s_and_b32 s48, s0, 7
	v_cvt_u32_f32_e32 v24, v3
	s_cmp_lg_u32 s48, 0
	s_mov_b32 s17, 0
	s_cselect_b64 s[18:19], -1, 0
	s_cmp_gt_u32 s45, 6
	s_mov_b32 s47, s17
	s_cselect_b64 s[20:21], -1, 0
	s_branch .LBB60_3
.LBB60_2:                               ;   in Loop: Header=BB60_3 Depth=1
	s_or_b64 exec, exec, s[24:25]
	v_mov_b32_e32 v3, s47
	v_add_co_u32_e32 v0, vcc, s46, v0
	v_addc_co_u32_e32 v1, vcc, v1, v3, vcc
	v_cmp_le_i64_e32 vcc, s[10:11], v[0:1]
	s_or_b64 s[22:23], vcc, s[22:23]
	s_andn2_b64 exec, exec, s[22:23]
	s_cbranch_execz .LBB60_61
.LBB60_3:                               ; =>This Loop Header: Depth=1
                                        ;     Child Loop BB60_16 Depth 2
                                        ;     Child Loop BB60_23 Depth 2
	v_or_b32_e32 v3, s38, v1
	v_cmp_ne_u64_e32 vcc, 0, v[2:3]
                                        ; implicit-def: $vgpr4_vgpr5
	s_and_saveexec_b64 s[0:1], vcc
	s_xor_b64 s[24:25], exec, s[0:1]
	s_cbranch_execz .LBB60_5
; %bb.4:                                ;   in Loop: Header=BB60_3 Depth=1
	s_add_u32 s0, s33, s38
	s_mov_b32 s26, s38
	s_mov_b32 s27, s38
	s_addc_u32 s1, s38, s38
	s_xor_b64 s[28:29], s[0:1], s[26:27]
	v_cvt_f32_u32_e32 v3, s28
	v_cvt_f32_u32_e32 v4, s29
	s_sub_u32 s0, 0, s28
	s_subb_u32 s1, 0, s29
	v_mac_f32_e32 v3, 0x4f800000, v4
	v_rcp_f32_e32 v3, v3
	v_mul_f32_e32 v3, 0x5f7ffffc, v3
	v_mul_f32_e32 v4, 0x2f800000, v3
	v_trunc_f32_e32 v4, v4
	v_mac_f32_e32 v3, 0xcf800000, v4
	v_cvt_u32_f32_e32 v4, v4
	v_cvt_u32_f32_e32 v3, v3
	v_mul_lo_u32 v5, s0, v4
	v_mul_hi_u32 v7, s0, v3
	v_mul_lo_u32 v6, s1, v3
	v_add_u32_e32 v5, v7, v5
	v_mul_lo_u32 v8, s0, v3
	v_add_u32_e32 v5, v5, v6
	v_mul_lo_u32 v7, v3, v5
	v_mul_hi_u32 v9, v3, v8
	v_mul_hi_u32 v6, v3, v5
	v_add_co_u32_e32 v7, vcc, v9, v7
	v_addc_co_u32_e32 v6, vcc, 0, v6, vcc
	v_mul_hi_u32 v10, v4, v8
	v_mul_lo_u32 v8, v4, v8
	v_add_co_u32_e32 v7, vcc, v7, v8
	v_mul_hi_u32 v9, v4, v5
	v_addc_co_u32_e32 v6, vcc, v6, v10, vcc
	v_addc_co_u32_e32 v7, vcc, 0, v9, vcc
	v_mul_lo_u32 v5, v4, v5
	v_add_co_u32_e32 v5, vcc, v6, v5
	v_addc_co_u32_e32 v6, vcc, 0, v7, vcc
	v_add_co_u32_e32 v3, vcc, v3, v5
	v_addc_co_u32_e32 v4, vcc, v4, v6, vcc
	v_mul_lo_u32 v5, s0, v4
	v_mul_hi_u32 v6, s0, v3
	v_add_u32_e32 v5, v6, v5
	v_mul_lo_u32 v6, s1, v3
	v_add_u32_e32 v5, v5, v6
	v_mul_lo_u32 v7, s0, v3
	v_mul_hi_u32 v8, v4, v7
	v_mul_lo_u32 v9, v4, v7
	v_mul_lo_u32 v11, v3, v5
	v_mul_hi_u32 v7, v3, v7
	v_mul_hi_u32 v10, v3, v5
	v_add_co_u32_e32 v7, vcc, v7, v11
	v_addc_co_u32_e32 v10, vcc, 0, v10, vcc
	v_add_co_u32_e32 v7, vcc, v7, v9
	v_mul_hi_u32 v6, v4, v5
	v_addc_co_u32_e32 v7, vcc, v10, v8, vcc
	v_addc_co_u32_e32 v6, vcc, 0, v6, vcc
	v_mul_lo_u32 v5, v4, v5
	v_add_co_u32_e32 v5, vcc, v7, v5
	v_addc_co_u32_e32 v6, vcc, 0, v6, vcc
	v_add_co_u32_e32 v3, vcc, v3, v5
	v_addc_co_u32_e32 v6, vcc, v4, v6, vcc
	v_ashrrev_i32_e32 v8, 31, v1
	v_add_co_u32_e32 v4, vcc, v0, v8
	v_addc_co_u32_e32 v5, vcc, v1, v8, vcc
	v_xor_b32_e32 v10, v4, v8
	v_xor_b32_e32 v9, v5, v8
	v_mad_u64_u32 v[4:5], s[0:1], v10, v6, 0
	v_mul_hi_u32 v7, v10, v3
	v_add_co_u32_e32 v11, vcc, v7, v4
	v_addc_co_u32_e32 v12, vcc, 0, v5, vcc
	v_mad_u64_u32 v[4:5], s[0:1], v9, v6, 0
	v_mad_u64_u32 v[6:7], s[0:1], v9, v3, 0
	v_add_co_u32_e32 v3, vcc, v11, v6
	v_addc_co_u32_e32 v3, vcc, v12, v7, vcc
	v_addc_co_u32_e32 v5, vcc, 0, v5, vcc
	v_add_co_u32_e32 v3, vcc, v3, v4
	v_addc_co_u32_e32 v6, vcc, 0, v5, vcc
	v_mul_lo_u32 v7, s29, v3
	v_mul_lo_u32 v11, s28, v6
	v_mad_u64_u32 v[4:5], s[0:1], s28, v3, 0
	v_add3_u32 v5, v5, v11, v7
	v_sub_u32_e32 v7, v9, v5
	v_mov_b32_e32 v11, s29
	v_sub_co_u32_e32 v4, vcc, v10, v4
	v_subb_co_u32_e64 v7, s[0:1], v7, v11, vcc
	v_subrev_co_u32_e64 v10, s[0:1], s28, v4
	v_subbrev_co_u32_e64 v7, s[0:1], 0, v7, s[0:1]
	v_cmp_le_u32_e64 s[0:1], s29, v7
	v_cndmask_b32_e64 v11, 0, -1, s[0:1]
	v_cmp_le_u32_e64 s[0:1], s28, v10
	v_cndmask_b32_e64 v10, 0, -1, s[0:1]
	v_cmp_eq_u32_e64 s[0:1], s29, v7
	v_cndmask_b32_e64 v7, v11, v10, s[0:1]
	v_add_co_u32_e64 v10, s[0:1], 2, v3
	v_subb_co_u32_e32 v5, vcc, v9, v5, vcc
	v_addc_co_u32_e64 v11, s[0:1], 0, v6, s[0:1]
	v_cmp_le_u32_e32 vcc, s29, v5
	v_add_co_u32_e64 v12, s[0:1], 1, v3
	v_cndmask_b32_e64 v9, 0, -1, vcc
	v_cmp_le_u32_e32 vcc, s28, v4
	v_addc_co_u32_e64 v13, s[0:1], 0, v6, s[0:1]
	v_cndmask_b32_e64 v4, 0, -1, vcc
	v_cmp_eq_u32_e32 vcc, s29, v5
	v_cmp_ne_u32_e64 s[0:1], 0, v7
	v_cndmask_b32_e32 v4, v9, v4, vcc
	v_cndmask_b32_e64 v7, v13, v11, s[0:1]
	v_cmp_ne_u32_e32 vcc, 0, v4
	v_cndmask_b32_e64 v5, v12, v10, s[0:1]
	v_cndmask_b32_e32 v4, v6, v7, vcc
	v_cndmask_b32_e32 v3, v3, v5, vcc
	v_xor_b32_e32 v6, s26, v8
	v_xor_b32_e32 v5, s27, v8
	;; [unrolled: 1-line block ×4, first 2 shown]
	v_sub_co_u32_e32 v4, vcc, v3, v6
	v_subb_co_u32_e32 v5, vcc, v7, v5, vcc
.LBB60_5:                               ;   in Loop: Header=BB60_3 Depth=1
	s_andn2_saveexec_b64 s[0:1], s[24:25]
	s_cbranch_execz .LBB60_7
; %bb.6:                                ;   in Loop: Header=BB60_3 Depth=1
	s_sub_i32 s16, 0, s33
	v_mul_lo_u32 v3, s16, v24
	v_mul_hi_u32 v3, v24, v3
	v_add_u32_e32 v3, v24, v3
	v_mul_hi_u32 v3, v0, v3
	v_mul_lo_u32 v4, v3, s33
	v_sub_u32_e32 v4, v0, v4
	v_subrev_u32_e32 v5, s33, v4
	v_cmp_le_u32_e32 vcc, s33, v4
	v_cndmask_b32_e32 v4, v4, v5, vcc
	v_add_u32_e32 v5, 1, v3
	v_cndmask_b32_e32 v3, v3, v5, vcc
	v_add_u32_e32 v5, 1, v3
	v_cmp_le_u32_e32 vcc, s33, v4
	v_cndmask_b32_e32 v4, v3, v5, vcc
	v_mov_b32_e32 v5, v2
.LBB60_7:                               ;   in Loop: Header=BB60_3 Depth=1
	s_or_b64 exec, exec, s[0:1]
	v_or_b32_e32 v3, s42, v5
	v_cmp_ne_u64_e32 vcc, 0, v[2:3]
                                        ; implicit-def: $vgpr6_vgpr7
	s_and_saveexec_b64 s[0:1], vcc
	s_xor_b64 s[24:25], exec, s[0:1]
	s_cbranch_execz .LBB60_9
; %bb.8:                                ;   in Loop: Header=BB60_3 Depth=1
	s_add_u32 s0, s41, s42
	s_mov_b32 s26, s42
	s_mov_b32 s27, s42
	s_addc_u32 s1, s42, s42
	s_xor_b64 s[28:29], s[0:1], s[26:27]
	v_cvt_f32_u32_e32 v3, s28
	v_cvt_f32_u32_e32 v6, s29
	s_sub_u32 s0, 0, s28
	s_subb_u32 s1, 0, s29
	v_mac_f32_e32 v3, 0x4f800000, v6
	v_rcp_f32_e32 v3, v3
	v_mul_f32_e32 v3, 0x5f7ffffc, v3
	v_mul_f32_e32 v6, 0x2f800000, v3
	v_trunc_f32_e32 v6, v6
	v_mac_f32_e32 v3, 0xcf800000, v6
	v_cvt_u32_f32_e32 v6, v6
	v_cvt_u32_f32_e32 v3, v3
	v_mul_lo_u32 v7, s0, v6
	v_mul_hi_u32 v9, s0, v3
	v_mul_lo_u32 v8, s1, v3
	v_add_u32_e32 v7, v9, v7
	v_mul_lo_u32 v10, s0, v3
	v_add_u32_e32 v7, v7, v8
	v_mul_lo_u32 v9, v3, v7
	v_mul_hi_u32 v11, v3, v10
	v_mul_hi_u32 v8, v3, v7
	v_add_co_u32_e32 v9, vcc, v11, v9
	v_addc_co_u32_e32 v8, vcc, 0, v8, vcc
	v_mul_hi_u32 v12, v6, v10
	v_mul_lo_u32 v10, v6, v10
	v_add_co_u32_e32 v9, vcc, v9, v10
	v_mul_hi_u32 v11, v6, v7
	v_addc_co_u32_e32 v8, vcc, v8, v12, vcc
	v_addc_co_u32_e32 v9, vcc, 0, v11, vcc
	v_mul_lo_u32 v7, v6, v7
	v_add_co_u32_e32 v7, vcc, v8, v7
	v_addc_co_u32_e32 v8, vcc, 0, v9, vcc
	v_add_co_u32_e32 v3, vcc, v3, v7
	v_addc_co_u32_e32 v6, vcc, v6, v8, vcc
	v_mul_lo_u32 v7, s0, v6
	v_mul_hi_u32 v8, s0, v3
	v_add_u32_e32 v7, v8, v7
	v_mul_lo_u32 v8, s1, v3
	v_add_u32_e32 v7, v7, v8
	v_mul_lo_u32 v9, s0, v3
	v_mul_hi_u32 v10, v6, v9
	v_mul_lo_u32 v11, v6, v9
	v_mul_lo_u32 v13, v3, v7
	v_mul_hi_u32 v9, v3, v9
	v_mul_hi_u32 v12, v3, v7
	v_add_co_u32_e32 v9, vcc, v9, v13
	v_addc_co_u32_e32 v12, vcc, 0, v12, vcc
	v_add_co_u32_e32 v9, vcc, v9, v11
	v_mul_hi_u32 v8, v6, v7
	v_addc_co_u32_e32 v9, vcc, v12, v10, vcc
	v_addc_co_u32_e32 v8, vcc, 0, v8, vcc
	v_mul_lo_u32 v7, v6, v7
	v_add_co_u32_e32 v7, vcc, v9, v7
	v_addc_co_u32_e32 v8, vcc, 0, v8, vcc
	v_add_co_u32_e32 v3, vcc, v3, v7
	v_addc_co_u32_e32 v8, vcc, v6, v8, vcc
	v_ashrrev_i32_e32 v10, 31, v5
	v_add_co_u32_e32 v6, vcc, v4, v10
	v_xor_b32_e32 v11, v6, v10
	v_addc_co_u32_e32 v5, vcc, v5, v10, vcc
	v_mad_u64_u32 v[6:7], s[0:1], v11, v8, 0
	v_mul_hi_u32 v9, v11, v3
	v_xor_b32_e32 v5, v5, v10
	v_add_co_u32_e32 v12, vcc, v9, v6
	v_addc_co_u32_e32 v13, vcc, 0, v7, vcc
	v_mad_u64_u32 v[6:7], s[0:1], v5, v8, 0
	v_mad_u64_u32 v[8:9], s[0:1], v5, v3, 0
	v_add_co_u32_e32 v3, vcc, v12, v8
	v_addc_co_u32_e32 v3, vcc, v13, v9, vcc
	v_addc_co_u32_e32 v7, vcc, 0, v7, vcc
	v_add_co_u32_e32 v3, vcc, v3, v6
	v_addc_co_u32_e32 v8, vcc, 0, v7, vcc
	v_mul_lo_u32 v9, s29, v3
	v_mul_lo_u32 v12, s28, v8
	v_mad_u64_u32 v[6:7], s[0:1], s28, v3, 0
	v_add3_u32 v7, v7, v12, v9
	v_sub_u32_e32 v9, v5, v7
	v_mov_b32_e32 v12, s29
	v_sub_co_u32_e32 v6, vcc, v11, v6
	v_subb_co_u32_e64 v9, s[0:1], v9, v12, vcc
	v_subrev_co_u32_e64 v11, s[0:1], s28, v6
	v_subbrev_co_u32_e64 v9, s[0:1], 0, v9, s[0:1]
	v_cmp_le_u32_e64 s[0:1], s29, v9
	v_cndmask_b32_e64 v12, 0, -1, s[0:1]
	v_cmp_le_u32_e64 s[0:1], s28, v11
	v_cndmask_b32_e64 v11, 0, -1, s[0:1]
	v_cmp_eq_u32_e64 s[0:1], s29, v9
	v_cndmask_b32_e64 v9, v12, v11, s[0:1]
	v_add_co_u32_e64 v11, s[0:1], 2, v3
	v_subb_co_u32_e32 v5, vcc, v5, v7, vcc
	v_addc_co_u32_e64 v12, s[0:1], 0, v8, s[0:1]
	v_cmp_le_u32_e32 vcc, s29, v5
	v_add_co_u32_e64 v13, s[0:1], 1, v3
	v_cndmask_b32_e64 v7, 0, -1, vcc
	v_cmp_le_u32_e32 vcc, s28, v6
	v_addc_co_u32_e64 v14, s[0:1], 0, v8, s[0:1]
	v_cndmask_b32_e64 v6, 0, -1, vcc
	v_cmp_eq_u32_e32 vcc, s29, v5
	v_cmp_ne_u32_e64 s[0:1], 0, v9
	v_cndmask_b32_e32 v5, v7, v6, vcc
	v_cmp_ne_u32_e32 vcc, 0, v5
	v_cndmask_b32_e64 v6, v13, v11, s[0:1]
	v_cndmask_b32_e64 v9, v14, v12, s[0:1]
	v_cndmask_b32_e32 v3, v3, v6, vcc
	v_xor_b32_e32 v6, s26, v10
	v_cndmask_b32_e32 v5, v8, v9, vcc
	v_xor_b32_e32 v7, s27, v10
	v_xor_b32_e32 v3, v3, v6
	v_xor_b32_e32 v5, v5, v7
	v_sub_co_u32_e32 v6, vcc, v3, v6
	v_subb_co_u32_e32 v7, vcc, v5, v7, vcc
.LBB60_9:                               ;   in Loop: Header=BB60_3 Depth=1
	s_andn2_saveexec_b64 s[0:1], s[24:25]
	s_cbranch_execz .LBB60_11
; %bb.10:                               ;   in Loop: Header=BB60_3 Depth=1
	v_cvt_f32_u32_e32 v3, s41
	s_sub_i32 s16, 0, s41
	v_rcp_iflag_f32_e32 v3, v3
	v_mul_f32_e32 v3, 0x4f7ffffe, v3
	v_cvt_u32_f32_e32 v3, v3
	v_mul_lo_u32 v5, s16, v3
	v_mul_hi_u32 v5, v3, v5
	v_add_u32_e32 v3, v3, v5
	v_mul_hi_u32 v3, v4, v3
	v_mul_lo_u32 v5, v3, s41
	v_sub_u32_e32 v5, v4, v5
	v_add_u32_e32 v6, 1, v3
	v_subrev_u32_e32 v7, s41, v5
	v_cmp_le_u32_e32 vcc, s41, v5
	v_cndmask_b32_e32 v5, v5, v7, vcc
	v_cndmask_b32_e32 v3, v3, v6, vcc
	v_add_u32_e32 v6, 1, v3
	v_cmp_le_u32_e32 vcc, s41, v5
	v_cndmask_b32_e32 v6, v3, v6, vcc
	v_mov_b32_e32 v7, v2
.LBB60_11:                              ;   in Loop: Header=BB60_3 Depth=1
	s_or_b64 exec, exec, s[0:1]
	v_mad_u64_u32 v[8:9], s[0:1], v4, s33, 0
	v_sub_co_u32_e32 v26, vcc, v0, v8
	v_mad_u64_u32 v[8:9], s[0:1], v6, s41, 0
	v_sub_co_u32_e32 v25, vcc, v4, v8
	v_sub_u32_e32 v4, v26, v25
	v_ashrrev_i32_e32 v5, 31, v4
	v_cmp_gt_i64_e32 vcc, s[8:9], v[4:5]
	s_and_saveexec_b64 s[24:25], vcc
	s_cbranch_execz .LBB60_2
; %bb.12:                               ;   in Loop: Header=BB60_3 Depth=1
	s_load_dword s49, s[4:5], 0x0
	s_load_dword s0, s[12:13], 0x0
	s_andn2_b64 vcc, exec, s[6:7]
	s_waitcnt lgkmcnt(0)
	v_mul_lo_u32 v4, s49, v26
	v_mad_u64_u32 v[4:5], s[0:1], s0, v25, v[4:5]
	s_cbranch_vccnz .LBB60_57
; %bb.13:                               ;   in Loop: Header=BB60_3 Depth=1
	s_andn2_b64 vcc, exec, s[18:19]
	s_cbranch_vccnz .LBB60_20
; %bb.14:                               ;   in Loop: Header=BB60_3 Depth=1
	s_mov_b32 s36, s48
	s_mov_b32 s16, s45
	s_branch .LBB60_16
.LBB60_15:                              ;   in Loop: Header=BB60_16 Depth=2
	s_or_b64 exec, exec, s[0:1]
	s_add_u32 s0, s43, s26
	s_addc_u32 s1, s44, s27
	s_load_dword s0, s[0:1], 0x0
	v_mul_lo_u32 v3, v6, s37
	v_sub_u32_e32 v3, v8, v3
	s_add_i32 s16, s16, -1
	s_add_i32 s36, s36, -1
	s_cmp_lg_u32 s36, 0
	s_waitcnt lgkmcnt(0)
	v_mad_u64_u32 v[4:5], s[0:1], s0, v3, v[4:5]
	s_cbranch_scc0 .LBB60_21
.LBB60_16:                              ;   Parent Loop BB60_3 Depth=1
                                        ; =>  This Inner Loop Header: Depth=2
	s_lshl_b64 s[26:27], s[16:17], 2
	s_add_u32 s0, s39, s26
	s_addc_u32 s1, s40, s27
	s_load_dword s37, s[0:1], 0x0
	v_pk_mov_b32 v[8:9], v[6:7], v[6:7] op_sel:[0,1]
                                        ; implicit-def: $vgpr6_vgpr7
	s_waitcnt lgkmcnt(0)
	s_ashr_i32 s0, s37, 31
	v_or_b32_e32 v3, s0, v9
	v_cmp_ne_u64_e32 vcc, 0, v[2:3]
	s_and_saveexec_b64 s[28:29], vcc
	s_xor_b64 s[28:29], exec, s[28:29]
	s_cbranch_execz .LBB60_18
; %bb.17:                               ;   in Loop: Header=BB60_16 Depth=2
	s_add_u32 s34, s37, s0
	s_mov_b32 s30, s0
	s_mov_b32 s31, s0
	s_addc_u32 s35, s0, s0
	s_xor_b64 s[34:35], s[34:35], s[30:31]
	v_cvt_f32_u32_e32 v3, s34
	v_cvt_f32_u32_e32 v5, s35
	s_sub_u32 s0, 0, s34
	s_subb_u32 s1, 0, s35
	v_mac_f32_e32 v3, 0x4f800000, v5
	v_rcp_f32_e32 v3, v3
	v_mul_f32_e32 v3, 0x5f7ffffc, v3
	v_mul_f32_e32 v5, 0x2f800000, v3
	v_trunc_f32_e32 v5, v5
	v_mac_f32_e32 v3, 0xcf800000, v5
	v_cvt_u32_f32_e32 v5, v5
	v_cvt_u32_f32_e32 v3, v3
	v_mul_lo_u32 v6, s0, v5
	v_mul_hi_u32 v10, s0, v3
	v_mul_lo_u32 v7, s1, v3
	v_add_u32_e32 v6, v10, v6
	v_mul_lo_u32 v11, s0, v3
	v_add_u32_e32 v6, v6, v7
	v_mul_lo_u32 v10, v3, v6
	v_mul_hi_u32 v12, v3, v11
	v_mul_hi_u32 v7, v3, v6
	v_add_co_u32_e32 v10, vcc, v12, v10
	v_addc_co_u32_e32 v7, vcc, 0, v7, vcc
	v_mul_hi_u32 v13, v5, v11
	v_mul_lo_u32 v11, v5, v11
	v_add_co_u32_e32 v10, vcc, v10, v11
	v_mul_hi_u32 v12, v5, v6
	v_addc_co_u32_e32 v7, vcc, v7, v13, vcc
	v_addc_co_u32_e32 v10, vcc, 0, v12, vcc
	v_mul_lo_u32 v6, v5, v6
	v_add_co_u32_e32 v6, vcc, v7, v6
	v_addc_co_u32_e32 v7, vcc, 0, v10, vcc
	v_add_co_u32_e32 v3, vcc, v3, v6
	v_addc_co_u32_e32 v5, vcc, v5, v7, vcc
	v_mul_lo_u32 v6, s0, v5
	v_mul_hi_u32 v7, s0, v3
	v_add_u32_e32 v6, v7, v6
	v_mul_lo_u32 v7, s1, v3
	v_add_u32_e32 v6, v6, v7
	v_mul_lo_u32 v10, s0, v3
	v_mul_hi_u32 v11, v5, v10
	v_mul_lo_u32 v12, v5, v10
	v_mul_lo_u32 v14, v3, v6
	v_mul_hi_u32 v10, v3, v10
	v_mul_hi_u32 v13, v3, v6
	v_add_co_u32_e32 v10, vcc, v10, v14
	v_addc_co_u32_e32 v13, vcc, 0, v13, vcc
	v_add_co_u32_e32 v10, vcc, v10, v12
	v_mul_hi_u32 v7, v5, v6
	v_addc_co_u32_e32 v10, vcc, v13, v11, vcc
	v_addc_co_u32_e32 v7, vcc, 0, v7, vcc
	v_mul_lo_u32 v6, v5, v6
	v_add_co_u32_e32 v6, vcc, v10, v6
	v_addc_co_u32_e32 v7, vcc, 0, v7, vcc
	v_add_co_u32_e32 v3, vcc, v3, v6
	v_addc_co_u32_e32 v5, vcc, v5, v7, vcc
	v_ashrrev_i32_e32 v12, 31, v9
	v_add_co_u32_e32 v6, vcc, v8, v12
	v_addc_co_u32_e32 v7, vcc, v9, v12, vcc
	v_xor_b32_e32 v13, v6, v12
	v_xor_b32_e32 v9, v7, v12
	v_mad_u64_u32 v[6:7], s[0:1], v13, v5, 0
	v_mul_hi_u32 v10, v13, v3
	v_add_co_u32_e32 v14, vcc, v10, v6
	v_addc_co_u32_e32 v15, vcc, 0, v7, vcc
	v_mad_u64_u32 v[10:11], s[0:1], v9, v3, 0
	v_add_co_u32_e32 v3, vcc, v14, v10
	v_mad_u64_u32 v[6:7], s[0:1], v9, v5, 0
	v_addc_co_u32_e32 v3, vcc, v15, v11, vcc
	v_addc_co_u32_e32 v5, vcc, 0, v7, vcc
	v_add_co_u32_e32 v3, vcc, v3, v6
	v_addc_co_u32_e32 v5, vcc, 0, v5, vcc
	v_mul_lo_u32 v10, s35, v3
	v_mul_lo_u32 v11, s34, v5
	v_mad_u64_u32 v[6:7], s[0:1], s34, v3, 0
	v_add3_u32 v7, v7, v11, v10
	v_sub_u32_e32 v10, v9, v7
	v_mov_b32_e32 v11, s35
	v_sub_co_u32_e32 v6, vcc, v13, v6
	v_subb_co_u32_e64 v10, s[0:1], v10, v11, vcc
	v_subrev_co_u32_e64 v11, s[0:1], s34, v6
	v_subbrev_co_u32_e64 v10, s[0:1], 0, v10, s[0:1]
	v_cmp_le_u32_e64 s[0:1], s35, v10
	v_cndmask_b32_e64 v13, 0, -1, s[0:1]
	v_cmp_le_u32_e64 s[0:1], s34, v11
	v_cndmask_b32_e64 v11, 0, -1, s[0:1]
	v_cmp_eq_u32_e64 s[0:1], s35, v10
	v_cndmask_b32_e64 v10, v13, v11, s[0:1]
	v_add_co_u32_e64 v11, s[0:1], 2, v3
	v_subb_co_u32_e32 v7, vcc, v9, v7, vcc
	v_addc_co_u32_e64 v13, s[0:1], 0, v5, s[0:1]
	v_cmp_le_u32_e32 vcc, s35, v7
	v_add_co_u32_e64 v14, s[0:1], 1, v3
	v_cndmask_b32_e64 v9, 0, -1, vcc
	v_cmp_le_u32_e32 vcc, s34, v6
	v_addc_co_u32_e64 v15, s[0:1], 0, v5, s[0:1]
	v_cndmask_b32_e64 v6, 0, -1, vcc
	v_cmp_eq_u32_e32 vcc, s35, v7
	v_cmp_ne_u32_e64 s[0:1], 0, v10
	v_cndmask_b32_e32 v6, v9, v6, vcc
	v_cmp_ne_u32_e32 vcc, 0, v6
	v_cndmask_b32_e64 v6, v14, v11, s[0:1]
	v_cndmask_b32_e64 v10, v15, v13, s[0:1]
	v_cndmask_b32_e32 v3, v3, v6, vcc
	v_xor_b32_e32 v6, s30, v12
	v_cndmask_b32_e32 v5, v5, v10, vcc
	v_xor_b32_e32 v7, s31, v12
	v_xor_b32_e32 v3, v3, v6
	;; [unrolled: 1-line block ×3, first 2 shown]
	v_sub_co_u32_e32 v6, vcc, v3, v6
	v_subb_co_u32_e32 v7, vcc, v5, v7, vcc
.LBB60_18:                              ;   in Loop: Header=BB60_16 Depth=2
	s_andn2_saveexec_b64 s[0:1], s[28:29]
	s_cbranch_execz .LBB60_15
; %bb.19:                               ;   in Loop: Header=BB60_16 Depth=2
	v_cvt_f32_u32_e32 v3, s37
	s_sub_i32 s28, 0, s37
	v_rcp_iflag_f32_e32 v3, v3
	v_mul_f32_e32 v3, 0x4f7ffffe, v3
	v_cvt_u32_f32_e32 v3, v3
	v_mul_lo_u32 v5, s28, v3
	v_mul_hi_u32 v5, v3, v5
	v_add_u32_e32 v3, v3, v5
	v_mul_hi_u32 v3, v8, v3
	v_mul_lo_u32 v5, v3, s37
	v_sub_u32_e32 v5, v8, v5
	v_add_u32_e32 v6, 1, v3
	v_subrev_u32_e32 v7, s37, v5
	v_cmp_le_u32_e32 vcc, s37, v5
	v_cndmask_b32_e32 v5, v5, v7, vcc
	v_cndmask_b32_e32 v3, v3, v6, vcc
	v_add_u32_e32 v6, 1, v3
	v_cmp_le_u32_e32 vcc, s37, v5
	v_cndmask_b32_e32 v6, v3, v6, vcc
	v_mov_b32_e32 v7, v2
	s_branch .LBB60_15
.LBB60_20:                              ;   in Loop: Header=BB60_3 Depth=1
	s_mov_b32 s16, s45
.LBB60_21:                              ;   in Loop: Header=BB60_3 Depth=1
	s_andn2_b64 vcc, exec, s[20:21]
	s_cbranch_vccnz .LBB60_57
; %bb.22:                               ;   in Loop: Header=BB60_3 Depth=1
	s_add_i32 s26, s16, -7
.LBB60_23:                              ;   Parent Loop BB60_3 Depth=1
                                        ; =>  This Inner Loop Header: Depth=2
	s_add_i32 s16, s26, 7
	s_lshl_b64 s[28:29], s[16:17], 2
	s_add_u32 s0, s39, s28
	s_addc_u32 s1, s40, s29
	s_load_dword s50, s[0:1], 0x0
                                        ; implicit-def: $vgpr8_vgpr9
	s_waitcnt lgkmcnt(0)
	s_ashr_i32 s0, s50, 31
	v_or_b32_e32 v3, s0, v7
	v_cmp_ne_u64_e32 vcc, 0, v[2:3]
	s_and_saveexec_b64 s[30:31], vcc
	s_xor_b64 s[30:31], exec, s[30:31]
	s_cbranch_execz .LBB60_25
; %bb.24:                               ;   in Loop: Header=BB60_23 Depth=2
	s_add_u32 s36, s50, s0
	s_mov_b32 s34, s0
	s_mov_b32 s35, s0
	s_addc_u32 s37, s0, s0
	s_xor_b64 s[36:37], s[36:37], s[34:35]
	v_cvt_f32_u32_e32 v3, s36
	v_cvt_f32_u32_e32 v5, s37
	s_sub_u32 s0, 0, s36
	s_subb_u32 s1, 0, s37
	v_mac_f32_e32 v3, 0x4f800000, v5
	v_rcp_f32_e32 v3, v3
	v_mul_f32_e32 v3, 0x5f7ffffc, v3
	v_mul_f32_e32 v5, 0x2f800000, v3
	v_trunc_f32_e32 v5, v5
	v_mac_f32_e32 v3, 0xcf800000, v5
	v_cvt_u32_f32_e32 v5, v5
	v_cvt_u32_f32_e32 v3, v3
	v_mul_lo_u32 v8, s0, v5
	v_mul_hi_u32 v10, s0, v3
	v_mul_lo_u32 v9, s1, v3
	v_add_u32_e32 v8, v10, v8
	v_mul_lo_u32 v11, s0, v3
	v_add_u32_e32 v8, v8, v9
	v_mul_lo_u32 v10, v3, v8
	v_mul_hi_u32 v12, v3, v11
	v_mul_hi_u32 v9, v3, v8
	v_add_co_u32_e32 v10, vcc, v12, v10
	v_addc_co_u32_e32 v9, vcc, 0, v9, vcc
	v_mul_hi_u32 v13, v5, v11
	v_mul_lo_u32 v11, v5, v11
	v_add_co_u32_e32 v10, vcc, v10, v11
	v_mul_hi_u32 v12, v5, v8
	v_addc_co_u32_e32 v9, vcc, v9, v13, vcc
	v_addc_co_u32_e32 v10, vcc, 0, v12, vcc
	v_mul_lo_u32 v8, v5, v8
	v_add_co_u32_e32 v8, vcc, v9, v8
	v_addc_co_u32_e32 v9, vcc, 0, v10, vcc
	v_add_co_u32_e32 v3, vcc, v3, v8
	v_addc_co_u32_e32 v5, vcc, v5, v9, vcc
	v_mul_lo_u32 v8, s0, v5
	v_mul_hi_u32 v9, s0, v3
	v_add_u32_e32 v8, v9, v8
	v_mul_lo_u32 v9, s1, v3
	v_add_u32_e32 v8, v8, v9
	v_mul_lo_u32 v10, s0, v3
	v_mul_hi_u32 v11, v5, v10
	v_mul_lo_u32 v12, v5, v10
	v_mul_lo_u32 v14, v3, v8
	v_mul_hi_u32 v10, v3, v10
	v_mul_hi_u32 v13, v3, v8
	v_add_co_u32_e32 v10, vcc, v10, v14
	v_addc_co_u32_e32 v13, vcc, 0, v13, vcc
	v_add_co_u32_e32 v10, vcc, v10, v12
	v_mul_hi_u32 v9, v5, v8
	v_addc_co_u32_e32 v10, vcc, v13, v11, vcc
	v_addc_co_u32_e32 v9, vcc, 0, v9, vcc
	v_mul_lo_u32 v8, v5, v8
	v_add_co_u32_e32 v8, vcc, v10, v8
	v_addc_co_u32_e32 v9, vcc, 0, v9, vcc
	v_add_co_u32_e32 v3, vcc, v3, v8
	v_addc_co_u32_e32 v5, vcc, v5, v9, vcc
	v_ashrrev_i32_e32 v12, 31, v7
	v_add_co_u32_e32 v8, vcc, v6, v12
	v_xor_b32_e32 v13, v8, v12
	v_addc_co_u32_e32 v7, vcc, v7, v12, vcc
	v_mad_u64_u32 v[8:9], s[0:1], v13, v5, 0
	v_mul_hi_u32 v10, v13, v3
	v_xor_b32_e32 v7, v7, v12
	v_add_co_u32_e32 v14, vcc, v10, v8
	v_addc_co_u32_e32 v15, vcc, 0, v9, vcc
	v_mad_u64_u32 v[10:11], s[0:1], v7, v3, 0
	v_add_co_u32_e32 v3, vcc, v14, v10
	v_mad_u64_u32 v[8:9], s[0:1], v7, v5, 0
	v_addc_co_u32_e32 v3, vcc, v15, v11, vcc
	v_addc_co_u32_e32 v5, vcc, 0, v9, vcc
	v_add_co_u32_e32 v3, vcc, v3, v8
	v_addc_co_u32_e32 v5, vcc, 0, v5, vcc
	v_mul_lo_u32 v10, s37, v3
	v_mul_lo_u32 v11, s36, v5
	v_mad_u64_u32 v[8:9], s[0:1], s36, v3, 0
	v_add3_u32 v9, v9, v11, v10
	v_sub_u32_e32 v10, v7, v9
	v_mov_b32_e32 v11, s37
	v_sub_co_u32_e32 v8, vcc, v13, v8
	v_subb_co_u32_e64 v10, s[0:1], v10, v11, vcc
	v_subrev_co_u32_e64 v11, s[0:1], s36, v8
	v_subbrev_co_u32_e64 v10, s[0:1], 0, v10, s[0:1]
	v_cmp_le_u32_e64 s[0:1], s37, v10
	v_cndmask_b32_e64 v13, 0, -1, s[0:1]
	v_cmp_le_u32_e64 s[0:1], s36, v11
	v_cndmask_b32_e64 v11, 0, -1, s[0:1]
	v_cmp_eq_u32_e64 s[0:1], s37, v10
	v_cndmask_b32_e64 v10, v13, v11, s[0:1]
	v_add_co_u32_e64 v11, s[0:1], 2, v3
	v_subb_co_u32_e32 v7, vcc, v7, v9, vcc
	v_addc_co_u32_e64 v13, s[0:1], 0, v5, s[0:1]
	v_cmp_le_u32_e32 vcc, s37, v7
	v_add_co_u32_e64 v14, s[0:1], 1, v3
	v_cndmask_b32_e64 v9, 0, -1, vcc
	v_cmp_le_u32_e32 vcc, s36, v8
	v_addc_co_u32_e64 v15, s[0:1], 0, v5, s[0:1]
	v_cndmask_b32_e64 v8, 0, -1, vcc
	v_cmp_eq_u32_e32 vcc, s37, v7
	v_cmp_ne_u32_e64 s[0:1], 0, v10
	v_cndmask_b32_e32 v7, v9, v8, vcc
	v_cmp_ne_u32_e32 vcc, 0, v7
	v_cndmask_b32_e64 v7, v14, v11, s[0:1]
	v_cndmask_b32_e64 v10, v15, v13, s[0:1]
	v_cndmask_b32_e32 v3, v3, v7, vcc
	v_xor_b32_e32 v8, s34, v12
	v_cndmask_b32_e32 v5, v5, v10, vcc
	v_xor_b32_e32 v7, s35, v12
	v_xor_b32_e32 v3, v3, v8
	;; [unrolled: 1-line block ×3, first 2 shown]
	v_sub_co_u32_e32 v8, vcc, v3, v8
	v_subb_co_u32_e32 v9, vcc, v5, v7, vcc
.LBB60_25:                              ;   in Loop: Header=BB60_23 Depth=2
	s_andn2_saveexec_b64 s[0:1], s[30:31]
	s_cbranch_execz .LBB60_27
; %bb.26:                               ;   in Loop: Header=BB60_23 Depth=2
	v_cvt_f32_u32_e32 v3, s50
	s_sub_i32 s16, 0, s50
	v_mov_b32_e32 v9, v2
	v_rcp_iflag_f32_e32 v3, v3
	v_mul_f32_e32 v3, 0x4f7ffffe, v3
	v_cvt_u32_f32_e32 v3, v3
	v_mul_lo_u32 v5, s16, v3
	v_mul_hi_u32 v5, v3, v5
	v_add_u32_e32 v3, v3, v5
	v_mul_hi_u32 v3, v6, v3
	v_mul_lo_u32 v5, v3, s50
	v_sub_u32_e32 v5, v6, v5
	v_add_u32_e32 v7, 1, v3
	v_subrev_u32_e32 v8, s50, v5
	v_cmp_le_u32_e32 vcc, s50, v5
	v_cndmask_b32_e32 v5, v5, v8, vcc
	v_cndmask_b32_e32 v3, v3, v7, vcc
	v_add_u32_e32 v7, 1, v3
	v_cmp_le_u32_e32 vcc, s50, v5
	v_cndmask_b32_e32 v8, v3, v7, vcc
.LBB60_27:                              ;   in Loop: Header=BB60_23 Depth=2
	s_or_b64 exec, exec, s[0:1]
	s_add_u32 s0, s43, s28
	s_addc_u32 s1, s44, s29
	s_add_i32 s16, s26, 6
	s_lshl_b64 s[28:29], s[16:17], 2
	s_add_u32 s30, s39, s28
	s_addc_u32 s31, s40, s29
	s_load_dword s51, s[30:31], 0x0
	s_load_dword s52, s[0:1], 0x0
                                        ; implicit-def: $vgpr10_vgpr11
	s_waitcnt lgkmcnt(0)
	s_ashr_i32 s0, s51, 31
	v_or_b32_e32 v3, s0, v9
	v_cmp_ne_u64_e32 vcc, 0, v[2:3]
	s_and_saveexec_b64 s[30:31], vcc
	s_xor_b64 s[30:31], exec, s[30:31]
	s_cbranch_execz .LBB60_29
; %bb.28:                               ;   in Loop: Header=BB60_23 Depth=2
	s_add_u32 s36, s51, s0
	s_mov_b32 s34, s0
	s_mov_b32 s35, s0
	s_addc_u32 s37, s0, s0
	s_xor_b64 s[36:37], s[36:37], s[34:35]
	v_cvt_f32_u32_e32 v3, s36
	v_cvt_f32_u32_e32 v5, s37
	s_sub_u32 s0, 0, s36
	s_subb_u32 s1, 0, s37
	v_mac_f32_e32 v3, 0x4f800000, v5
	v_rcp_f32_e32 v3, v3
	v_mul_f32_e32 v3, 0x5f7ffffc, v3
	v_mul_f32_e32 v5, 0x2f800000, v3
	v_trunc_f32_e32 v5, v5
	v_mac_f32_e32 v3, 0xcf800000, v5
	v_cvt_u32_f32_e32 v5, v5
	v_cvt_u32_f32_e32 v3, v3
	v_mul_lo_u32 v7, s0, v5
	v_mul_hi_u32 v11, s0, v3
	v_mul_lo_u32 v10, s1, v3
	v_add_u32_e32 v7, v11, v7
	v_mul_lo_u32 v12, s0, v3
	v_add_u32_e32 v7, v7, v10
	v_mul_lo_u32 v11, v3, v7
	v_mul_hi_u32 v13, v3, v12
	v_mul_hi_u32 v10, v3, v7
	v_add_co_u32_e32 v11, vcc, v13, v11
	v_addc_co_u32_e32 v10, vcc, 0, v10, vcc
	v_mul_hi_u32 v14, v5, v12
	v_mul_lo_u32 v12, v5, v12
	v_add_co_u32_e32 v11, vcc, v11, v12
	v_mul_hi_u32 v13, v5, v7
	v_addc_co_u32_e32 v10, vcc, v10, v14, vcc
	v_addc_co_u32_e32 v11, vcc, 0, v13, vcc
	v_mul_lo_u32 v7, v5, v7
	v_add_co_u32_e32 v7, vcc, v10, v7
	v_addc_co_u32_e32 v10, vcc, 0, v11, vcc
	v_add_co_u32_e32 v3, vcc, v3, v7
	v_addc_co_u32_e32 v5, vcc, v5, v10, vcc
	v_mul_lo_u32 v7, s0, v5
	v_mul_hi_u32 v10, s0, v3
	v_add_u32_e32 v7, v10, v7
	v_mul_lo_u32 v10, s1, v3
	v_add_u32_e32 v7, v7, v10
	v_mul_lo_u32 v11, s0, v3
	v_mul_hi_u32 v12, v5, v11
	v_mul_lo_u32 v13, v5, v11
	v_mul_lo_u32 v15, v3, v7
	v_mul_hi_u32 v11, v3, v11
	v_mul_hi_u32 v14, v3, v7
	v_add_co_u32_e32 v11, vcc, v11, v15
	v_addc_co_u32_e32 v14, vcc, 0, v14, vcc
	v_add_co_u32_e32 v11, vcc, v11, v13
	v_mul_hi_u32 v10, v5, v7
	v_addc_co_u32_e32 v11, vcc, v14, v12, vcc
	v_addc_co_u32_e32 v10, vcc, 0, v10, vcc
	v_mul_lo_u32 v7, v5, v7
	v_add_co_u32_e32 v7, vcc, v11, v7
	v_addc_co_u32_e32 v10, vcc, 0, v10, vcc
	v_add_co_u32_e32 v3, vcc, v3, v7
	v_addc_co_u32_e32 v5, vcc, v5, v10, vcc
	v_ashrrev_i32_e32 v7, 31, v9
	v_add_co_u32_e32 v10, vcc, v8, v7
	v_xor_b32_e32 v14, v10, v7
	v_addc_co_u32_e32 v9, vcc, v9, v7, vcc
	v_mad_u64_u32 v[10:11], s[0:1], v14, v5, 0
	v_mul_hi_u32 v12, v14, v3
	v_xor_b32_e32 v9, v9, v7
	v_add_co_u32_e32 v15, vcc, v12, v10
	v_addc_co_u32_e32 v16, vcc, 0, v11, vcc
	v_mad_u64_u32 v[12:13], s[0:1], v9, v3, 0
	v_add_co_u32_e32 v3, vcc, v15, v12
	v_mad_u64_u32 v[10:11], s[0:1], v9, v5, 0
	v_addc_co_u32_e32 v3, vcc, v16, v13, vcc
	v_addc_co_u32_e32 v5, vcc, 0, v11, vcc
	v_add_co_u32_e32 v3, vcc, v3, v10
	v_addc_co_u32_e32 v5, vcc, 0, v5, vcc
	v_mul_lo_u32 v12, s37, v3
	v_mul_lo_u32 v13, s36, v5
	v_mad_u64_u32 v[10:11], s[0:1], s36, v3, 0
	v_add3_u32 v11, v11, v13, v12
	v_sub_u32_e32 v12, v9, v11
	v_mov_b32_e32 v13, s37
	v_sub_co_u32_e32 v10, vcc, v14, v10
	v_subb_co_u32_e64 v12, s[0:1], v12, v13, vcc
	v_subrev_co_u32_e64 v13, s[0:1], s36, v10
	v_subbrev_co_u32_e64 v12, s[0:1], 0, v12, s[0:1]
	v_cmp_le_u32_e64 s[0:1], s37, v12
	v_cndmask_b32_e64 v14, 0, -1, s[0:1]
	v_cmp_le_u32_e64 s[0:1], s36, v13
	v_cndmask_b32_e64 v13, 0, -1, s[0:1]
	v_cmp_eq_u32_e64 s[0:1], s37, v12
	v_cndmask_b32_e64 v12, v14, v13, s[0:1]
	v_add_co_u32_e64 v13, s[0:1], 2, v3
	v_subb_co_u32_e32 v9, vcc, v9, v11, vcc
	v_addc_co_u32_e64 v14, s[0:1], 0, v5, s[0:1]
	v_cmp_le_u32_e32 vcc, s37, v9
	v_add_co_u32_e64 v15, s[0:1], 1, v3
	v_cndmask_b32_e64 v11, 0, -1, vcc
	v_cmp_le_u32_e32 vcc, s36, v10
	v_addc_co_u32_e64 v16, s[0:1], 0, v5, s[0:1]
	v_cndmask_b32_e64 v10, 0, -1, vcc
	v_cmp_eq_u32_e32 vcc, s37, v9
	v_cmp_ne_u32_e64 s[0:1], 0, v12
	v_cndmask_b32_e32 v9, v11, v10, vcc
	v_cmp_ne_u32_e32 vcc, 0, v9
	v_cndmask_b32_e64 v9, v15, v13, s[0:1]
	v_cndmask_b32_e64 v12, v16, v14, s[0:1]
	v_cndmask_b32_e32 v3, v3, v9, vcc
	v_xor_b32_e32 v9, s35, v7
	v_xor_b32_e32 v7, s34, v7
	v_cndmask_b32_e32 v5, v5, v12, vcc
	v_xor_b32_e32 v3, v3, v7
	v_xor_b32_e32 v5, v5, v9
	v_sub_co_u32_e32 v10, vcc, v3, v7
	v_subb_co_u32_e32 v11, vcc, v5, v9, vcc
.LBB60_29:                              ;   in Loop: Header=BB60_23 Depth=2
	s_andn2_saveexec_b64 s[0:1], s[30:31]
	s_cbranch_execz .LBB60_31
; %bb.30:                               ;   in Loop: Header=BB60_23 Depth=2
	v_cvt_f32_u32_e32 v3, s51
	s_sub_i32 s16, 0, s51
	v_mov_b32_e32 v11, v2
	v_rcp_iflag_f32_e32 v3, v3
	v_mul_f32_e32 v3, 0x4f7ffffe, v3
	v_cvt_u32_f32_e32 v3, v3
	v_mul_lo_u32 v5, s16, v3
	v_mul_hi_u32 v5, v3, v5
	v_add_u32_e32 v3, v3, v5
	v_mul_hi_u32 v3, v8, v3
	v_mul_lo_u32 v5, v3, s51
	v_sub_u32_e32 v5, v8, v5
	v_add_u32_e32 v7, 1, v3
	v_subrev_u32_e32 v9, s51, v5
	v_cmp_le_u32_e32 vcc, s51, v5
	v_cndmask_b32_e32 v5, v5, v9, vcc
	v_cndmask_b32_e32 v3, v3, v7, vcc
	v_add_u32_e32 v7, 1, v3
	v_cmp_le_u32_e32 vcc, s51, v5
	v_cndmask_b32_e32 v10, v3, v7, vcc
.LBB60_31:                              ;   in Loop: Header=BB60_23 Depth=2
	s_or_b64 exec, exec, s[0:1]
	s_add_u32 s0, s43, s28
	s_addc_u32 s1, s44, s29
	s_add_i32 s16, s26, 5
	s_lshl_b64 s[28:29], s[16:17], 2
	s_add_u32 s30, s39, s28
	s_addc_u32 s31, s40, s29
	s_load_dword s53, s[30:31], 0x0
	s_load_dword s54, s[0:1], 0x0
                                        ; implicit-def: $vgpr12_vgpr13
	s_waitcnt lgkmcnt(0)
	s_ashr_i32 s0, s53, 31
	v_or_b32_e32 v3, s0, v11
	v_cmp_ne_u64_e32 vcc, 0, v[2:3]
	s_and_saveexec_b64 s[30:31], vcc
	s_xor_b64 s[30:31], exec, s[30:31]
	s_cbranch_execz .LBB60_33
; %bb.32:                               ;   in Loop: Header=BB60_23 Depth=2
	s_add_u32 s36, s53, s0
	s_mov_b32 s34, s0
	s_mov_b32 s35, s0
	s_addc_u32 s37, s0, s0
	s_xor_b64 s[36:37], s[36:37], s[34:35]
	v_cvt_f32_u32_e32 v3, s36
	v_cvt_f32_u32_e32 v5, s37
	s_sub_u32 s0, 0, s36
	s_subb_u32 s1, 0, s37
	v_mac_f32_e32 v3, 0x4f800000, v5
	v_rcp_f32_e32 v3, v3
	v_mul_f32_e32 v3, 0x5f7ffffc, v3
	v_mul_f32_e32 v5, 0x2f800000, v3
	v_trunc_f32_e32 v5, v5
	v_mac_f32_e32 v3, 0xcf800000, v5
	v_cvt_u32_f32_e32 v5, v5
	v_cvt_u32_f32_e32 v3, v3
	v_mul_lo_u32 v7, s0, v5
	v_mul_hi_u32 v12, s0, v3
	v_mul_lo_u32 v9, s1, v3
	v_add_u32_e32 v7, v12, v7
	v_mul_lo_u32 v13, s0, v3
	v_add_u32_e32 v7, v7, v9
	v_mul_lo_u32 v12, v3, v7
	v_mul_hi_u32 v14, v3, v13
	v_mul_hi_u32 v9, v3, v7
	v_add_co_u32_e32 v12, vcc, v14, v12
	v_addc_co_u32_e32 v9, vcc, 0, v9, vcc
	v_mul_hi_u32 v15, v5, v13
	v_mul_lo_u32 v13, v5, v13
	v_add_co_u32_e32 v12, vcc, v12, v13
	v_mul_hi_u32 v14, v5, v7
	v_addc_co_u32_e32 v9, vcc, v9, v15, vcc
	v_addc_co_u32_e32 v12, vcc, 0, v14, vcc
	v_mul_lo_u32 v7, v5, v7
	v_add_co_u32_e32 v7, vcc, v9, v7
	v_addc_co_u32_e32 v9, vcc, 0, v12, vcc
	v_add_co_u32_e32 v3, vcc, v3, v7
	v_addc_co_u32_e32 v5, vcc, v5, v9, vcc
	v_mul_lo_u32 v7, s0, v5
	v_mul_hi_u32 v9, s0, v3
	v_add_u32_e32 v7, v9, v7
	v_mul_lo_u32 v9, s1, v3
	v_add_u32_e32 v7, v7, v9
	v_mul_lo_u32 v12, s0, v3
	v_mul_hi_u32 v13, v5, v12
	v_mul_lo_u32 v14, v5, v12
	v_mul_lo_u32 v16, v3, v7
	v_mul_hi_u32 v12, v3, v12
	v_mul_hi_u32 v15, v3, v7
	v_add_co_u32_e32 v12, vcc, v12, v16
	v_addc_co_u32_e32 v15, vcc, 0, v15, vcc
	v_add_co_u32_e32 v12, vcc, v12, v14
	v_mul_hi_u32 v9, v5, v7
	v_addc_co_u32_e32 v12, vcc, v15, v13, vcc
	v_addc_co_u32_e32 v9, vcc, 0, v9, vcc
	v_mul_lo_u32 v7, v5, v7
	v_add_co_u32_e32 v7, vcc, v12, v7
	v_addc_co_u32_e32 v9, vcc, 0, v9, vcc
	v_add_co_u32_e32 v3, vcc, v3, v7
	v_addc_co_u32_e32 v5, vcc, v5, v9, vcc
	v_ashrrev_i32_e32 v7, 31, v11
	v_add_co_u32_e32 v9, vcc, v10, v7
	v_xor_b32_e32 v9, v9, v7
	v_addc_co_u32_e32 v11, vcc, v11, v7, vcc
	v_mad_u64_u32 v[12:13], s[0:1], v9, v5, 0
	v_mul_hi_u32 v14, v9, v3
	v_xor_b32_e32 v11, v11, v7
	v_add_co_u32_e32 v16, vcc, v14, v12
	v_addc_co_u32_e32 v17, vcc, 0, v13, vcc
	v_mad_u64_u32 v[14:15], s[0:1], v11, v3, 0
	v_add_co_u32_e32 v3, vcc, v16, v14
	v_mad_u64_u32 v[12:13], s[0:1], v11, v5, 0
	v_addc_co_u32_e32 v3, vcc, v17, v15, vcc
	v_addc_co_u32_e32 v5, vcc, 0, v13, vcc
	v_add_co_u32_e32 v3, vcc, v3, v12
	v_addc_co_u32_e32 v5, vcc, 0, v5, vcc
	v_mul_lo_u32 v14, s37, v3
	v_mul_lo_u32 v15, s36, v5
	v_mad_u64_u32 v[12:13], s[0:1], s36, v3, 0
	v_add3_u32 v13, v13, v15, v14
	v_sub_u32_e32 v14, v11, v13
	v_mov_b32_e32 v15, s37
	v_sub_co_u32_e32 v9, vcc, v9, v12
	v_subb_co_u32_e64 v12, s[0:1], v14, v15, vcc
	v_subrev_co_u32_e64 v14, s[0:1], s36, v9
	v_subbrev_co_u32_e64 v12, s[0:1], 0, v12, s[0:1]
	v_cmp_le_u32_e64 s[0:1], s37, v12
	v_cndmask_b32_e64 v15, 0, -1, s[0:1]
	v_cmp_le_u32_e64 s[0:1], s36, v14
	v_cndmask_b32_e64 v14, 0, -1, s[0:1]
	v_cmp_eq_u32_e64 s[0:1], s37, v12
	v_cndmask_b32_e64 v12, v15, v14, s[0:1]
	v_add_co_u32_e64 v14, s[0:1], 2, v3
	v_subb_co_u32_e32 v11, vcc, v11, v13, vcc
	v_addc_co_u32_e64 v15, s[0:1], 0, v5, s[0:1]
	v_cmp_le_u32_e32 vcc, s37, v11
	v_add_co_u32_e64 v16, s[0:1], 1, v3
	v_cndmask_b32_e64 v13, 0, -1, vcc
	v_cmp_le_u32_e32 vcc, s36, v9
	v_addc_co_u32_e64 v17, s[0:1], 0, v5, s[0:1]
	v_cndmask_b32_e64 v9, 0, -1, vcc
	v_cmp_eq_u32_e32 vcc, s37, v11
	v_cmp_ne_u32_e64 s[0:1], 0, v12
	v_cndmask_b32_e32 v9, v13, v9, vcc
	v_cmp_ne_u32_e32 vcc, 0, v9
	v_cndmask_b32_e64 v9, v16, v14, s[0:1]
	v_cndmask_b32_e64 v12, v17, v15, s[0:1]
	v_cndmask_b32_e32 v3, v3, v9, vcc
	v_xor_b32_e32 v9, s35, v7
	v_xor_b32_e32 v7, s34, v7
	v_cndmask_b32_e32 v5, v5, v12, vcc
	v_xor_b32_e32 v3, v3, v7
	v_xor_b32_e32 v5, v5, v9
	v_sub_co_u32_e32 v12, vcc, v3, v7
	v_subb_co_u32_e32 v13, vcc, v5, v9, vcc
.LBB60_33:                              ;   in Loop: Header=BB60_23 Depth=2
	s_andn2_saveexec_b64 s[0:1], s[30:31]
	s_cbranch_execz .LBB60_35
; %bb.34:                               ;   in Loop: Header=BB60_23 Depth=2
	v_cvt_f32_u32_e32 v3, s53
	s_sub_i32 s16, 0, s53
	v_mov_b32_e32 v13, v2
	v_rcp_iflag_f32_e32 v3, v3
	v_mul_f32_e32 v3, 0x4f7ffffe, v3
	v_cvt_u32_f32_e32 v3, v3
	v_mul_lo_u32 v5, s16, v3
	v_mul_hi_u32 v5, v3, v5
	v_add_u32_e32 v3, v3, v5
	v_mul_hi_u32 v3, v10, v3
	v_mul_lo_u32 v5, v3, s53
	v_sub_u32_e32 v5, v10, v5
	v_add_u32_e32 v7, 1, v3
	v_subrev_u32_e32 v9, s53, v5
	v_cmp_le_u32_e32 vcc, s53, v5
	v_cndmask_b32_e32 v5, v5, v9, vcc
	v_cndmask_b32_e32 v3, v3, v7, vcc
	v_add_u32_e32 v7, 1, v3
	v_cmp_le_u32_e32 vcc, s53, v5
	v_cndmask_b32_e32 v12, v3, v7, vcc
.LBB60_35:                              ;   in Loop: Header=BB60_23 Depth=2
	s_or_b64 exec, exec, s[0:1]
	s_add_u32 s0, s43, s28
	s_addc_u32 s1, s44, s29
	s_add_i32 s16, s26, 4
	s_lshl_b64 s[28:29], s[16:17], 2
	s_add_u32 s30, s39, s28
	s_addc_u32 s31, s40, s29
	s_load_dword s55, s[30:31], 0x0
	s_load_dword s56, s[0:1], 0x0
                                        ; implicit-def: $vgpr14_vgpr15
	s_waitcnt lgkmcnt(0)
	s_ashr_i32 s0, s55, 31
	v_or_b32_e32 v3, s0, v13
	v_cmp_ne_u64_e32 vcc, 0, v[2:3]
	s_and_saveexec_b64 s[30:31], vcc
	s_xor_b64 s[30:31], exec, s[30:31]
	s_cbranch_execz .LBB60_37
; %bb.36:                               ;   in Loop: Header=BB60_23 Depth=2
	s_add_u32 s36, s55, s0
	s_mov_b32 s34, s0
	s_mov_b32 s35, s0
	s_addc_u32 s37, s0, s0
	s_xor_b64 s[36:37], s[36:37], s[34:35]
	v_cvt_f32_u32_e32 v3, s36
	v_cvt_f32_u32_e32 v5, s37
	s_sub_u32 s0, 0, s36
	s_subb_u32 s1, 0, s37
	v_mac_f32_e32 v3, 0x4f800000, v5
	v_rcp_f32_e32 v3, v3
	v_mul_f32_e32 v3, 0x5f7ffffc, v3
	v_mul_f32_e32 v5, 0x2f800000, v3
	v_trunc_f32_e32 v5, v5
	v_mac_f32_e32 v3, 0xcf800000, v5
	v_cvt_u32_f32_e32 v5, v5
	v_cvt_u32_f32_e32 v3, v3
	v_mul_lo_u32 v7, s0, v5
	v_mul_hi_u32 v11, s0, v3
	v_mul_lo_u32 v9, s1, v3
	v_add_u32_e32 v7, v11, v7
	v_mul_lo_u32 v14, s0, v3
	v_add_u32_e32 v7, v7, v9
	v_mul_lo_u32 v11, v3, v7
	v_mul_hi_u32 v15, v3, v14
	v_mul_hi_u32 v9, v3, v7
	v_add_co_u32_e32 v11, vcc, v15, v11
	v_addc_co_u32_e32 v9, vcc, 0, v9, vcc
	v_mul_hi_u32 v16, v5, v14
	v_mul_lo_u32 v14, v5, v14
	v_add_co_u32_e32 v11, vcc, v11, v14
	v_mul_hi_u32 v15, v5, v7
	v_addc_co_u32_e32 v9, vcc, v9, v16, vcc
	v_addc_co_u32_e32 v11, vcc, 0, v15, vcc
	v_mul_lo_u32 v7, v5, v7
	v_add_co_u32_e32 v7, vcc, v9, v7
	v_addc_co_u32_e32 v9, vcc, 0, v11, vcc
	v_add_co_u32_e32 v3, vcc, v3, v7
	v_addc_co_u32_e32 v5, vcc, v5, v9, vcc
	v_mul_lo_u32 v7, s0, v5
	v_mul_hi_u32 v9, s0, v3
	v_add_u32_e32 v7, v9, v7
	v_mul_lo_u32 v9, s1, v3
	v_add_u32_e32 v7, v7, v9
	v_mul_lo_u32 v11, s0, v3
	v_mul_hi_u32 v14, v5, v11
	v_mul_lo_u32 v15, v5, v11
	v_mul_lo_u32 v17, v3, v7
	v_mul_hi_u32 v11, v3, v11
	v_mul_hi_u32 v16, v3, v7
	v_add_co_u32_e32 v11, vcc, v11, v17
	v_addc_co_u32_e32 v16, vcc, 0, v16, vcc
	v_add_co_u32_e32 v11, vcc, v11, v15
	v_mul_hi_u32 v9, v5, v7
	v_addc_co_u32_e32 v11, vcc, v16, v14, vcc
	v_addc_co_u32_e32 v9, vcc, 0, v9, vcc
	v_mul_lo_u32 v7, v5, v7
	v_add_co_u32_e32 v7, vcc, v11, v7
	v_addc_co_u32_e32 v9, vcc, 0, v9, vcc
	v_add_co_u32_e32 v3, vcc, v3, v7
	v_addc_co_u32_e32 v5, vcc, v5, v9, vcc
	v_ashrrev_i32_e32 v7, 31, v13
	v_add_co_u32_e32 v9, vcc, v12, v7
	v_xor_b32_e32 v9, v9, v7
	v_addc_co_u32_e32 v11, vcc, v13, v7, vcc
	v_mad_u64_u32 v[14:15], s[0:1], v9, v5, 0
	v_mul_hi_u32 v13, v9, v3
	v_xor_b32_e32 v11, v11, v7
	v_add_co_u32_e32 v13, vcc, v13, v14
	v_addc_co_u32_e32 v18, vcc, 0, v15, vcc
	v_mad_u64_u32 v[16:17], s[0:1], v11, v3, 0
	v_add_co_u32_e32 v3, vcc, v13, v16
	v_mad_u64_u32 v[14:15], s[0:1], v11, v5, 0
	v_addc_co_u32_e32 v3, vcc, v18, v17, vcc
	v_addc_co_u32_e32 v5, vcc, 0, v15, vcc
	v_add_co_u32_e32 v3, vcc, v3, v14
	v_addc_co_u32_e32 v5, vcc, 0, v5, vcc
	v_mul_lo_u32 v13, s37, v3
	v_mul_lo_u32 v16, s36, v5
	v_mad_u64_u32 v[14:15], s[0:1], s36, v3, 0
	v_add3_u32 v13, v15, v16, v13
	v_sub_u32_e32 v15, v11, v13
	v_mov_b32_e32 v16, s37
	v_sub_co_u32_e32 v9, vcc, v9, v14
	v_subb_co_u32_e64 v14, s[0:1], v15, v16, vcc
	v_subrev_co_u32_e64 v15, s[0:1], s36, v9
	v_subbrev_co_u32_e64 v14, s[0:1], 0, v14, s[0:1]
	v_cmp_le_u32_e64 s[0:1], s37, v14
	v_cndmask_b32_e64 v16, 0, -1, s[0:1]
	v_cmp_le_u32_e64 s[0:1], s36, v15
	v_cndmask_b32_e64 v15, 0, -1, s[0:1]
	v_cmp_eq_u32_e64 s[0:1], s37, v14
	v_cndmask_b32_e64 v14, v16, v15, s[0:1]
	v_add_co_u32_e64 v15, s[0:1], 2, v3
	v_subb_co_u32_e32 v11, vcc, v11, v13, vcc
	v_addc_co_u32_e64 v16, s[0:1], 0, v5, s[0:1]
	v_cmp_le_u32_e32 vcc, s37, v11
	v_add_co_u32_e64 v17, s[0:1], 1, v3
	v_cndmask_b32_e64 v13, 0, -1, vcc
	v_cmp_le_u32_e32 vcc, s36, v9
	v_addc_co_u32_e64 v18, s[0:1], 0, v5, s[0:1]
	v_cndmask_b32_e64 v9, 0, -1, vcc
	v_cmp_eq_u32_e32 vcc, s37, v11
	v_cmp_ne_u32_e64 s[0:1], 0, v14
	v_cndmask_b32_e32 v9, v13, v9, vcc
	v_cmp_ne_u32_e32 vcc, 0, v9
	v_cndmask_b32_e64 v9, v17, v15, s[0:1]
	v_cndmask_b32_e64 v14, v18, v16, s[0:1]
	v_cndmask_b32_e32 v3, v3, v9, vcc
	v_xor_b32_e32 v9, s35, v7
	v_xor_b32_e32 v7, s34, v7
	v_cndmask_b32_e32 v5, v5, v14, vcc
	v_xor_b32_e32 v3, v3, v7
	v_xor_b32_e32 v5, v5, v9
	v_sub_co_u32_e32 v14, vcc, v3, v7
	v_subb_co_u32_e32 v15, vcc, v5, v9, vcc
.LBB60_37:                              ;   in Loop: Header=BB60_23 Depth=2
	s_andn2_saveexec_b64 s[0:1], s[30:31]
	s_cbranch_execz .LBB60_39
; %bb.38:                               ;   in Loop: Header=BB60_23 Depth=2
	v_cvt_f32_u32_e32 v3, s55
	s_sub_i32 s16, 0, s55
	v_mov_b32_e32 v15, v2
	v_rcp_iflag_f32_e32 v3, v3
	v_mul_f32_e32 v3, 0x4f7ffffe, v3
	v_cvt_u32_f32_e32 v3, v3
	v_mul_lo_u32 v5, s16, v3
	v_mul_hi_u32 v5, v3, v5
	v_add_u32_e32 v3, v3, v5
	v_mul_hi_u32 v3, v12, v3
	v_mul_lo_u32 v5, v3, s55
	v_sub_u32_e32 v5, v12, v5
	v_add_u32_e32 v7, 1, v3
	v_subrev_u32_e32 v9, s55, v5
	v_cmp_le_u32_e32 vcc, s55, v5
	v_cndmask_b32_e32 v5, v5, v9, vcc
	v_cndmask_b32_e32 v3, v3, v7, vcc
	v_add_u32_e32 v7, 1, v3
	v_cmp_le_u32_e32 vcc, s55, v5
	v_cndmask_b32_e32 v14, v3, v7, vcc
.LBB60_39:                              ;   in Loop: Header=BB60_23 Depth=2
	s_or_b64 exec, exec, s[0:1]
	s_add_u32 s0, s43, s28
	s_addc_u32 s1, s44, s29
	s_add_i32 s16, s26, 3
	s_lshl_b64 s[28:29], s[16:17], 2
	s_add_u32 s30, s39, s28
	s_addc_u32 s31, s40, s29
	s_load_dword s57, s[30:31], 0x0
	s_load_dword s58, s[0:1], 0x0
                                        ; implicit-def: $vgpr16_vgpr17
	s_waitcnt lgkmcnt(0)
	s_ashr_i32 s0, s57, 31
	v_or_b32_e32 v3, s0, v15
	v_cmp_ne_u64_e32 vcc, 0, v[2:3]
	s_and_saveexec_b64 s[30:31], vcc
	s_xor_b64 s[30:31], exec, s[30:31]
	s_cbranch_execz .LBB60_41
; %bb.40:                               ;   in Loop: Header=BB60_23 Depth=2
	s_add_u32 s36, s57, s0
	s_mov_b32 s34, s0
	s_mov_b32 s35, s0
	s_addc_u32 s37, s0, s0
	s_xor_b64 s[36:37], s[36:37], s[34:35]
	v_cvt_f32_u32_e32 v3, s36
	v_cvt_f32_u32_e32 v5, s37
	s_sub_u32 s0, 0, s36
	s_subb_u32 s1, 0, s37
	v_mac_f32_e32 v3, 0x4f800000, v5
	v_rcp_f32_e32 v3, v3
	v_mul_f32_e32 v3, 0x5f7ffffc, v3
	v_mul_f32_e32 v5, 0x2f800000, v3
	v_trunc_f32_e32 v5, v5
	v_mac_f32_e32 v3, 0xcf800000, v5
	v_cvt_u32_f32_e32 v5, v5
	v_cvt_u32_f32_e32 v3, v3
	v_mul_lo_u32 v7, s0, v5
	v_mul_hi_u32 v11, s0, v3
	v_mul_lo_u32 v9, s1, v3
	v_add_u32_e32 v7, v11, v7
	v_mul_lo_u32 v13, s0, v3
	v_add_u32_e32 v7, v7, v9
	v_mul_lo_u32 v11, v3, v7
	v_mul_hi_u32 v16, v3, v13
	v_mul_hi_u32 v9, v3, v7
	v_add_co_u32_e32 v11, vcc, v16, v11
	v_addc_co_u32_e32 v9, vcc, 0, v9, vcc
	v_mul_hi_u32 v17, v5, v13
	v_mul_lo_u32 v13, v5, v13
	v_add_co_u32_e32 v11, vcc, v11, v13
	v_mul_hi_u32 v16, v5, v7
	v_addc_co_u32_e32 v9, vcc, v9, v17, vcc
	v_addc_co_u32_e32 v11, vcc, 0, v16, vcc
	v_mul_lo_u32 v7, v5, v7
	v_add_co_u32_e32 v7, vcc, v9, v7
	v_addc_co_u32_e32 v9, vcc, 0, v11, vcc
	v_add_co_u32_e32 v3, vcc, v3, v7
	v_addc_co_u32_e32 v5, vcc, v5, v9, vcc
	v_mul_lo_u32 v7, s0, v5
	v_mul_hi_u32 v9, s0, v3
	v_add_u32_e32 v7, v9, v7
	v_mul_lo_u32 v9, s1, v3
	v_add_u32_e32 v7, v7, v9
	v_mul_lo_u32 v11, s0, v3
	v_mul_hi_u32 v13, v5, v11
	v_mul_lo_u32 v16, v5, v11
	v_mul_lo_u32 v18, v3, v7
	v_mul_hi_u32 v11, v3, v11
	v_mul_hi_u32 v17, v3, v7
	v_add_co_u32_e32 v11, vcc, v11, v18
	v_addc_co_u32_e32 v17, vcc, 0, v17, vcc
	v_add_co_u32_e32 v11, vcc, v11, v16
	v_mul_hi_u32 v9, v5, v7
	v_addc_co_u32_e32 v11, vcc, v17, v13, vcc
	v_addc_co_u32_e32 v9, vcc, 0, v9, vcc
	v_mul_lo_u32 v7, v5, v7
	v_add_co_u32_e32 v7, vcc, v11, v7
	v_addc_co_u32_e32 v9, vcc, 0, v9, vcc
	v_add_co_u32_e32 v3, vcc, v3, v7
	v_addc_co_u32_e32 v5, vcc, v5, v9, vcc
	v_ashrrev_i32_e32 v7, 31, v15
	v_add_co_u32_e32 v9, vcc, v14, v7
	v_xor_b32_e32 v9, v9, v7
	v_addc_co_u32_e32 v11, vcc, v15, v7, vcc
	v_mad_u64_u32 v[16:17], s[0:1], v9, v5, 0
	v_mul_hi_u32 v13, v9, v3
	v_xor_b32_e32 v11, v11, v7
	v_add_co_u32_e32 v13, vcc, v13, v16
	v_addc_co_u32_e32 v15, vcc, 0, v17, vcc
	v_mad_u64_u32 v[18:19], s[0:1], v11, v3, 0
	v_add_co_u32_e32 v3, vcc, v13, v18
	v_mad_u64_u32 v[16:17], s[0:1], v11, v5, 0
	v_addc_co_u32_e32 v3, vcc, v15, v19, vcc
	v_addc_co_u32_e32 v5, vcc, 0, v17, vcc
	v_add_co_u32_e32 v3, vcc, v3, v16
	v_addc_co_u32_e32 v5, vcc, 0, v5, vcc
	v_mul_lo_u32 v13, s37, v3
	v_mul_lo_u32 v15, s36, v5
	v_mad_u64_u32 v[16:17], s[0:1], s36, v3, 0
	v_add3_u32 v13, v17, v15, v13
	v_sub_u32_e32 v15, v11, v13
	v_mov_b32_e32 v17, s37
	v_sub_co_u32_e32 v9, vcc, v9, v16
	v_subb_co_u32_e64 v15, s[0:1], v15, v17, vcc
	v_subrev_co_u32_e64 v16, s[0:1], s36, v9
	v_subbrev_co_u32_e64 v15, s[0:1], 0, v15, s[0:1]
	v_cmp_le_u32_e64 s[0:1], s37, v15
	v_cndmask_b32_e64 v17, 0, -1, s[0:1]
	v_cmp_le_u32_e64 s[0:1], s36, v16
	v_cndmask_b32_e64 v16, 0, -1, s[0:1]
	v_cmp_eq_u32_e64 s[0:1], s37, v15
	v_cndmask_b32_e64 v15, v17, v16, s[0:1]
	v_add_co_u32_e64 v16, s[0:1], 2, v3
	v_subb_co_u32_e32 v11, vcc, v11, v13, vcc
	v_addc_co_u32_e64 v17, s[0:1], 0, v5, s[0:1]
	v_cmp_le_u32_e32 vcc, s37, v11
	v_add_co_u32_e64 v18, s[0:1], 1, v3
	v_cndmask_b32_e64 v13, 0, -1, vcc
	v_cmp_le_u32_e32 vcc, s36, v9
	v_addc_co_u32_e64 v19, s[0:1], 0, v5, s[0:1]
	v_cndmask_b32_e64 v9, 0, -1, vcc
	v_cmp_eq_u32_e32 vcc, s37, v11
	v_cmp_ne_u32_e64 s[0:1], 0, v15
	v_cndmask_b32_e32 v9, v13, v9, vcc
	v_cmp_ne_u32_e32 vcc, 0, v9
	v_cndmask_b32_e64 v9, v18, v16, s[0:1]
	v_cndmask_b32_e64 v15, v19, v17, s[0:1]
	v_cndmask_b32_e32 v3, v3, v9, vcc
	v_xor_b32_e32 v9, s35, v7
	v_xor_b32_e32 v7, s34, v7
	v_cndmask_b32_e32 v5, v5, v15, vcc
	v_xor_b32_e32 v3, v3, v7
	v_xor_b32_e32 v5, v5, v9
	v_sub_co_u32_e32 v16, vcc, v3, v7
	v_subb_co_u32_e32 v17, vcc, v5, v9, vcc
.LBB60_41:                              ;   in Loop: Header=BB60_23 Depth=2
	s_andn2_saveexec_b64 s[0:1], s[30:31]
	s_cbranch_execz .LBB60_43
; %bb.42:                               ;   in Loop: Header=BB60_23 Depth=2
	v_cvt_f32_u32_e32 v3, s57
	s_sub_i32 s16, 0, s57
	v_mov_b32_e32 v17, v2
	v_rcp_iflag_f32_e32 v3, v3
	v_mul_f32_e32 v3, 0x4f7ffffe, v3
	v_cvt_u32_f32_e32 v3, v3
	v_mul_lo_u32 v5, s16, v3
	v_mul_hi_u32 v5, v3, v5
	v_add_u32_e32 v3, v3, v5
	v_mul_hi_u32 v3, v14, v3
	v_mul_lo_u32 v5, v3, s57
	v_sub_u32_e32 v5, v14, v5
	v_add_u32_e32 v7, 1, v3
	v_subrev_u32_e32 v9, s57, v5
	v_cmp_le_u32_e32 vcc, s57, v5
	v_cndmask_b32_e32 v5, v5, v9, vcc
	v_cndmask_b32_e32 v3, v3, v7, vcc
	v_add_u32_e32 v7, 1, v3
	v_cmp_le_u32_e32 vcc, s57, v5
	v_cndmask_b32_e32 v16, v3, v7, vcc
.LBB60_43:                              ;   in Loop: Header=BB60_23 Depth=2
	s_or_b64 exec, exec, s[0:1]
	s_add_u32 s0, s43, s28
	s_addc_u32 s1, s44, s29
	s_add_i32 s16, s26, 2
	s_lshl_b64 s[28:29], s[16:17], 2
	s_add_u32 s30, s39, s28
	s_addc_u32 s31, s40, s29
	s_load_dword s59, s[30:31], 0x0
	s_load_dword s60, s[0:1], 0x0
                                        ; implicit-def: $vgpr18_vgpr19
	s_waitcnt lgkmcnt(0)
	s_ashr_i32 s0, s59, 31
	v_or_b32_e32 v3, s0, v17
	v_cmp_ne_u64_e32 vcc, 0, v[2:3]
	s_and_saveexec_b64 s[30:31], vcc
	s_xor_b64 s[30:31], exec, s[30:31]
	s_cbranch_execz .LBB60_45
; %bb.44:                               ;   in Loop: Header=BB60_23 Depth=2
	s_add_u32 s36, s59, s0
	s_mov_b32 s34, s0
	s_mov_b32 s35, s0
	s_addc_u32 s37, s0, s0
	s_xor_b64 s[36:37], s[36:37], s[34:35]
	v_cvt_f32_u32_e32 v3, s36
	v_cvt_f32_u32_e32 v5, s37
	s_sub_u32 s0, 0, s36
	s_subb_u32 s1, 0, s37
	v_mac_f32_e32 v3, 0x4f800000, v5
	v_rcp_f32_e32 v3, v3
	v_mul_f32_e32 v3, 0x5f7ffffc, v3
	v_mul_f32_e32 v5, 0x2f800000, v3
	v_trunc_f32_e32 v5, v5
	v_mac_f32_e32 v3, 0xcf800000, v5
	v_cvt_u32_f32_e32 v5, v5
	v_cvt_u32_f32_e32 v3, v3
	v_mul_lo_u32 v7, s0, v5
	v_mul_hi_u32 v11, s0, v3
	v_mul_lo_u32 v9, s1, v3
	v_add_u32_e32 v7, v11, v7
	v_mul_lo_u32 v13, s0, v3
	v_add_u32_e32 v7, v7, v9
	v_mul_lo_u32 v11, v3, v7
	v_mul_hi_u32 v15, v3, v13
	v_mul_hi_u32 v9, v3, v7
	v_add_co_u32_e32 v11, vcc, v15, v11
	v_addc_co_u32_e32 v9, vcc, 0, v9, vcc
	v_mul_hi_u32 v18, v5, v13
	v_mul_lo_u32 v13, v5, v13
	v_add_co_u32_e32 v11, vcc, v11, v13
	v_mul_hi_u32 v15, v5, v7
	v_addc_co_u32_e32 v9, vcc, v9, v18, vcc
	v_addc_co_u32_e32 v11, vcc, 0, v15, vcc
	v_mul_lo_u32 v7, v5, v7
	v_add_co_u32_e32 v7, vcc, v9, v7
	v_addc_co_u32_e32 v9, vcc, 0, v11, vcc
	v_add_co_u32_e32 v3, vcc, v3, v7
	v_addc_co_u32_e32 v5, vcc, v5, v9, vcc
	v_mul_lo_u32 v7, s0, v5
	v_mul_hi_u32 v9, s0, v3
	v_add_u32_e32 v7, v9, v7
	v_mul_lo_u32 v9, s1, v3
	v_add_u32_e32 v7, v7, v9
	v_mul_lo_u32 v11, s0, v3
	v_mul_hi_u32 v13, v5, v11
	v_mul_lo_u32 v15, v5, v11
	v_mul_lo_u32 v19, v3, v7
	v_mul_hi_u32 v11, v3, v11
	v_mul_hi_u32 v18, v3, v7
	v_add_co_u32_e32 v11, vcc, v11, v19
	v_addc_co_u32_e32 v18, vcc, 0, v18, vcc
	v_add_co_u32_e32 v11, vcc, v11, v15
	v_mul_hi_u32 v9, v5, v7
	v_addc_co_u32_e32 v11, vcc, v18, v13, vcc
	v_addc_co_u32_e32 v9, vcc, 0, v9, vcc
	v_mul_lo_u32 v7, v5, v7
	v_add_co_u32_e32 v7, vcc, v11, v7
	v_addc_co_u32_e32 v9, vcc, 0, v9, vcc
	v_add_co_u32_e32 v3, vcc, v3, v7
	v_addc_co_u32_e32 v5, vcc, v5, v9, vcc
	v_ashrrev_i32_e32 v7, 31, v17
	v_add_co_u32_e32 v9, vcc, v16, v7
	v_xor_b32_e32 v9, v9, v7
	v_addc_co_u32_e32 v11, vcc, v17, v7, vcc
	v_mad_u64_u32 v[18:19], s[0:1], v9, v5, 0
	v_mul_hi_u32 v13, v9, v3
	v_xor_b32_e32 v11, v11, v7
	v_add_co_u32_e32 v13, vcc, v13, v18
	v_addc_co_u32_e32 v15, vcc, 0, v19, vcc
	v_mad_u64_u32 v[20:21], s[0:1], v11, v3, 0
	v_add_co_u32_e32 v3, vcc, v13, v20
	v_mad_u64_u32 v[18:19], s[0:1], v11, v5, 0
	v_addc_co_u32_e32 v3, vcc, v15, v21, vcc
	v_addc_co_u32_e32 v5, vcc, 0, v19, vcc
	v_add_co_u32_e32 v3, vcc, v3, v18
	v_addc_co_u32_e32 v5, vcc, 0, v5, vcc
	v_mul_lo_u32 v13, s37, v3
	v_mul_lo_u32 v15, s36, v5
	v_mad_u64_u32 v[18:19], s[0:1], s36, v3, 0
	v_add3_u32 v13, v19, v15, v13
	v_sub_u32_e32 v15, v11, v13
	v_mov_b32_e32 v17, s37
	v_sub_co_u32_e32 v9, vcc, v9, v18
	v_subb_co_u32_e64 v15, s[0:1], v15, v17, vcc
	v_subrev_co_u32_e64 v17, s[0:1], s36, v9
	v_subbrev_co_u32_e64 v15, s[0:1], 0, v15, s[0:1]
	v_cmp_le_u32_e64 s[0:1], s37, v15
	v_cndmask_b32_e64 v18, 0, -1, s[0:1]
	v_cmp_le_u32_e64 s[0:1], s36, v17
	v_cndmask_b32_e64 v17, 0, -1, s[0:1]
	v_cmp_eq_u32_e64 s[0:1], s37, v15
	v_cndmask_b32_e64 v15, v18, v17, s[0:1]
	v_add_co_u32_e64 v17, s[0:1], 2, v3
	v_subb_co_u32_e32 v11, vcc, v11, v13, vcc
	v_addc_co_u32_e64 v18, s[0:1], 0, v5, s[0:1]
	v_cmp_le_u32_e32 vcc, s37, v11
	v_add_co_u32_e64 v19, s[0:1], 1, v3
	v_cndmask_b32_e64 v13, 0, -1, vcc
	v_cmp_le_u32_e32 vcc, s36, v9
	v_addc_co_u32_e64 v20, s[0:1], 0, v5, s[0:1]
	v_cndmask_b32_e64 v9, 0, -1, vcc
	v_cmp_eq_u32_e32 vcc, s37, v11
	v_cmp_ne_u32_e64 s[0:1], 0, v15
	v_cndmask_b32_e32 v9, v13, v9, vcc
	v_cmp_ne_u32_e32 vcc, 0, v9
	v_cndmask_b32_e64 v9, v19, v17, s[0:1]
	v_cndmask_b32_e64 v15, v20, v18, s[0:1]
	v_cndmask_b32_e32 v3, v3, v9, vcc
	v_xor_b32_e32 v9, s35, v7
	v_xor_b32_e32 v7, s34, v7
	v_cndmask_b32_e32 v5, v5, v15, vcc
	v_xor_b32_e32 v3, v3, v7
	v_xor_b32_e32 v5, v5, v9
	v_sub_co_u32_e32 v18, vcc, v3, v7
	v_subb_co_u32_e32 v19, vcc, v5, v9, vcc
.LBB60_45:                              ;   in Loop: Header=BB60_23 Depth=2
	s_andn2_saveexec_b64 s[0:1], s[30:31]
	s_cbranch_execz .LBB60_47
; %bb.46:                               ;   in Loop: Header=BB60_23 Depth=2
	v_cvt_f32_u32_e32 v3, s59
	s_sub_i32 s16, 0, s59
	v_mov_b32_e32 v19, v2
	v_rcp_iflag_f32_e32 v3, v3
	v_mul_f32_e32 v3, 0x4f7ffffe, v3
	v_cvt_u32_f32_e32 v3, v3
	v_mul_lo_u32 v5, s16, v3
	v_mul_hi_u32 v5, v3, v5
	v_add_u32_e32 v3, v3, v5
	v_mul_hi_u32 v3, v16, v3
	v_mul_lo_u32 v5, v3, s59
	v_sub_u32_e32 v5, v16, v5
	v_add_u32_e32 v7, 1, v3
	v_subrev_u32_e32 v9, s59, v5
	v_cmp_le_u32_e32 vcc, s59, v5
	v_cndmask_b32_e32 v5, v5, v9, vcc
	v_cndmask_b32_e32 v3, v3, v7, vcc
	v_add_u32_e32 v7, 1, v3
	v_cmp_le_u32_e32 vcc, s59, v5
	v_cndmask_b32_e32 v18, v3, v7, vcc
.LBB60_47:                              ;   in Loop: Header=BB60_23 Depth=2
	s_or_b64 exec, exec, s[0:1]
	s_add_u32 s0, s43, s28
	s_addc_u32 s1, s44, s29
	s_add_i32 s16, s26, 1
	s_lshl_b64 s[28:29], s[16:17], 2
	s_add_u32 s30, s39, s28
	s_addc_u32 s31, s40, s29
	s_load_dword s16, s[30:31], 0x0
	s_load_dword s61, s[0:1], 0x0
                                        ; implicit-def: $vgpr20_vgpr21
	s_waitcnt lgkmcnt(0)
	s_ashr_i32 s0, s16, 31
	v_or_b32_e32 v3, s0, v19
	v_cmp_ne_u64_e32 vcc, 0, v[2:3]
	s_and_saveexec_b64 s[30:31], vcc
	s_xor_b64 s[30:31], exec, s[30:31]
	s_cbranch_execz .LBB60_49
; %bb.48:                               ;   in Loop: Header=BB60_23 Depth=2
	s_add_u32 s36, s16, s0
	s_mov_b32 s34, s0
	s_mov_b32 s35, s0
	s_addc_u32 s37, s0, s0
	s_xor_b64 s[36:37], s[36:37], s[34:35]
	v_cvt_f32_u32_e32 v3, s36
	v_cvt_f32_u32_e32 v5, s37
	s_sub_u32 s0, 0, s36
	s_subb_u32 s1, 0, s37
	v_mac_f32_e32 v3, 0x4f800000, v5
	v_rcp_f32_e32 v3, v3
	v_mul_f32_e32 v3, 0x5f7ffffc, v3
	v_mul_f32_e32 v5, 0x2f800000, v3
	v_trunc_f32_e32 v5, v5
	v_mac_f32_e32 v3, 0xcf800000, v5
	v_cvt_u32_f32_e32 v5, v5
	v_cvt_u32_f32_e32 v3, v3
	v_mul_lo_u32 v7, s0, v5
	v_mul_hi_u32 v11, s0, v3
	v_mul_lo_u32 v9, s1, v3
	v_add_u32_e32 v7, v11, v7
	v_mul_lo_u32 v13, s0, v3
	v_add_u32_e32 v7, v7, v9
	v_mul_lo_u32 v11, v3, v7
	v_mul_hi_u32 v15, v3, v13
	v_mul_hi_u32 v9, v3, v7
	v_add_co_u32_e32 v11, vcc, v15, v11
	v_addc_co_u32_e32 v9, vcc, 0, v9, vcc
	v_mul_hi_u32 v17, v5, v13
	v_mul_lo_u32 v13, v5, v13
	v_add_co_u32_e32 v11, vcc, v11, v13
	v_mul_hi_u32 v15, v5, v7
	v_addc_co_u32_e32 v9, vcc, v9, v17, vcc
	v_addc_co_u32_e32 v11, vcc, 0, v15, vcc
	v_mul_lo_u32 v7, v5, v7
	v_add_co_u32_e32 v7, vcc, v9, v7
	v_addc_co_u32_e32 v9, vcc, 0, v11, vcc
	v_add_co_u32_e32 v3, vcc, v3, v7
	v_addc_co_u32_e32 v5, vcc, v5, v9, vcc
	v_mul_lo_u32 v7, s0, v5
	v_mul_hi_u32 v9, s0, v3
	v_add_u32_e32 v7, v9, v7
	v_mul_lo_u32 v9, s1, v3
	v_add_u32_e32 v7, v7, v9
	v_mul_lo_u32 v11, s0, v3
	v_mul_hi_u32 v13, v5, v11
	v_mul_lo_u32 v15, v5, v11
	v_mul_lo_u32 v20, v3, v7
	v_mul_hi_u32 v11, v3, v11
	v_mul_hi_u32 v17, v3, v7
	v_add_co_u32_e32 v11, vcc, v11, v20
	v_addc_co_u32_e32 v17, vcc, 0, v17, vcc
	v_add_co_u32_e32 v11, vcc, v11, v15
	v_mul_hi_u32 v9, v5, v7
	v_addc_co_u32_e32 v11, vcc, v17, v13, vcc
	v_addc_co_u32_e32 v9, vcc, 0, v9, vcc
	v_mul_lo_u32 v7, v5, v7
	v_add_co_u32_e32 v7, vcc, v11, v7
	v_addc_co_u32_e32 v9, vcc, 0, v9, vcc
	v_add_co_u32_e32 v3, vcc, v3, v7
	v_addc_co_u32_e32 v5, vcc, v5, v9, vcc
	v_ashrrev_i32_e32 v7, 31, v19
	v_add_co_u32_e32 v9, vcc, v18, v7
	v_xor_b32_e32 v9, v9, v7
	v_addc_co_u32_e32 v11, vcc, v19, v7, vcc
	v_mad_u64_u32 v[20:21], s[0:1], v9, v5, 0
	v_mul_hi_u32 v13, v9, v3
	v_xor_b32_e32 v11, v11, v7
	v_add_co_u32_e32 v13, vcc, v13, v20
	v_addc_co_u32_e32 v15, vcc, 0, v21, vcc
	v_mad_u64_u32 v[22:23], s[0:1], v11, v3, 0
	v_add_co_u32_e32 v3, vcc, v13, v22
	v_mad_u64_u32 v[20:21], s[0:1], v11, v5, 0
	v_addc_co_u32_e32 v3, vcc, v15, v23, vcc
	v_addc_co_u32_e32 v5, vcc, 0, v21, vcc
	v_add_co_u32_e32 v3, vcc, v3, v20
	v_addc_co_u32_e32 v5, vcc, 0, v5, vcc
	v_mul_lo_u32 v13, s37, v3
	v_mul_lo_u32 v15, s36, v5
	v_mad_u64_u32 v[20:21], s[0:1], s36, v3, 0
	v_add3_u32 v13, v21, v15, v13
	v_sub_u32_e32 v15, v11, v13
	v_mov_b32_e32 v17, s37
	v_sub_co_u32_e32 v9, vcc, v9, v20
	v_subb_co_u32_e64 v15, s[0:1], v15, v17, vcc
	v_subrev_co_u32_e64 v17, s[0:1], s36, v9
	v_subbrev_co_u32_e64 v15, s[0:1], 0, v15, s[0:1]
	v_cmp_le_u32_e64 s[0:1], s37, v15
	v_cndmask_b32_e64 v19, 0, -1, s[0:1]
	v_cmp_le_u32_e64 s[0:1], s36, v17
	v_cndmask_b32_e64 v17, 0, -1, s[0:1]
	v_cmp_eq_u32_e64 s[0:1], s37, v15
	v_cndmask_b32_e64 v15, v19, v17, s[0:1]
	v_add_co_u32_e64 v17, s[0:1], 2, v3
	v_subb_co_u32_e32 v11, vcc, v11, v13, vcc
	v_addc_co_u32_e64 v19, s[0:1], 0, v5, s[0:1]
	v_cmp_le_u32_e32 vcc, s37, v11
	v_add_co_u32_e64 v20, s[0:1], 1, v3
	v_cndmask_b32_e64 v13, 0, -1, vcc
	v_cmp_le_u32_e32 vcc, s36, v9
	v_addc_co_u32_e64 v21, s[0:1], 0, v5, s[0:1]
	v_cndmask_b32_e64 v9, 0, -1, vcc
	v_cmp_eq_u32_e32 vcc, s37, v11
	v_cmp_ne_u32_e64 s[0:1], 0, v15
	v_cndmask_b32_e32 v9, v13, v9, vcc
	v_cmp_ne_u32_e32 vcc, 0, v9
	v_cndmask_b32_e64 v9, v20, v17, s[0:1]
	v_cndmask_b32_e64 v15, v21, v19, s[0:1]
	v_cndmask_b32_e32 v3, v3, v9, vcc
	v_xor_b32_e32 v9, s35, v7
	v_xor_b32_e32 v7, s34, v7
	v_cndmask_b32_e32 v5, v5, v15, vcc
	v_xor_b32_e32 v3, v3, v7
	v_xor_b32_e32 v5, v5, v9
	v_sub_co_u32_e32 v20, vcc, v3, v7
	v_subb_co_u32_e32 v21, vcc, v5, v9, vcc
.LBB60_49:                              ;   in Loop: Header=BB60_23 Depth=2
	s_andn2_saveexec_b64 s[0:1], s[30:31]
	s_cbranch_execz .LBB60_51
; %bb.50:                               ;   in Loop: Header=BB60_23 Depth=2
	v_cvt_f32_u32_e32 v3, s16
	s_sub_i32 s27, 0, s16
	v_mov_b32_e32 v21, v2
	v_rcp_iflag_f32_e32 v3, v3
	v_mul_f32_e32 v3, 0x4f7ffffe, v3
	v_cvt_u32_f32_e32 v3, v3
	v_mul_lo_u32 v5, s27, v3
	v_mul_hi_u32 v5, v3, v5
	v_add_u32_e32 v3, v3, v5
	v_mul_hi_u32 v3, v18, v3
	v_mul_lo_u32 v5, v3, s16
	v_sub_u32_e32 v5, v18, v5
	v_add_u32_e32 v7, 1, v3
	v_subrev_u32_e32 v9, s16, v5
	v_cmp_le_u32_e32 vcc, s16, v5
	v_cndmask_b32_e32 v5, v5, v9, vcc
	v_cndmask_b32_e32 v3, v3, v7, vcc
	v_add_u32_e32 v7, 1, v3
	v_cmp_le_u32_e32 vcc, s16, v5
	v_cndmask_b32_e32 v20, v3, v7, vcc
.LBB60_51:                              ;   in Loop: Header=BB60_23 Depth=2
	s_or_b64 exec, exec, s[0:1]
	s_add_u32 s0, s43, s28
	s_mov_b32 s27, s17
	s_addc_u32 s1, s44, s29
	s_lshl_b64 s[28:29], s[26:27], 2
	s_add_u32 s30, s39, s28
	s_addc_u32 s31, s40, s29
	s_load_dword s27, s[30:31], 0x0
	s_load_dword s62, s[0:1], 0x0
                                        ; implicit-def: $vgpr22_vgpr23
	s_waitcnt lgkmcnt(0)
	s_ashr_i32 s0, s27, 31
	v_or_b32_e32 v3, s0, v21
	v_cmp_ne_u64_e32 vcc, 0, v[2:3]
	s_and_saveexec_b64 s[30:31], vcc
	s_xor_b64 s[30:31], exec, s[30:31]
	s_cbranch_execz .LBB60_53
; %bb.52:                               ;   in Loop: Header=BB60_23 Depth=2
	s_add_u32 s36, s27, s0
	s_mov_b32 s34, s0
	s_mov_b32 s35, s0
	s_addc_u32 s37, s0, s0
	s_xor_b64 s[36:37], s[36:37], s[34:35]
	v_cvt_f32_u32_e32 v3, s36
	v_cvt_f32_u32_e32 v5, s37
	s_sub_u32 s0, 0, s36
	s_subb_u32 s1, 0, s37
	v_mac_f32_e32 v3, 0x4f800000, v5
	v_rcp_f32_e32 v3, v3
	v_mul_f32_e32 v3, 0x5f7ffffc, v3
	v_mul_f32_e32 v5, 0x2f800000, v3
	v_trunc_f32_e32 v5, v5
	v_mac_f32_e32 v3, 0xcf800000, v5
	v_cvt_u32_f32_e32 v5, v5
	v_cvt_u32_f32_e32 v3, v3
	v_mul_lo_u32 v7, s0, v5
	v_mul_hi_u32 v11, s0, v3
	v_mul_lo_u32 v9, s1, v3
	v_add_u32_e32 v7, v11, v7
	v_mul_lo_u32 v13, s0, v3
	v_add_u32_e32 v7, v7, v9
	v_mul_lo_u32 v11, v3, v7
	v_mul_hi_u32 v15, v3, v13
	v_mul_hi_u32 v9, v3, v7
	v_add_co_u32_e32 v11, vcc, v15, v11
	v_addc_co_u32_e32 v9, vcc, 0, v9, vcc
	v_mul_hi_u32 v17, v5, v13
	v_mul_lo_u32 v13, v5, v13
	v_add_co_u32_e32 v11, vcc, v11, v13
	v_mul_hi_u32 v15, v5, v7
	v_addc_co_u32_e32 v9, vcc, v9, v17, vcc
	v_addc_co_u32_e32 v11, vcc, 0, v15, vcc
	v_mul_lo_u32 v7, v5, v7
	v_add_co_u32_e32 v7, vcc, v9, v7
	v_addc_co_u32_e32 v9, vcc, 0, v11, vcc
	v_add_co_u32_e32 v3, vcc, v3, v7
	v_addc_co_u32_e32 v5, vcc, v5, v9, vcc
	v_mul_lo_u32 v7, s0, v5
	v_mul_hi_u32 v9, s0, v3
	v_add_u32_e32 v7, v9, v7
	v_mul_lo_u32 v9, s1, v3
	v_add_u32_e32 v7, v7, v9
	v_mul_lo_u32 v11, s0, v3
	v_mul_hi_u32 v13, v5, v11
	v_mul_lo_u32 v15, v5, v11
	v_mul_lo_u32 v19, v3, v7
	v_mul_hi_u32 v11, v3, v11
	v_mul_hi_u32 v17, v3, v7
	v_add_co_u32_e32 v11, vcc, v11, v19
	v_addc_co_u32_e32 v17, vcc, 0, v17, vcc
	v_add_co_u32_e32 v11, vcc, v11, v15
	v_mul_hi_u32 v9, v5, v7
	v_addc_co_u32_e32 v11, vcc, v17, v13, vcc
	v_addc_co_u32_e32 v9, vcc, 0, v9, vcc
	v_mul_lo_u32 v7, v5, v7
	v_add_co_u32_e32 v7, vcc, v11, v7
	v_addc_co_u32_e32 v9, vcc, 0, v9, vcc
	v_add_co_u32_e32 v3, vcc, v3, v7
	v_addc_co_u32_e32 v5, vcc, v5, v9, vcc
	v_ashrrev_i32_e32 v7, 31, v21
	v_add_co_u32_e32 v9, vcc, v20, v7
	v_xor_b32_e32 v9, v9, v7
	v_addc_co_u32_e32 v11, vcc, v21, v7, vcc
	v_mad_u64_u32 v[22:23], s[0:1], v9, v5, 0
	v_mul_hi_u32 v13, v9, v3
	v_xor_b32_e32 v11, v11, v7
	v_add_co_u32_e32 v13, vcc, v13, v22
	v_addc_co_u32_e32 v15, vcc, 0, v23, vcc
	v_mad_u64_u32 v[28:29], s[0:1], v11, v3, 0
	v_add_co_u32_e32 v3, vcc, v13, v28
	v_mad_u64_u32 v[22:23], s[0:1], v11, v5, 0
	v_addc_co_u32_e32 v3, vcc, v15, v29, vcc
	v_addc_co_u32_e32 v5, vcc, 0, v23, vcc
	v_add_co_u32_e32 v3, vcc, v3, v22
	v_addc_co_u32_e32 v5, vcc, 0, v5, vcc
	v_mul_lo_u32 v13, s37, v3
	v_mul_lo_u32 v15, s36, v5
	v_mad_u64_u32 v[22:23], s[0:1], s36, v3, 0
	v_add3_u32 v13, v23, v15, v13
	v_sub_u32_e32 v15, v11, v13
	v_mov_b32_e32 v17, s37
	v_sub_co_u32_e32 v9, vcc, v9, v22
	v_subb_co_u32_e64 v15, s[0:1], v15, v17, vcc
	v_subrev_co_u32_e64 v17, s[0:1], s36, v9
	v_subbrev_co_u32_e64 v15, s[0:1], 0, v15, s[0:1]
	v_cmp_le_u32_e64 s[0:1], s37, v15
	v_cndmask_b32_e64 v19, 0, -1, s[0:1]
	v_cmp_le_u32_e64 s[0:1], s36, v17
	v_cndmask_b32_e64 v17, 0, -1, s[0:1]
	v_cmp_eq_u32_e64 s[0:1], s37, v15
	v_cndmask_b32_e64 v15, v19, v17, s[0:1]
	v_add_co_u32_e64 v17, s[0:1], 2, v3
	v_subb_co_u32_e32 v11, vcc, v11, v13, vcc
	v_addc_co_u32_e64 v19, s[0:1], 0, v5, s[0:1]
	v_cmp_le_u32_e32 vcc, s37, v11
	v_add_co_u32_e64 v21, s[0:1], 1, v3
	v_cndmask_b32_e64 v13, 0, -1, vcc
	v_cmp_le_u32_e32 vcc, s36, v9
	v_addc_co_u32_e64 v22, s[0:1], 0, v5, s[0:1]
	v_cndmask_b32_e64 v9, 0, -1, vcc
	v_cmp_eq_u32_e32 vcc, s37, v11
	v_cmp_ne_u32_e64 s[0:1], 0, v15
	v_cndmask_b32_e32 v9, v13, v9, vcc
	v_cmp_ne_u32_e32 vcc, 0, v9
	v_cndmask_b32_e64 v9, v21, v17, s[0:1]
	v_cndmask_b32_e64 v15, v22, v19, s[0:1]
	v_cndmask_b32_e32 v3, v3, v9, vcc
	v_xor_b32_e32 v9, s35, v7
	v_xor_b32_e32 v7, s34, v7
	v_cndmask_b32_e32 v5, v5, v15, vcc
	v_xor_b32_e32 v3, v3, v7
	v_xor_b32_e32 v5, v5, v9
	v_sub_co_u32_e32 v22, vcc, v3, v7
	v_subb_co_u32_e32 v23, vcc, v5, v9, vcc
.LBB60_53:                              ;   in Loop: Header=BB60_23 Depth=2
	s_andn2_saveexec_b64 s[0:1], s[30:31]
	s_cbranch_execz .LBB60_55
; %bb.54:                               ;   in Loop: Header=BB60_23 Depth=2
	v_cvt_f32_u32_e32 v3, s27
	s_sub_i32 s30, 0, s27
	v_mov_b32_e32 v23, v2
	v_rcp_iflag_f32_e32 v3, v3
	v_mul_f32_e32 v3, 0x4f7ffffe, v3
	v_cvt_u32_f32_e32 v3, v3
	v_mul_lo_u32 v5, s30, v3
	v_mul_hi_u32 v5, v3, v5
	v_add_u32_e32 v3, v3, v5
	v_mul_hi_u32 v3, v20, v3
	v_mul_lo_u32 v5, v3, s27
	v_sub_u32_e32 v5, v20, v5
	v_add_u32_e32 v7, 1, v3
	v_subrev_u32_e32 v9, s27, v5
	v_cmp_le_u32_e32 vcc, s27, v5
	v_cndmask_b32_e32 v5, v5, v9, vcc
	v_cndmask_b32_e32 v3, v3, v7, vcc
	v_add_u32_e32 v7, 1, v3
	v_cmp_le_u32_e32 vcc, s27, v5
	v_cndmask_b32_e32 v22, v3, v7, vcc
.LBB60_55:                              ;   in Loop: Header=BB60_23 Depth=2
	s_or_b64 exec, exec, s[0:1]
	v_mul_lo_u32 v3, v8, s50
	v_mul_lo_u32 v5, v10, s51
	v_sub_u32_e32 v3, v6, v3
	v_sub_u32_e32 v5, v8, v5
	v_mul_lo_u32 v3, s52, v3
	v_mul_lo_u32 v5, s54, v5
	v_add3_u32 v3, v3, v4, v5
	v_mul_lo_u32 v4, v12, s53
	v_mul_lo_u32 v5, v14, s55
	v_sub_u32_e32 v4, v10, v4
	v_sub_u32_e32 v5, v12, v5
	s_add_u32 s0, s43, s28
	v_mul_lo_u32 v4, s56, v4
	v_mul_lo_u32 v5, s58, v5
	s_addc_u32 s1, s44, s29
	v_add3_u32 v3, v4, v3, v5
	v_mul_lo_u32 v4, v16, s57
	v_mul_lo_u32 v5, v18, s59
	s_load_dword s0, s[0:1], 0x0
	v_sub_u32_e32 v4, v14, v4
	v_sub_u32_e32 v5, v16, v5
	v_mul_lo_u32 v4, s60, v4
	v_mul_lo_u32 v5, s61, v5
	v_add3_u32 v3, v4, v3, v5
	v_mul_lo_u32 v4, v20, s16
	v_mul_lo_u32 v5, v22, s27
	v_sub_u32_e32 v4, v18, v4
	v_sub_u32_e32 v5, v20, v5
	v_mul_lo_u32 v4, s62, v4
	s_waitcnt lgkmcnt(0)
	v_mul_lo_u32 v5, s0, v5
	s_add_i32 s26, s26, -8
	s_cmp_eq_u32 s26, -8
	v_add3_u32 v4, v4, v3, v5
	s_cbranch_scc1 .LBB60_57
; %bb.56:                               ;   in Loop: Header=BB60_23 Depth=2
	v_pk_mov_b32 v[6:7], v[22:23], v[22:23] op_sel:[0,1]
	s_branch .LBB60_23
.LBB60_57:                              ;   in Loop: Header=BB60_3 Depth=1
	s_load_dword s0, s[14:15], 0x0
	s_waitcnt lgkmcnt(0)
	v_cmp_gt_i32_e32 vcc, s0, v26
	s_and_b64 exec, exec, vcc
	s_cbranch_execz .LBB60_2
; %bb.58:                               ;   in Loop: Header=BB60_3 Depth=1
	v_ashrrev_i32_e32 v5, 31, v4
	v_lshlrev_b64 v[6:7], 2, v[4:5]
	v_mov_b32_e32 v3, s3
	v_add_co_u32_e32 v6, vcc, s2, v6
	v_addc_co_u32_e32 v7, vcc, v3, v7, vcc
	v_add_u32_e32 v3, 1, v26
	v_cmp_gt_i32_e32 vcc, s0, v3
	global_store_dword v[6:7], v2, off
	s_and_b64 exec, exec, vcc
	s_cbranch_execz .LBB60_2
; %bb.59:                               ;   in Loop: Header=BB60_3 Depth=1
	v_sub_u32_e32 v6, v3, v25
	v_ashrrev_i32_e32 v7, 31, v6
	v_cmp_gt_i64_e32 vcc, s[8:9], v[6:7]
	s_and_b64 exec, exec, vcc
	s_cbranch_execz .LBB60_2
; %bb.60:                               ;   in Loop: Header=BB60_3 Depth=1
	v_add_u32_e32 v4, s49, v4
	v_ashrrev_i32_e32 v5, 31, v4
	v_lshlrev_b64 v[4:5], 2, v[4:5]
	v_mov_b32_e32 v3, s3
	v_add_co_u32_e32 v4, vcc, s2, v4
	v_addc_co_u32_e32 v5, vcc, v3, v5, vcc
	global_store_dword v[4:5], v2, off
	s_branch .LBB60_2
.LBB60_61:
	s_endpgm
	.section	.rodata,"a",@progbits
	.p2align	6, 0x0
	.amdhsa_kernel _ZN2at6native16triu_tril_kernelIiiLb1ELi2ELb1EEEvNS_4cuda6detail10TensorInfoIT_T0_EENS4_IKS5_S6_EEllS6_
		.amdhsa_group_segment_fixed_size 0
		.amdhsa_private_segment_fixed_size 0
		.amdhsa_kernarg_size 712
		.amdhsa_user_sgpr_count 6
		.amdhsa_user_sgpr_private_segment_buffer 1
		.amdhsa_user_sgpr_dispatch_ptr 0
		.amdhsa_user_sgpr_queue_ptr 0
		.amdhsa_user_sgpr_kernarg_segment_ptr 1
		.amdhsa_user_sgpr_dispatch_id 0
		.amdhsa_user_sgpr_flat_scratch_init 0
		.amdhsa_user_sgpr_kernarg_preload_length 0
		.amdhsa_user_sgpr_kernarg_preload_offset 0
		.amdhsa_user_sgpr_private_segment_size 0
		.amdhsa_uses_dynamic_stack 0
		.amdhsa_system_sgpr_private_segment_wavefront_offset 0
		.amdhsa_system_sgpr_workgroup_id_x 1
		.amdhsa_system_sgpr_workgroup_id_y 0
		.amdhsa_system_sgpr_workgroup_id_z 0
		.amdhsa_system_sgpr_workgroup_info 0
		.amdhsa_system_vgpr_workitem_id 0
		.amdhsa_next_free_vgpr 30
		.amdhsa_next_free_sgpr 63
		.amdhsa_accum_offset 32
		.amdhsa_reserve_vcc 1
		.amdhsa_reserve_flat_scratch 0
		.amdhsa_float_round_mode_32 0
		.amdhsa_float_round_mode_16_64 0
		.amdhsa_float_denorm_mode_32 3
		.amdhsa_float_denorm_mode_16_64 3
		.amdhsa_dx10_clamp 1
		.amdhsa_ieee_mode 1
		.amdhsa_fp16_overflow 0
		.amdhsa_tg_split 0
		.amdhsa_exception_fp_ieee_invalid_op 0
		.amdhsa_exception_fp_denorm_src 0
		.amdhsa_exception_fp_ieee_div_zero 0
		.amdhsa_exception_fp_ieee_overflow 0
		.amdhsa_exception_fp_ieee_underflow 0
		.amdhsa_exception_fp_ieee_inexact 0
		.amdhsa_exception_int_div_zero 0
	.end_amdhsa_kernel
	.section	.text._ZN2at6native16triu_tril_kernelIiiLb1ELi2ELb1EEEvNS_4cuda6detail10TensorInfoIT_T0_EENS4_IKS5_S6_EEllS6_,"axG",@progbits,_ZN2at6native16triu_tril_kernelIiiLb1ELi2ELb1EEEvNS_4cuda6detail10TensorInfoIT_T0_EENS4_IKS5_S6_EEllS6_,comdat
.Lfunc_end60:
	.size	_ZN2at6native16triu_tril_kernelIiiLb1ELi2ELb1EEEvNS_4cuda6detail10TensorInfoIT_T0_EENS4_IKS5_S6_EEllS6_, .Lfunc_end60-_ZN2at6native16triu_tril_kernelIiiLb1ELi2ELb1EEEvNS_4cuda6detail10TensorInfoIT_T0_EENS4_IKS5_S6_EEllS6_
                                        ; -- End function
	.section	.AMDGPU.csdata,"",@progbits
; Kernel info:
; codeLenInByte = 10112
; NumSgprs: 67
; NumVgprs: 30
; NumAgprs: 0
; TotalNumVgprs: 30
; ScratchSize: 0
; MemoryBound: 0
; FloatMode: 240
; IeeeMode: 1
; LDSByteSize: 0 bytes/workgroup (compile time only)
; SGPRBlocks: 8
; VGPRBlocks: 3
; NumSGPRsForWavesPerEU: 67
; NumVGPRsForWavesPerEU: 30
; AccumOffset: 32
; Occupancy: 8
; WaveLimiterHint : 0
; COMPUTE_PGM_RSRC2:SCRATCH_EN: 0
; COMPUTE_PGM_RSRC2:USER_SGPR: 6
; COMPUTE_PGM_RSRC2:TRAP_HANDLER: 0
; COMPUTE_PGM_RSRC2:TGID_X_EN: 1
; COMPUTE_PGM_RSRC2:TGID_Y_EN: 0
; COMPUTE_PGM_RSRC2:TGID_Z_EN: 0
; COMPUTE_PGM_RSRC2:TIDIG_COMP_CNT: 0
; COMPUTE_PGM_RSRC3_GFX90A:ACCUM_OFFSET: 7
; COMPUTE_PGM_RSRC3_GFX90A:TG_SPLIT: 0
	.section	.text._ZN2at6native16triu_tril_kernelIiiLb1ELi2ELb0EEEvNS_4cuda6detail10TensorInfoIT_T0_EENS4_IKS5_S6_EEllS6_,"axG",@progbits,_ZN2at6native16triu_tril_kernelIiiLb1ELi2ELb0EEEvNS_4cuda6detail10TensorInfoIT_T0_EENS4_IKS5_S6_EEllS6_,comdat
	.protected	_ZN2at6native16triu_tril_kernelIiiLb1ELi2ELb0EEEvNS_4cuda6detail10TensorInfoIT_T0_EENS4_IKS5_S6_EEllS6_ ; -- Begin function _ZN2at6native16triu_tril_kernelIiiLb1ELi2ELb0EEEvNS_4cuda6detail10TensorInfoIT_T0_EENS4_IKS5_S6_EEllS6_
	.globl	_ZN2at6native16triu_tril_kernelIiiLb1ELi2ELb0EEEvNS_4cuda6detail10TensorInfoIT_T0_EENS4_IKS5_S6_EEllS6_
	.p2align	8
	.type	_ZN2at6native16triu_tril_kernelIiiLb1ELi2ELb0EEEvNS_4cuda6detail10TensorInfoIT_T0_EENS4_IKS5_S6_EEllS6_,@function
_ZN2at6native16triu_tril_kernelIiiLb1ELi2ELb0EEEvNS_4cuda6detail10TensorInfoIT_T0_EENS4_IKS5_S6_EEllS6_: ; @_ZN2at6native16triu_tril_kernelIiiLb1ELi2ELb0EEEvNS_4cuda6detail10TensorInfoIT_T0_EENS4_IKS5_S6_EEllS6_
; %bb.0:
	s_load_dword s2, s[4:5], 0x1d4
	s_load_dwordx4 s[8:11], s[4:5], 0x1b0
	s_add_u32 s0, s4, 0x1c8
	v_mov_b32_e32 v2, 0
	s_addc_u32 s1, s5, 0
	s_waitcnt lgkmcnt(0)
	s_and_b32 s2, s2, 0xffff
	v_mov_b32_e32 v1, v2
	v_mov_b32_e32 v3, s6
	v_mad_u64_u32 v[0:1], s[6:7], s2, v3, v[0:1]
	v_lshlrev_b64 v[0:1], 1, v[0:1]
	v_cmp_gt_i64_e32 vcc, s[10:11], v[0:1]
	s_and_saveexec_b64 s[6:7], vcc
	s_cbranch_execz .LBB61_52
; %bb.1:
	s_load_dword s20, s[4:5], 0x1a8
	s_add_u32 s33, s4, 0xd8
	s_addc_u32 s46, s5, 0
	s_load_dword s3, s[0:1], 0x0
	s_load_dwordx2 s[6:7], s[4:5], 0xd8
	s_mov_b32 s22, s8
	s_waitcnt lgkmcnt(0)
	s_ashr_i32 s21, s20, 31
	s_lshl_b64 s[0:1], s[20:21], 2
	s_add_u32 s18, s0, -8
	s_addc_u32 s19, s1, -1
	s_add_u32 s0, s33, s18
	s_addc_u32 s1, s46, s19
	s_load_dwordx2 s[12:13], s[0:1], 0x8
	s_load_dword s47, s[4:5], 0x1c0
	s_load_dwordx2 s[16:17], s[0:1], 0x6c
	s_mul_i32 s3, s3, s2
	v_cmp_gt_i64_e64 s[14:15], s[20:21], 2
	s_waitcnt lgkmcnt(0)
	s_ashr_i32 s48, s12, 31
	v_cvt_f32_u32_e32 v3, s47
	s_ashr_i32 s49, s47, 31
	s_add_u32 s50, s4, 0x6c
	s_addc_u32 s51, s5, 0
	s_add_u32 s0, s50, s18
	v_rcp_iflag_f32_e32 v3, v3
	s_addc_u32 s1, s51, s19
	s_load_dwordx2 s[18:19], s[0:1], 0x0
	s_add_i32 s52, s20, -3
	s_load_dwordx2 s[4:5], s[4:5], 0x0
	s_lshl_b32 s53, s3, 1
	s_and_b32 s55, s20, 3
	v_mul_f32_e32 v3, 0x4f7ffffe, v3
	s_cmp_lg_u32 s55, 2
	v_cvt_u32_f32_e32 v22, v3
	s_cselect_b64 s[26:27], -1, 0
	s_cmp_gt_u32 s52, 2
	s_mov_b32 s21, 0
	s_cselect_b64 s[28:29], -1, 0
	s_ashr_i32 s1, s17, 31
	s_mov_b32 s0, s17
	s_waitcnt lgkmcnt(0)
	s_ashr_i32 s3, s19, 31
	s_mov_b32 s2, s19
	s_mov_b32 s54, s21
	s_mov_b32 s23, s9
	s_mov_b32 s24, s8
	s_mov_b32 s25, s9
	s_mov_b64 s[30:31], 0
	s_lshl_b64 s[34:35], s[0:1], 2
	s_lshl_b64 s[36:37], s[2:3], 2
	s_branch .LBB61_3
.LBB61_2:                               ;   in Loop: Header=BB61_3 Depth=1
	s_or_b64 exec, exec, s[0:1]
	v_mov_b32_e32 v3, s54
	v_add_co_u32_e32 v0, vcc, s53, v0
	v_addc_co_u32_e32 v1, vcc, v1, v3, vcc
	v_cmp_le_i64_e32 vcc, s[10:11], v[0:1]
	s_or_b64 s[30:31], vcc, s[30:31]
	s_andn2_b64 exec, exec, s[30:31]
	s_cbranch_execz .LBB61_52
.LBB61_3:                               ; =>This Loop Header: Depth=1
                                        ;     Child Loop BB61_37 Depth 2
                                        ;     Child Loop BB61_18 Depth 2
	v_or_b32_e32 v3, s49, v1
	v_cmp_ne_u64_e32 vcc, 0, v[2:3]
                                        ; implicit-def: $vgpr4_vgpr5
                                        ; implicit-def: $vgpr14_vgpr15
	s_and_saveexec_b64 s[0:1], vcc
	s_xor_b64 s[38:39], exec, s[0:1]
	s_cbranch_execz .LBB61_5
; %bb.4:                                ;   in Loop: Header=BB61_3 Depth=1
	s_add_u32 s0, s47, s49
	s_mov_b32 s2, s49
	s_mov_b32 s3, s49
	s_addc_u32 s1, s49, s49
	s_xor_b64 s[40:41], s[0:1], s[2:3]
	v_cvt_f32_u32_e32 v3, s40
	v_cvt_f32_u32_e32 v4, s41
	s_sub_u32 s0, 0, s40
	s_subb_u32 s1, 0, s41
	v_mac_f32_e32 v3, 0x4f800000, v4
	v_rcp_f32_e32 v3, v3
	v_mul_f32_e32 v3, 0x5f7ffffc, v3
	v_mul_f32_e32 v4, 0x2f800000, v3
	v_trunc_f32_e32 v4, v4
	v_mac_f32_e32 v3, 0xcf800000, v4
	v_cvt_u32_f32_e32 v4, v4
	v_cvt_u32_f32_e32 v3, v3
	v_mul_lo_u32 v5, s0, v4
	v_mul_hi_u32 v7, s0, v3
	v_mul_lo_u32 v6, s1, v3
	v_add_u32_e32 v5, v7, v5
	v_mul_lo_u32 v8, s0, v3
	v_add_u32_e32 v5, v5, v6
	v_mul_lo_u32 v7, v3, v5
	v_mul_hi_u32 v9, v3, v8
	v_mul_hi_u32 v6, v3, v5
	v_add_co_u32_e32 v7, vcc, v9, v7
	v_addc_co_u32_e32 v6, vcc, 0, v6, vcc
	v_mul_hi_u32 v10, v4, v8
	v_mul_lo_u32 v8, v4, v8
	v_add_co_u32_e32 v7, vcc, v7, v8
	v_mul_hi_u32 v9, v4, v5
	v_addc_co_u32_e32 v6, vcc, v6, v10, vcc
	v_addc_co_u32_e32 v7, vcc, 0, v9, vcc
	v_mul_lo_u32 v5, v4, v5
	v_add_co_u32_e32 v5, vcc, v6, v5
	v_addc_co_u32_e32 v6, vcc, 0, v7, vcc
	v_add_co_u32_e32 v3, vcc, v3, v5
	v_addc_co_u32_e32 v4, vcc, v4, v6, vcc
	v_mul_lo_u32 v5, s0, v4
	v_mul_hi_u32 v6, s0, v3
	v_add_u32_e32 v5, v6, v5
	v_mul_lo_u32 v6, s1, v3
	v_add_u32_e32 v5, v5, v6
	v_mul_lo_u32 v7, s0, v3
	v_mul_hi_u32 v8, v4, v7
	v_mul_lo_u32 v9, v4, v7
	v_mul_lo_u32 v11, v3, v5
	v_mul_hi_u32 v7, v3, v7
	v_mul_hi_u32 v10, v3, v5
	v_add_co_u32_e32 v7, vcc, v7, v11
	v_addc_co_u32_e32 v10, vcc, 0, v10, vcc
	v_add_co_u32_e32 v7, vcc, v7, v9
	v_mul_hi_u32 v6, v4, v5
	v_addc_co_u32_e32 v7, vcc, v10, v8, vcc
	v_addc_co_u32_e32 v6, vcc, 0, v6, vcc
	v_mul_lo_u32 v5, v4, v5
	v_add_co_u32_e32 v5, vcc, v7, v5
	v_addc_co_u32_e32 v6, vcc, 0, v6, vcc
	v_add_co_u32_e32 v3, vcc, v3, v5
	v_addc_co_u32_e32 v6, vcc, v4, v6, vcc
	v_ashrrev_i32_e32 v8, 31, v1
	v_add_co_u32_e32 v4, vcc, v0, v8
	v_addc_co_u32_e32 v5, vcc, v1, v8, vcc
	v_xor_b32_e32 v10, v4, v8
	v_xor_b32_e32 v9, v5, v8
	v_mad_u64_u32 v[4:5], s[0:1], v10, v6, 0
	v_mul_hi_u32 v7, v10, v3
	v_add_co_u32_e32 v11, vcc, v7, v4
	v_addc_co_u32_e32 v12, vcc, 0, v5, vcc
	v_mad_u64_u32 v[4:5], s[0:1], v9, v6, 0
	v_mad_u64_u32 v[6:7], s[0:1], v9, v3, 0
	v_add_co_u32_e32 v3, vcc, v11, v6
	v_addc_co_u32_e32 v3, vcc, v12, v7, vcc
	v_addc_co_u32_e32 v5, vcc, 0, v5, vcc
	v_add_co_u32_e32 v3, vcc, v3, v4
	v_addc_co_u32_e32 v6, vcc, 0, v5, vcc
	v_mul_lo_u32 v7, s41, v3
	v_mul_lo_u32 v11, s40, v6
	v_mad_u64_u32 v[4:5], s[0:1], s40, v3, 0
	v_add3_u32 v5, v5, v11, v7
	v_sub_u32_e32 v7, v9, v5
	v_mov_b32_e32 v11, s41
	v_sub_co_u32_e32 v4, vcc, v10, v4
	v_subb_co_u32_e64 v7, s[0:1], v7, v11, vcc
	v_subrev_co_u32_e64 v10, s[0:1], s40, v4
	v_subbrev_co_u32_e64 v7, s[0:1], 0, v7, s[0:1]
	v_cmp_le_u32_e64 s[0:1], s41, v7
	v_cndmask_b32_e64 v11, 0, -1, s[0:1]
	v_cmp_le_u32_e64 s[0:1], s40, v10
	v_cndmask_b32_e64 v12, 0, -1, s[0:1]
	v_cmp_eq_u32_e64 s[0:1], s41, v7
	v_cndmask_b32_e64 v7, v11, v12, s[0:1]
	v_add_co_u32_e64 v11, s[0:1], 2, v3
	v_addc_co_u32_e64 v12, s[0:1], 0, v6, s[0:1]
	v_add_co_u32_e64 v13, s[0:1], 1, v3
	v_subb_co_u32_e32 v5, vcc, v9, v5, vcc
	v_addc_co_u32_e64 v14, s[0:1], 0, v6, s[0:1]
	v_cmp_le_u32_e32 vcc, s41, v5
	v_cmp_ne_u32_e64 s[0:1], 0, v7
	v_cndmask_b32_e64 v9, 0, -1, vcc
	v_cmp_le_u32_e32 vcc, s40, v4
	v_cndmask_b32_e64 v7, v14, v12, s[0:1]
	v_cndmask_b32_e64 v12, 0, -1, vcc
	v_cmp_eq_u32_e32 vcc, s41, v5
	v_cndmask_b32_e32 v5, v9, v12, vcc
	v_cmp_ne_u32_e32 vcc, 0, v5
	v_cndmask_b32_e32 v5, v6, v7, vcc
	v_cndmask_b32_e64 v6, v13, v11, s[0:1]
	v_cndmask_b32_e32 v3, v3, v6, vcc
	v_xor_b32_e32 v7, s2, v8
	v_xor_b32_e32 v6, s3, v8
	;; [unrolled: 1-line block ×4, first 2 shown]
	v_sub_co_u32_e64 v14, s[2:3], v3, v7
	v_subb_co_u32_e64 v15, s[2:3], v5, v6, s[2:3]
	v_subrev_co_u32_e64 v3, s[2:3], s40, v10
	v_cndmask_b32_e64 v3, v10, v3, s[0:1]
	v_cndmask_b32_e32 v3, v4, v3, vcc
	v_xor_b32_e32 v3, v3, v8
	v_sub_co_u32_e32 v4, vcc, v3, v8
.LBB61_5:                               ;   in Loop: Header=BB61_3 Depth=1
	s_andn2_saveexec_b64 s[2:3], s[38:39]
	s_cbranch_execz .LBB61_7
; %bb.6:                                ;   in Loop: Header=BB61_3 Depth=1
	s_sub_i32 s0, 0, s47
	v_mul_lo_u32 v3, s0, v22
	v_mul_hi_u32 v3, v22, v3
	v_add_u32_e32 v3, v22, v3
	v_mul_hi_u32 v3, v0, v3
	v_mul_lo_u32 v4, v3, s47
	v_sub_u32_e32 v4, v0, v4
	v_subrev_u32_e32 v5, s47, v4
	v_cmp_le_u32_e32 vcc, s47, v4
	v_cndmask_b32_e32 v4, v4, v5, vcc
	v_subrev_u32_e32 v5, s47, v4
	v_cmp_le_u32_e64 s[0:1], s47, v4
	v_cndmask_b32_e64 v4, v4, v5, s[0:1]
	v_add_u32_e32 v5, 1, v3
	v_cndmask_b32_e32 v3, v3, v5, vcc
	v_add_u32_e32 v5, 1, v3
	v_cndmask_b32_e64 v14, v3, v5, s[0:1]
	v_mov_b32_e32 v15, v2
.LBB61_7:                               ;   in Loop: Header=BB61_3 Depth=1
	s_or_b64 exec, exec, s[2:3]
	v_or_b32_e32 v3, s48, v15
	v_cmp_ne_u64_e32 vcc, 0, v[2:3]
                                        ; implicit-def: $vgpr6_vgpr7
	s_and_saveexec_b64 s[0:1], vcc
	s_xor_b64 s[2:3], exec, s[0:1]
	s_cbranch_execz .LBB61_9
; %bb.8:                                ;   in Loop: Header=BB61_3 Depth=1
	s_add_u32 s38, s12, s48
	s_mov_b32 s0, s48
	s_mov_b32 s1, s48
	s_addc_u32 s39, s48, s48
	s_xor_b64 s[38:39], s[38:39], s[0:1]
	v_cvt_f32_u32_e32 v5, s38
	v_cvt_f32_u32_e32 v6, s39
	s_sub_u32 s0, 0, s38
	s_subb_u32 s1, 0, s39
	v_mac_f32_e32 v5, 0x4f800000, v6
	v_rcp_f32_e32 v5, v5
	v_mul_f32_e32 v5, 0x5f7ffffc, v5
	v_mul_f32_e32 v6, 0x2f800000, v5
	v_trunc_f32_e32 v6, v6
	v_mac_f32_e32 v5, 0xcf800000, v6
	v_cvt_u32_f32_e32 v6, v6
	v_cvt_u32_f32_e32 v5, v5
	v_mul_lo_u32 v7, s0, v6
	v_mul_hi_u32 v9, s0, v5
	v_mul_lo_u32 v8, s1, v5
	v_add_u32_e32 v7, v9, v7
	v_mul_lo_u32 v10, s0, v5
	v_add_u32_e32 v7, v7, v8
	v_mul_lo_u32 v9, v5, v7
	v_mul_hi_u32 v11, v5, v10
	v_mul_hi_u32 v8, v5, v7
	v_add_co_u32_e32 v9, vcc, v11, v9
	v_addc_co_u32_e32 v8, vcc, 0, v8, vcc
	v_mul_hi_u32 v12, v6, v10
	v_mul_lo_u32 v10, v6, v10
	v_add_co_u32_e32 v9, vcc, v9, v10
	v_mul_hi_u32 v11, v6, v7
	v_addc_co_u32_e32 v8, vcc, v8, v12, vcc
	v_addc_co_u32_e32 v9, vcc, 0, v11, vcc
	v_mul_lo_u32 v7, v6, v7
	v_add_co_u32_e32 v7, vcc, v8, v7
	v_addc_co_u32_e32 v8, vcc, 0, v9, vcc
	v_add_co_u32_e32 v5, vcc, v5, v7
	v_addc_co_u32_e32 v6, vcc, v6, v8, vcc
	v_mul_lo_u32 v7, s0, v6
	v_mul_hi_u32 v8, s0, v5
	v_add_u32_e32 v7, v8, v7
	v_mul_lo_u32 v8, s1, v5
	v_add_u32_e32 v7, v7, v8
	v_mul_lo_u32 v9, s0, v5
	v_mul_hi_u32 v10, v6, v9
	v_mul_lo_u32 v11, v6, v9
	v_mul_lo_u32 v13, v5, v7
	v_mul_hi_u32 v9, v5, v9
	v_mul_hi_u32 v12, v5, v7
	v_add_co_u32_e32 v9, vcc, v9, v13
	v_addc_co_u32_e32 v12, vcc, 0, v12, vcc
	v_add_co_u32_e32 v9, vcc, v9, v11
	v_mul_hi_u32 v8, v6, v7
	v_addc_co_u32_e32 v9, vcc, v12, v10, vcc
	v_addc_co_u32_e32 v8, vcc, 0, v8, vcc
	v_mul_lo_u32 v7, v6, v7
	v_add_co_u32_e32 v7, vcc, v9, v7
	v_addc_co_u32_e32 v8, vcc, 0, v8, vcc
	v_add_co_u32_e32 v5, vcc, v5, v7
	v_addc_co_u32_e32 v8, vcc, v6, v8, vcc
	v_ashrrev_i32_e32 v10, 31, v15
	v_add_co_u32_e32 v6, vcc, v14, v10
	v_addc_co_u32_e32 v7, vcc, v15, v10, vcc
	v_xor_b32_e32 v12, v6, v10
	v_xor_b32_e32 v11, v7, v10
	v_mad_u64_u32 v[6:7], s[0:1], v12, v8, 0
	v_mul_hi_u32 v9, v12, v5
	v_add_co_u32_e32 v13, vcc, v9, v6
	v_addc_co_u32_e32 v16, vcc, 0, v7, vcc
	v_mad_u64_u32 v[6:7], s[0:1], v11, v8, 0
	v_mad_u64_u32 v[8:9], s[0:1], v11, v5, 0
	v_add_co_u32_e32 v5, vcc, v13, v8
	v_addc_co_u32_e32 v5, vcc, v16, v9, vcc
	v_addc_co_u32_e32 v7, vcc, 0, v7, vcc
	v_add_co_u32_e32 v5, vcc, v5, v6
	v_addc_co_u32_e32 v6, vcc, 0, v7, vcc
	v_mul_lo_u32 v8, s39, v5
	v_mul_lo_u32 v9, s38, v6
	v_mad_u64_u32 v[6:7], s[0:1], s38, v5, 0
	v_add3_u32 v5, v7, v9, v8
	v_sub_u32_e32 v7, v11, v5
	v_mov_b32_e32 v8, s39
	v_sub_co_u32_e32 v6, vcc, v12, v6
	v_subb_co_u32_e64 v7, s[0:1], v7, v8, vcc
	v_subrev_co_u32_e64 v8, s[0:1], s38, v6
	v_subbrev_co_u32_e64 v7, s[0:1], 0, v7, s[0:1]
	v_cmp_le_u32_e64 s[0:1], s39, v7
	v_subb_co_u32_e32 v5, vcc, v11, v5, vcc
	v_cndmask_b32_e64 v9, 0, -1, s[0:1]
	v_cmp_le_u32_e64 s[0:1], s38, v8
	v_cmp_le_u32_e32 vcc, s39, v5
	v_cndmask_b32_e64 v12, 0, -1, s[0:1]
	v_cmp_eq_u32_e64 s[0:1], s39, v7
	v_cndmask_b32_e64 v11, 0, -1, vcc
	v_cmp_le_u32_e32 vcc, s38, v6
	v_cndmask_b32_e64 v7, v9, v12, s[0:1]
	v_cndmask_b32_e64 v12, 0, -1, vcc
	v_cmp_eq_u32_e32 vcc, s39, v5
	v_subrev_co_u32_e64 v9, s[0:1], s38, v8
	v_cndmask_b32_e32 v5, v11, v12, vcc
	v_cmp_ne_u32_e32 vcc, 0, v7
	v_cndmask_b32_e32 v7, v8, v9, vcc
	v_cmp_ne_u32_e32 vcc, 0, v5
	v_cndmask_b32_e32 v5, v6, v7, vcc
	v_xor_b32_e32 v5, v5, v10
	v_sub_co_u32_e32 v6, vcc, v5, v10
.LBB61_9:                               ;   in Loop: Header=BB61_3 Depth=1
	s_andn2_saveexec_b64 s[0:1], s[2:3]
	s_cbranch_execz .LBB61_11
; %bb.10:                               ;   in Loop: Header=BB61_3 Depth=1
	v_cvt_f32_u32_e32 v5, s12
	s_sub_i32 s2, 0, s12
	v_rcp_iflag_f32_e32 v5, v5
	v_mul_f32_e32 v5, 0x4f7ffffe, v5
	v_cvt_u32_f32_e32 v5, v5
	v_mul_lo_u32 v6, s2, v5
	v_mul_hi_u32 v6, v5, v6
	v_add_u32_e32 v5, v5, v6
	v_mul_hi_u32 v5, v14, v5
	v_mul_lo_u32 v5, v5, s12
	v_sub_u32_e32 v5, v14, v5
	v_subrev_u32_e32 v6, s12, v5
	v_cmp_le_u32_e32 vcc, s12, v5
	v_cndmask_b32_e32 v5, v5, v6, vcc
	v_subrev_u32_e32 v6, s12, v5
	v_cmp_le_u32_e32 vcc, s12, v5
	v_cndmask_b32_e32 v6, v5, v6, vcc
.LBB61_11:                              ;   in Loop: Header=BB61_3 Depth=1
	s_or_b64 exec, exec, s[0:1]
	v_mul_lo_u32 v8, s17, v4
	v_mad_u64_u32 v[10:11], s[0:1], s16, v6, v[8:9]
	v_mul_lo_u32 v8, s19, v4
	s_andn2_b64 vcc, exec, s[14:15]
	v_mad_u64_u32 v[8:9], s[0:1], s18, v6, v[8:9]
	s_cbranch_vccnz .LBB61_41
; %bb.12:                               ;   in Loop: Header=BB61_3 Depth=1
	v_cmp_ne_u64_e32 vcc, 0, v[2:3]
                                        ; implicit-def: $vgpr12_vgpr13
	s_and_saveexec_b64 s[0:1], vcc
	s_xor_b64 s[2:3], exec, s[0:1]
	s_cbranch_execz .LBB61_14
; %bb.13:                               ;   in Loop: Header=BB61_3 Depth=1
	s_add_u32 s0, s12, s48
	s_mov_b32 s38, s48
	s_mov_b32 s39, s48
	s_addc_u32 s1, s48, s48
	s_xor_b64 s[40:41], s[0:1], s[38:39]
	v_cvt_f32_u32_e32 v3, s40
	v_cvt_f32_u32_e32 v5, s41
	s_sub_u32 s0, 0, s40
	s_subb_u32 s1, 0, s41
	v_mac_f32_e32 v3, 0x4f800000, v5
	v_rcp_f32_e32 v3, v3
	v_mul_f32_e32 v3, 0x5f7ffffc, v3
	v_mul_f32_e32 v5, 0x2f800000, v3
	v_trunc_f32_e32 v5, v5
	v_mac_f32_e32 v3, 0xcf800000, v5
	v_cvt_u32_f32_e32 v5, v5
	v_cvt_u32_f32_e32 v3, v3
	v_mul_lo_u32 v7, s0, v5
	v_mul_hi_u32 v11, s0, v3
	v_mul_lo_u32 v9, s1, v3
	v_add_u32_e32 v7, v11, v7
	v_mul_lo_u32 v12, s0, v3
	v_add_u32_e32 v7, v7, v9
	v_mul_lo_u32 v11, v3, v7
	v_mul_hi_u32 v13, v3, v12
	v_mul_hi_u32 v9, v3, v7
	v_add_co_u32_e32 v11, vcc, v13, v11
	v_addc_co_u32_e32 v9, vcc, 0, v9, vcc
	v_mul_hi_u32 v16, v5, v12
	v_mul_lo_u32 v12, v5, v12
	v_add_co_u32_e32 v11, vcc, v11, v12
	v_mul_hi_u32 v13, v5, v7
	v_addc_co_u32_e32 v9, vcc, v9, v16, vcc
	v_addc_co_u32_e32 v11, vcc, 0, v13, vcc
	v_mul_lo_u32 v7, v5, v7
	v_add_co_u32_e32 v7, vcc, v9, v7
	v_addc_co_u32_e32 v9, vcc, 0, v11, vcc
	v_add_co_u32_e32 v3, vcc, v3, v7
	v_addc_co_u32_e32 v5, vcc, v5, v9, vcc
	v_mul_lo_u32 v7, s0, v5
	v_mul_hi_u32 v9, s0, v3
	v_add_u32_e32 v7, v9, v7
	v_mul_lo_u32 v9, s1, v3
	v_add_u32_e32 v7, v7, v9
	v_mul_lo_u32 v11, s0, v3
	v_mul_hi_u32 v12, v5, v11
	v_mul_lo_u32 v13, v5, v11
	v_mul_lo_u32 v17, v3, v7
	v_mul_hi_u32 v11, v3, v11
	v_mul_hi_u32 v16, v3, v7
	v_add_co_u32_e32 v11, vcc, v11, v17
	v_addc_co_u32_e32 v16, vcc, 0, v16, vcc
	v_add_co_u32_e32 v11, vcc, v11, v13
	v_mul_hi_u32 v9, v5, v7
	v_addc_co_u32_e32 v11, vcc, v16, v12, vcc
	v_addc_co_u32_e32 v9, vcc, 0, v9, vcc
	v_mul_lo_u32 v7, v5, v7
	v_add_co_u32_e32 v7, vcc, v11, v7
	v_addc_co_u32_e32 v9, vcc, 0, v9, vcc
	v_add_co_u32_e32 v3, vcc, v3, v7
	v_addc_co_u32_e32 v5, vcc, v5, v9, vcc
	v_ashrrev_i32_e32 v7, 31, v15
	v_add_co_u32_e32 v9, vcc, v14, v7
	v_xor_b32_e32 v9, v9, v7
	v_addc_co_u32_e32 v11, vcc, v15, v7, vcc
	v_mad_u64_u32 v[12:13], s[0:1], v9, v5, 0
	v_mul_hi_u32 v14, v9, v3
	v_xor_b32_e32 v11, v11, v7
	v_add_co_u32_e32 v16, vcc, v14, v12
	v_addc_co_u32_e32 v17, vcc, 0, v13, vcc
	v_mad_u64_u32 v[14:15], s[0:1], v11, v3, 0
	v_add_co_u32_e32 v3, vcc, v16, v14
	v_mad_u64_u32 v[12:13], s[0:1], v11, v5, 0
	v_addc_co_u32_e32 v3, vcc, v17, v15, vcc
	v_addc_co_u32_e32 v5, vcc, 0, v13, vcc
	v_add_co_u32_e32 v3, vcc, v3, v12
	v_addc_co_u32_e32 v5, vcc, 0, v5, vcc
	v_mul_lo_u32 v14, s41, v3
	v_mul_lo_u32 v15, s40, v5
	v_mad_u64_u32 v[12:13], s[0:1], s40, v3, 0
	v_add3_u32 v13, v13, v15, v14
	v_sub_u32_e32 v14, v11, v13
	v_mov_b32_e32 v15, s41
	v_sub_co_u32_e32 v9, vcc, v9, v12
	v_subb_co_u32_e64 v12, s[0:1], v14, v15, vcc
	v_subrev_co_u32_e64 v14, s[0:1], s40, v9
	v_subbrev_co_u32_e64 v12, s[0:1], 0, v12, s[0:1]
	v_cmp_le_u32_e64 s[0:1], s41, v12
	v_cndmask_b32_e64 v15, 0, -1, s[0:1]
	v_cmp_le_u32_e64 s[0:1], s40, v14
	v_cndmask_b32_e64 v14, 0, -1, s[0:1]
	v_cmp_eq_u32_e64 s[0:1], s41, v12
	v_cndmask_b32_e64 v12, v15, v14, s[0:1]
	v_add_co_u32_e64 v14, s[0:1], 2, v3
	v_subb_co_u32_e32 v11, vcc, v11, v13, vcc
	v_addc_co_u32_e64 v15, s[0:1], 0, v5, s[0:1]
	v_cmp_le_u32_e32 vcc, s41, v11
	v_add_co_u32_e64 v16, s[0:1], 1, v3
	v_cndmask_b32_e64 v13, 0, -1, vcc
	v_cmp_le_u32_e32 vcc, s40, v9
	v_addc_co_u32_e64 v17, s[0:1], 0, v5, s[0:1]
	v_cndmask_b32_e64 v9, 0, -1, vcc
	v_cmp_eq_u32_e32 vcc, s41, v11
	v_cmp_ne_u32_e64 s[0:1], 0, v12
	v_cndmask_b32_e32 v9, v13, v9, vcc
	v_cmp_ne_u32_e32 vcc, 0, v9
	v_cndmask_b32_e64 v9, v16, v14, s[0:1]
	v_cndmask_b32_e64 v12, v17, v15, s[0:1]
	v_cndmask_b32_e32 v3, v3, v9, vcc
	v_xor_b32_e32 v9, s39, v7
	v_xor_b32_e32 v7, s38, v7
	v_cndmask_b32_e32 v5, v5, v12, vcc
	v_xor_b32_e32 v3, v3, v7
	v_xor_b32_e32 v5, v5, v9
	v_sub_co_u32_e32 v12, vcc, v3, v7
	v_subb_co_u32_e32 v13, vcc, v5, v9, vcc
                                        ; implicit-def: $vgpr14_vgpr15
.LBB61_14:                              ;   in Loop: Header=BB61_3 Depth=1
	s_andn2_saveexec_b64 s[0:1], s[2:3]
	s_cbranch_execz .LBB61_16
; %bb.15:                               ;   in Loop: Header=BB61_3 Depth=1
	v_cvt_f32_u32_e32 v3, s12
	s_sub_i32 s2, 0, s12
	v_mov_b32_e32 v13, v2
	v_rcp_iflag_f32_e32 v3, v3
	v_mul_f32_e32 v3, 0x4f7ffffe, v3
	v_cvt_u32_f32_e32 v3, v3
	v_mul_lo_u32 v5, s2, v3
	v_mul_hi_u32 v5, v3, v5
	v_add_u32_e32 v3, v3, v5
	v_mul_hi_u32 v3, v14, v3
	v_mul_lo_u32 v5, v3, s12
	v_sub_u32_e32 v5, v14, v5
	v_add_u32_e32 v7, 1, v3
	v_subrev_u32_e32 v9, s12, v5
	v_cmp_le_u32_e32 vcc, s12, v5
	v_cndmask_b32_e32 v5, v5, v9, vcc
	v_cndmask_b32_e32 v3, v3, v7, vcc
	v_add_u32_e32 v7, 1, v3
	v_cmp_le_u32_e32 vcc, s12, v5
	v_cndmask_b32_e32 v12, v3, v7, vcc
.LBB61_16:                              ;   in Loop: Header=BB61_3 Depth=1
	s_or_b64 exec, exec, s[0:1]
	s_andn2_b64 vcc, exec, s[26:27]
	s_mov_b32 s56, 1
	s_mov_b32 s20, s52
	s_cbranch_vccz .LBB61_37
.LBB61_17:                              ;   in Loop: Header=BB61_3 Depth=1
	s_and_b64 vcc, exec, s[28:29]
	s_cbranch_vccz .LBB61_41
.LBB61_18:                              ;   Parent Loop BB61_3 Depth=1
                                        ; =>  This Inner Loop Header: Depth=2
	s_lshl_b64 s[2:3], s[20:21], 2
	s_add_u32 s38, s33, s2
	s_addc_u32 s39, s46, s3
	s_load_dword s56, s[38:39], 0x8
                                        ; implicit-def: $vgpr14_vgpr15
	s_waitcnt lgkmcnt(0)
	s_ashr_i32 s0, s56, 31
	v_or_b32_e32 v3, s0, v13
	v_cmp_ne_u64_e32 vcc, 0, v[2:3]
	s_and_saveexec_b64 s[40:41], vcc
	s_xor_b64 s[40:41], exec, s[40:41]
	s_cbranch_execz .LBB61_20
; %bb.19:                               ;   in Loop: Header=BB61_18 Depth=2
	s_add_u32 s44, s56, s0
	s_mov_b32 s42, s0
	s_mov_b32 s43, s0
	s_addc_u32 s45, s0, s0
	s_xor_b64 s[44:45], s[44:45], s[42:43]
	v_cvt_f32_u32_e32 v3, s44
	v_cvt_f32_u32_e32 v5, s45
	s_sub_u32 s0, 0, s44
	s_subb_u32 s1, 0, s45
	v_mac_f32_e32 v3, 0x4f800000, v5
	v_rcp_f32_e32 v3, v3
	v_mul_f32_e32 v3, 0x5f7ffffc, v3
	v_mul_f32_e32 v5, 0x2f800000, v3
	v_trunc_f32_e32 v5, v5
	v_mac_f32_e32 v3, 0xcf800000, v5
	v_cvt_u32_f32_e32 v5, v5
	v_cvt_u32_f32_e32 v3, v3
	v_mul_lo_u32 v7, s0, v5
	v_mul_hi_u32 v11, s0, v3
	v_mul_lo_u32 v9, s1, v3
	v_add_u32_e32 v7, v11, v7
	v_mul_lo_u32 v14, s0, v3
	v_add_u32_e32 v7, v7, v9
	v_mul_lo_u32 v11, v3, v7
	v_mul_hi_u32 v15, v3, v14
	v_mul_hi_u32 v9, v3, v7
	v_add_co_u32_e32 v11, vcc, v15, v11
	v_addc_co_u32_e32 v9, vcc, 0, v9, vcc
	v_mul_hi_u32 v16, v5, v14
	v_mul_lo_u32 v14, v5, v14
	v_add_co_u32_e32 v11, vcc, v11, v14
	v_mul_hi_u32 v15, v5, v7
	v_addc_co_u32_e32 v9, vcc, v9, v16, vcc
	v_addc_co_u32_e32 v11, vcc, 0, v15, vcc
	v_mul_lo_u32 v7, v5, v7
	v_add_co_u32_e32 v7, vcc, v9, v7
	v_addc_co_u32_e32 v9, vcc, 0, v11, vcc
	v_add_co_u32_e32 v3, vcc, v3, v7
	v_addc_co_u32_e32 v5, vcc, v5, v9, vcc
	v_mul_lo_u32 v7, s0, v5
	v_mul_hi_u32 v9, s0, v3
	v_add_u32_e32 v7, v9, v7
	v_mul_lo_u32 v9, s1, v3
	v_add_u32_e32 v7, v7, v9
	v_mul_lo_u32 v11, s0, v3
	v_mul_hi_u32 v14, v5, v11
	v_mul_lo_u32 v15, v5, v11
	v_mul_lo_u32 v17, v3, v7
	v_mul_hi_u32 v11, v3, v11
	v_mul_hi_u32 v16, v3, v7
	v_add_co_u32_e32 v11, vcc, v11, v17
	v_addc_co_u32_e32 v16, vcc, 0, v16, vcc
	v_add_co_u32_e32 v11, vcc, v11, v15
	v_mul_hi_u32 v9, v5, v7
	v_addc_co_u32_e32 v11, vcc, v16, v14, vcc
	v_addc_co_u32_e32 v9, vcc, 0, v9, vcc
	v_mul_lo_u32 v7, v5, v7
	v_add_co_u32_e32 v7, vcc, v11, v7
	v_addc_co_u32_e32 v9, vcc, 0, v9, vcc
	v_add_co_u32_e32 v3, vcc, v3, v7
	v_addc_co_u32_e32 v5, vcc, v5, v9, vcc
	v_ashrrev_i32_e32 v7, 31, v13
	v_add_co_u32_e32 v9, vcc, v12, v7
	v_xor_b32_e32 v9, v9, v7
	v_addc_co_u32_e32 v11, vcc, v13, v7, vcc
	v_mad_u64_u32 v[14:15], s[0:1], v9, v5, 0
	v_mul_hi_u32 v13, v9, v3
	v_xor_b32_e32 v11, v11, v7
	v_add_co_u32_e32 v13, vcc, v13, v14
	v_addc_co_u32_e32 v18, vcc, 0, v15, vcc
	v_mad_u64_u32 v[16:17], s[0:1], v11, v3, 0
	v_add_co_u32_e32 v3, vcc, v13, v16
	v_mad_u64_u32 v[14:15], s[0:1], v11, v5, 0
	v_addc_co_u32_e32 v3, vcc, v18, v17, vcc
	v_addc_co_u32_e32 v5, vcc, 0, v15, vcc
	v_add_co_u32_e32 v3, vcc, v3, v14
	v_addc_co_u32_e32 v5, vcc, 0, v5, vcc
	v_mul_lo_u32 v13, s45, v3
	v_mul_lo_u32 v16, s44, v5
	v_mad_u64_u32 v[14:15], s[0:1], s44, v3, 0
	v_add3_u32 v13, v15, v16, v13
	v_sub_u32_e32 v15, v11, v13
	v_mov_b32_e32 v16, s45
	v_sub_co_u32_e32 v9, vcc, v9, v14
	v_subb_co_u32_e64 v14, s[0:1], v15, v16, vcc
	v_subrev_co_u32_e64 v15, s[0:1], s44, v9
	v_subbrev_co_u32_e64 v14, s[0:1], 0, v14, s[0:1]
	v_cmp_le_u32_e64 s[0:1], s45, v14
	v_cndmask_b32_e64 v16, 0, -1, s[0:1]
	v_cmp_le_u32_e64 s[0:1], s44, v15
	v_cndmask_b32_e64 v15, 0, -1, s[0:1]
	v_cmp_eq_u32_e64 s[0:1], s45, v14
	v_cndmask_b32_e64 v14, v16, v15, s[0:1]
	v_add_co_u32_e64 v15, s[0:1], 2, v3
	v_subb_co_u32_e32 v11, vcc, v11, v13, vcc
	v_addc_co_u32_e64 v16, s[0:1], 0, v5, s[0:1]
	v_cmp_le_u32_e32 vcc, s45, v11
	v_add_co_u32_e64 v17, s[0:1], 1, v3
	v_cndmask_b32_e64 v13, 0, -1, vcc
	v_cmp_le_u32_e32 vcc, s44, v9
	v_addc_co_u32_e64 v18, s[0:1], 0, v5, s[0:1]
	v_cndmask_b32_e64 v9, 0, -1, vcc
	v_cmp_eq_u32_e32 vcc, s45, v11
	v_cmp_ne_u32_e64 s[0:1], 0, v14
	v_cndmask_b32_e32 v9, v13, v9, vcc
	v_cmp_ne_u32_e32 vcc, 0, v9
	v_cndmask_b32_e64 v9, v17, v15, s[0:1]
	v_cndmask_b32_e64 v14, v18, v16, s[0:1]
	v_cndmask_b32_e32 v3, v3, v9, vcc
	v_xor_b32_e32 v9, s43, v7
	v_xor_b32_e32 v7, s42, v7
	v_cndmask_b32_e32 v5, v5, v14, vcc
	v_xor_b32_e32 v3, v3, v7
	v_xor_b32_e32 v5, v5, v9
	v_sub_co_u32_e32 v14, vcc, v3, v7
	v_subb_co_u32_e32 v15, vcc, v5, v9, vcc
.LBB61_20:                              ;   in Loop: Header=BB61_18 Depth=2
	s_andn2_saveexec_b64 s[0:1], s[40:41]
	s_cbranch_execz .LBB61_22
; %bb.21:                               ;   in Loop: Header=BB61_18 Depth=2
	v_cvt_f32_u32_e32 v3, s56
	s_sub_i32 s40, 0, s56
	v_mov_b32_e32 v15, v2
	v_rcp_iflag_f32_e32 v3, v3
	v_mul_f32_e32 v3, 0x4f7ffffe, v3
	v_cvt_u32_f32_e32 v3, v3
	v_mul_lo_u32 v5, s40, v3
	v_mul_hi_u32 v5, v3, v5
	v_add_u32_e32 v3, v3, v5
	v_mul_hi_u32 v3, v12, v3
	v_mul_lo_u32 v5, v3, s56
	v_sub_u32_e32 v5, v12, v5
	v_add_u32_e32 v7, 1, v3
	v_subrev_u32_e32 v9, s56, v5
	v_cmp_le_u32_e32 vcc, s56, v5
	v_cndmask_b32_e32 v5, v5, v9, vcc
	v_cndmask_b32_e32 v3, v3, v7, vcc
	v_add_u32_e32 v7, 1, v3
	v_cmp_le_u32_e32 vcc, s56, v5
	v_cndmask_b32_e32 v14, v3, v7, vcc
.LBB61_22:                              ;   in Loop: Header=BB61_18 Depth=2
	s_or_b64 exec, exec, s[0:1]
	s_add_u32 s0, s50, s2
	s_addc_u32 s1, s51, s3
	s_add_i32 s2, s20, -1
	s_mov_b32 s3, s21
	s_lshl_b64 s[40:41], s[2:3], 2
	s_add_u32 s2, s33, s40
	s_addc_u32 s3, s46, s41
	s_load_dword s57, s[2:3], 0x8
	s_load_dword s58, s[38:39], 0x6c
	;; [unrolled: 1-line block ×3, first 2 shown]
                                        ; implicit-def: $vgpr16_vgpr17
	s_waitcnt lgkmcnt(0)
	s_ashr_i32 s0, s57, 31
	v_or_b32_e32 v3, s0, v15
	v_cmp_ne_u64_e32 vcc, 0, v[2:3]
	s_and_saveexec_b64 s[38:39], vcc
	s_xor_b64 s[38:39], exec, s[38:39]
	s_cbranch_execz .LBB61_24
; %bb.23:                               ;   in Loop: Header=BB61_18 Depth=2
	s_add_u32 s44, s57, s0
	s_mov_b32 s42, s0
	s_mov_b32 s43, s0
	s_addc_u32 s45, s0, s0
	s_xor_b64 s[44:45], s[44:45], s[42:43]
	v_cvt_f32_u32_e32 v3, s44
	v_cvt_f32_u32_e32 v5, s45
	s_sub_u32 s0, 0, s44
	s_subb_u32 s1, 0, s45
	v_mac_f32_e32 v3, 0x4f800000, v5
	v_rcp_f32_e32 v3, v3
	v_mul_f32_e32 v3, 0x5f7ffffc, v3
	v_mul_f32_e32 v5, 0x2f800000, v3
	v_trunc_f32_e32 v5, v5
	v_mac_f32_e32 v3, 0xcf800000, v5
	v_cvt_u32_f32_e32 v5, v5
	v_cvt_u32_f32_e32 v3, v3
	v_mul_lo_u32 v7, s0, v5
	v_mul_hi_u32 v11, s0, v3
	v_mul_lo_u32 v9, s1, v3
	v_add_u32_e32 v7, v11, v7
	v_mul_lo_u32 v13, s0, v3
	v_add_u32_e32 v7, v7, v9
	v_mul_lo_u32 v11, v3, v7
	v_mul_hi_u32 v16, v3, v13
	v_mul_hi_u32 v9, v3, v7
	v_add_co_u32_e32 v11, vcc, v16, v11
	v_addc_co_u32_e32 v9, vcc, 0, v9, vcc
	v_mul_hi_u32 v17, v5, v13
	v_mul_lo_u32 v13, v5, v13
	v_add_co_u32_e32 v11, vcc, v11, v13
	v_mul_hi_u32 v16, v5, v7
	v_addc_co_u32_e32 v9, vcc, v9, v17, vcc
	v_addc_co_u32_e32 v11, vcc, 0, v16, vcc
	v_mul_lo_u32 v7, v5, v7
	v_add_co_u32_e32 v7, vcc, v9, v7
	v_addc_co_u32_e32 v9, vcc, 0, v11, vcc
	v_add_co_u32_e32 v3, vcc, v3, v7
	v_addc_co_u32_e32 v5, vcc, v5, v9, vcc
	v_mul_lo_u32 v7, s0, v5
	v_mul_hi_u32 v9, s0, v3
	v_add_u32_e32 v7, v9, v7
	v_mul_lo_u32 v9, s1, v3
	v_add_u32_e32 v7, v7, v9
	v_mul_lo_u32 v11, s0, v3
	v_mul_hi_u32 v13, v5, v11
	v_mul_lo_u32 v16, v5, v11
	v_mul_lo_u32 v18, v3, v7
	v_mul_hi_u32 v11, v3, v11
	v_mul_hi_u32 v17, v3, v7
	v_add_co_u32_e32 v11, vcc, v11, v18
	v_addc_co_u32_e32 v17, vcc, 0, v17, vcc
	v_add_co_u32_e32 v11, vcc, v11, v16
	v_mul_hi_u32 v9, v5, v7
	v_addc_co_u32_e32 v11, vcc, v17, v13, vcc
	v_addc_co_u32_e32 v9, vcc, 0, v9, vcc
	v_mul_lo_u32 v7, v5, v7
	v_add_co_u32_e32 v7, vcc, v11, v7
	v_addc_co_u32_e32 v9, vcc, 0, v9, vcc
	v_add_co_u32_e32 v3, vcc, v3, v7
	v_addc_co_u32_e32 v5, vcc, v5, v9, vcc
	v_ashrrev_i32_e32 v7, 31, v15
	v_add_co_u32_e32 v9, vcc, v14, v7
	v_xor_b32_e32 v9, v9, v7
	v_addc_co_u32_e32 v11, vcc, v15, v7, vcc
	v_mad_u64_u32 v[16:17], s[0:1], v9, v5, 0
	v_mul_hi_u32 v13, v9, v3
	v_xor_b32_e32 v11, v11, v7
	v_add_co_u32_e32 v13, vcc, v13, v16
	v_addc_co_u32_e32 v15, vcc, 0, v17, vcc
	v_mad_u64_u32 v[18:19], s[0:1], v11, v3, 0
	v_add_co_u32_e32 v3, vcc, v13, v18
	v_mad_u64_u32 v[16:17], s[0:1], v11, v5, 0
	v_addc_co_u32_e32 v3, vcc, v15, v19, vcc
	v_addc_co_u32_e32 v5, vcc, 0, v17, vcc
	v_add_co_u32_e32 v3, vcc, v3, v16
	v_addc_co_u32_e32 v5, vcc, 0, v5, vcc
	v_mul_lo_u32 v13, s45, v3
	v_mul_lo_u32 v15, s44, v5
	v_mad_u64_u32 v[16:17], s[0:1], s44, v3, 0
	v_add3_u32 v13, v17, v15, v13
	v_sub_u32_e32 v15, v11, v13
	v_mov_b32_e32 v17, s45
	v_sub_co_u32_e32 v9, vcc, v9, v16
	v_subb_co_u32_e64 v15, s[0:1], v15, v17, vcc
	v_subrev_co_u32_e64 v16, s[0:1], s44, v9
	v_subbrev_co_u32_e64 v15, s[0:1], 0, v15, s[0:1]
	v_cmp_le_u32_e64 s[0:1], s45, v15
	v_cndmask_b32_e64 v17, 0, -1, s[0:1]
	v_cmp_le_u32_e64 s[0:1], s44, v16
	v_cndmask_b32_e64 v16, 0, -1, s[0:1]
	v_cmp_eq_u32_e64 s[0:1], s45, v15
	v_cndmask_b32_e64 v15, v17, v16, s[0:1]
	v_add_co_u32_e64 v16, s[0:1], 2, v3
	v_subb_co_u32_e32 v11, vcc, v11, v13, vcc
	v_addc_co_u32_e64 v17, s[0:1], 0, v5, s[0:1]
	v_cmp_le_u32_e32 vcc, s45, v11
	v_add_co_u32_e64 v18, s[0:1], 1, v3
	v_cndmask_b32_e64 v13, 0, -1, vcc
	v_cmp_le_u32_e32 vcc, s44, v9
	v_addc_co_u32_e64 v19, s[0:1], 0, v5, s[0:1]
	v_cndmask_b32_e64 v9, 0, -1, vcc
	v_cmp_eq_u32_e32 vcc, s45, v11
	v_cmp_ne_u32_e64 s[0:1], 0, v15
	v_cndmask_b32_e32 v9, v13, v9, vcc
	v_cmp_ne_u32_e32 vcc, 0, v9
	v_cndmask_b32_e64 v9, v18, v16, s[0:1]
	v_cndmask_b32_e64 v15, v19, v17, s[0:1]
	v_cndmask_b32_e32 v3, v3, v9, vcc
	v_xor_b32_e32 v9, s43, v7
	v_xor_b32_e32 v7, s42, v7
	v_cndmask_b32_e32 v5, v5, v15, vcc
	v_xor_b32_e32 v3, v3, v7
	v_xor_b32_e32 v5, v5, v9
	v_sub_co_u32_e32 v16, vcc, v3, v7
	v_subb_co_u32_e32 v17, vcc, v5, v9, vcc
.LBB61_24:                              ;   in Loop: Header=BB61_18 Depth=2
	s_andn2_saveexec_b64 s[0:1], s[38:39]
	s_cbranch_execz .LBB61_26
; %bb.25:                               ;   in Loop: Header=BB61_18 Depth=2
	v_cvt_f32_u32_e32 v3, s57
	s_sub_i32 s38, 0, s57
	v_mov_b32_e32 v17, v2
	v_rcp_iflag_f32_e32 v3, v3
	v_mul_f32_e32 v3, 0x4f7ffffe, v3
	v_cvt_u32_f32_e32 v3, v3
	v_mul_lo_u32 v5, s38, v3
	v_mul_hi_u32 v5, v3, v5
	v_add_u32_e32 v3, v3, v5
	v_mul_hi_u32 v3, v14, v3
	v_mul_lo_u32 v5, v3, s57
	v_sub_u32_e32 v5, v14, v5
	v_add_u32_e32 v7, 1, v3
	v_subrev_u32_e32 v9, s57, v5
	v_cmp_le_u32_e32 vcc, s57, v5
	v_cndmask_b32_e32 v5, v5, v9, vcc
	v_cndmask_b32_e32 v3, v3, v7, vcc
	v_add_u32_e32 v7, 1, v3
	v_cmp_le_u32_e32 vcc, s57, v5
	v_cndmask_b32_e32 v16, v3, v7, vcc
.LBB61_26:                              ;   in Loop: Header=BB61_18 Depth=2
	s_or_b64 exec, exec, s[0:1]
	s_add_u32 s0, s50, s40
	s_addc_u32 s1, s51, s41
	s_add_i32 s38, s20, -2
	s_mov_b32 s39, s21
	s_lshl_b64 s[38:39], s[38:39], 2
	s_add_u32 s40, s33, s38
	s_addc_u32 s41, s46, s39
	s_load_dword s60, s[40:41], 0x8
	s_load_dword s62, s[2:3], 0x6c
	;; [unrolled: 1-line block ×3, first 2 shown]
                                        ; implicit-def: $vgpr18_vgpr19
	s_waitcnt lgkmcnt(0)
	s_ashr_i32 s0, s60, 31
	v_or_b32_e32 v3, s0, v17
	v_cmp_ne_u64_e32 vcc, 0, v[2:3]
	s_and_saveexec_b64 s[2:3], vcc
	s_xor_b64 s[2:3], exec, s[2:3]
	s_cbranch_execz .LBB61_28
; %bb.27:                               ;   in Loop: Header=BB61_18 Depth=2
	s_add_u32 s44, s60, s0
	s_mov_b32 s42, s0
	s_mov_b32 s43, s0
	s_addc_u32 s45, s0, s0
	s_xor_b64 s[44:45], s[44:45], s[42:43]
	v_cvt_f32_u32_e32 v3, s44
	v_cvt_f32_u32_e32 v5, s45
	s_sub_u32 s0, 0, s44
	s_subb_u32 s1, 0, s45
	v_mac_f32_e32 v3, 0x4f800000, v5
	v_rcp_f32_e32 v3, v3
	v_mul_f32_e32 v3, 0x5f7ffffc, v3
	v_mul_f32_e32 v5, 0x2f800000, v3
	v_trunc_f32_e32 v5, v5
	v_mac_f32_e32 v3, 0xcf800000, v5
	v_cvt_u32_f32_e32 v5, v5
	v_cvt_u32_f32_e32 v3, v3
	v_mul_lo_u32 v7, s0, v5
	v_mul_hi_u32 v11, s0, v3
	v_mul_lo_u32 v9, s1, v3
	v_add_u32_e32 v7, v11, v7
	v_mul_lo_u32 v13, s0, v3
	v_add_u32_e32 v7, v7, v9
	v_mul_lo_u32 v11, v3, v7
	v_mul_hi_u32 v15, v3, v13
	v_mul_hi_u32 v9, v3, v7
	v_add_co_u32_e32 v11, vcc, v15, v11
	v_addc_co_u32_e32 v9, vcc, 0, v9, vcc
	v_mul_hi_u32 v18, v5, v13
	v_mul_lo_u32 v13, v5, v13
	v_add_co_u32_e32 v11, vcc, v11, v13
	v_mul_hi_u32 v15, v5, v7
	v_addc_co_u32_e32 v9, vcc, v9, v18, vcc
	v_addc_co_u32_e32 v11, vcc, 0, v15, vcc
	v_mul_lo_u32 v7, v5, v7
	v_add_co_u32_e32 v7, vcc, v9, v7
	v_addc_co_u32_e32 v9, vcc, 0, v11, vcc
	v_add_co_u32_e32 v3, vcc, v3, v7
	v_addc_co_u32_e32 v5, vcc, v5, v9, vcc
	v_mul_lo_u32 v7, s0, v5
	v_mul_hi_u32 v9, s0, v3
	v_add_u32_e32 v7, v9, v7
	v_mul_lo_u32 v9, s1, v3
	v_add_u32_e32 v7, v7, v9
	v_mul_lo_u32 v11, s0, v3
	v_mul_hi_u32 v13, v5, v11
	v_mul_lo_u32 v15, v5, v11
	v_mul_lo_u32 v19, v3, v7
	v_mul_hi_u32 v11, v3, v11
	v_mul_hi_u32 v18, v3, v7
	v_add_co_u32_e32 v11, vcc, v11, v19
	v_addc_co_u32_e32 v18, vcc, 0, v18, vcc
	v_add_co_u32_e32 v11, vcc, v11, v15
	v_mul_hi_u32 v9, v5, v7
	v_addc_co_u32_e32 v11, vcc, v18, v13, vcc
	v_addc_co_u32_e32 v9, vcc, 0, v9, vcc
	v_mul_lo_u32 v7, v5, v7
	v_add_co_u32_e32 v7, vcc, v11, v7
	v_addc_co_u32_e32 v9, vcc, 0, v9, vcc
	v_add_co_u32_e32 v3, vcc, v3, v7
	v_addc_co_u32_e32 v5, vcc, v5, v9, vcc
	v_ashrrev_i32_e32 v7, 31, v17
	v_add_co_u32_e32 v9, vcc, v16, v7
	v_xor_b32_e32 v9, v9, v7
	v_addc_co_u32_e32 v11, vcc, v17, v7, vcc
	v_mad_u64_u32 v[18:19], s[0:1], v9, v5, 0
	v_mul_hi_u32 v13, v9, v3
	v_xor_b32_e32 v11, v11, v7
	v_add_co_u32_e32 v13, vcc, v13, v18
	v_addc_co_u32_e32 v15, vcc, 0, v19, vcc
	v_mad_u64_u32 v[20:21], s[0:1], v11, v3, 0
	v_add_co_u32_e32 v3, vcc, v13, v20
	v_mad_u64_u32 v[18:19], s[0:1], v11, v5, 0
	v_addc_co_u32_e32 v3, vcc, v15, v21, vcc
	v_addc_co_u32_e32 v5, vcc, 0, v19, vcc
	v_add_co_u32_e32 v3, vcc, v3, v18
	v_addc_co_u32_e32 v5, vcc, 0, v5, vcc
	v_mul_lo_u32 v13, s45, v3
	v_mul_lo_u32 v15, s44, v5
	v_mad_u64_u32 v[18:19], s[0:1], s44, v3, 0
	v_add3_u32 v13, v19, v15, v13
	v_sub_u32_e32 v15, v11, v13
	v_mov_b32_e32 v17, s45
	v_sub_co_u32_e32 v9, vcc, v9, v18
	v_subb_co_u32_e64 v15, s[0:1], v15, v17, vcc
	v_subrev_co_u32_e64 v17, s[0:1], s44, v9
	v_subbrev_co_u32_e64 v15, s[0:1], 0, v15, s[0:1]
	v_cmp_le_u32_e64 s[0:1], s45, v15
	v_cndmask_b32_e64 v18, 0, -1, s[0:1]
	v_cmp_le_u32_e64 s[0:1], s44, v17
	v_cndmask_b32_e64 v17, 0, -1, s[0:1]
	v_cmp_eq_u32_e64 s[0:1], s45, v15
	v_cndmask_b32_e64 v15, v18, v17, s[0:1]
	v_add_co_u32_e64 v17, s[0:1], 2, v3
	v_subb_co_u32_e32 v11, vcc, v11, v13, vcc
	v_addc_co_u32_e64 v18, s[0:1], 0, v5, s[0:1]
	v_cmp_le_u32_e32 vcc, s45, v11
	v_add_co_u32_e64 v19, s[0:1], 1, v3
	v_cndmask_b32_e64 v13, 0, -1, vcc
	v_cmp_le_u32_e32 vcc, s44, v9
	v_addc_co_u32_e64 v20, s[0:1], 0, v5, s[0:1]
	v_cndmask_b32_e64 v9, 0, -1, vcc
	v_cmp_eq_u32_e32 vcc, s45, v11
	v_cmp_ne_u32_e64 s[0:1], 0, v15
	v_cndmask_b32_e32 v9, v13, v9, vcc
	v_cmp_ne_u32_e32 vcc, 0, v9
	v_cndmask_b32_e64 v9, v19, v17, s[0:1]
	v_cndmask_b32_e64 v15, v20, v18, s[0:1]
	v_cndmask_b32_e32 v3, v3, v9, vcc
	v_xor_b32_e32 v9, s43, v7
	v_xor_b32_e32 v7, s42, v7
	v_cndmask_b32_e32 v5, v5, v15, vcc
	v_xor_b32_e32 v3, v3, v7
	v_xor_b32_e32 v5, v5, v9
	v_sub_co_u32_e32 v18, vcc, v3, v7
	v_subb_co_u32_e32 v19, vcc, v5, v9, vcc
.LBB61_28:                              ;   in Loop: Header=BB61_18 Depth=2
	s_andn2_saveexec_b64 s[0:1], s[2:3]
	s_cbranch_execz .LBB61_30
; %bb.29:                               ;   in Loop: Header=BB61_18 Depth=2
	v_cvt_f32_u32_e32 v3, s60
	s_sub_i32 s2, 0, s60
	v_mov_b32_e32 v19, v2
	v_rcp_iflag_f32_e32 v3, v3
	v_mul_f32_e32 v3, 0x4f7ffffe, v3
	v_cvt_u32_f32_e32 v3, v3
	v_mul_lo_u32 v5, s2, v3
	v_mul_hi_u32 v5, v3, v5
	v_add_u32_e32 v3, v3, v5
	v_mul_hi_u32 v3, v16, v3
	v_mul_lo_u32 v5, v3, s60
	v_sub_u32_e32 v5, v16, v5
	v_add_u32_e32 v7, 1, v3
	v_subrev_u32_e32 v9, s60, v5
	v_cmp_le_u32_e32 vcc, s60, v5
	v_cndmask_b32_e32 v5, v5, v9, vcc
	v_cndmask_b32_e32 v3, v3, v7, vcc
	v_add_u32_e32 v7, 1, v3
	v_cmp_le_u32_e32 vcc, s60, v5
	v_cndmask_b32_e32 v18, v3, v7, vcc
.LBB61_30:                              ;   in Loop: Header=BB61_18 Depth=2
	s_or_b64 exec, exec, s[0:1]
	s_add_u32 s0, s50, s38
	s_addc_u32 s1, s51, s39
	s_add_i32 s2, s20, -3
	s_mov_b32 s3, s21
	s_lshl_b64 s[2:3], s[2:3], 2
	s_add_u32 s38, s33, s2
	s_addc_u32 s39, s46, s3
	s_load_dword s63, s[38:39], 0x8
	s_load_dword s64, s[40:41], 0x6c
	;; [unrolled: 1-line block ×3, first 2 shown]
                                        ; implicit-def: $vgpr20_vgpr21
	s_waitcnt lgkmcnt(0)
	s_ashr_i32 s0, s63, 31
	v_or_b32_e32 v3, s0, v19
	v_cmp_ne_u64_e32 vcc, 0, v[2:3]
	s_and_saveexec_b64 s[40:41], vcc
	s_xor_b64 s[40:41], exec, s[40:41]
	s_cbranch_execz .LBB61_32
; %bb.31:                               ;   in Loop: Header=BB61_18 Depth=2
	s_add_u32 s44, s63, s0
	s_mov_b32 s42, s0
	s_mov_b32 s43, s0
	s_addc_u32 s45, s0, s0
	s_xor_b64 s[44:45], s[44:45], s[42:43]
	v_cvt_f32_u32_e32 v3, s44
	v_cvt_f32_u32_e32 v5, s45
	s_sub_u32 s0, 0, s44
	s_subb_u32 s1, 0, s45
	v_mac_f32_e32 v3, 0x4f800000, v5
	v_rcp_f32_e32 v3, v3
	v_mul_f32_e32 v3, 0x5f7ffffc, v3
	v_mul_f32_e32 v5, 0x2f800000, v3
	v_trunc_f32_e32 v5, v5
	v_mac_f32_e32 v3, 0xcf800000, v5
	v_cvt_u32_f32_e32 v5, v5
	v_cvt_u32_f32_e32 v3, v3
	v_mul_lo_u32 v7, s0, v5
	v_mul_hi_u32 v11, s0, v3
	v_mul_lo_u32 v9, s1, v3
	v_add_u32_e32 v7, v11, v7
	v_mul_lo_u32 v13, s0, v3
	v_add_u32_e32 v7, v7, v9
	v_mul_lo_u32 v11, v3, v7
	v_mul_hi_u32 v15, v3, v13
	v_mul_hi_u32 v9, v3, v7
	v_add_co_u32_e32 v11, vcc, v15, v11
	v_addc_co_u32_e32 v9, vcc, 0, v9, vcc
	v_mul_hi_u32 v17, v5, v13
	v_mul_lo_u32 v13, v5, v13
	v_add_co_u32_e32 v11, vcc, v11, v13
	v_mul_hi_u32 v15, v5, v7
	v_addc_co_u32_e32 v9, vcc, v9, v17, vcc
	v_addc_co_u32_e32 v11, vcc, 0, v15, vcc
	v_mul_lo_u32 v7, v5, v7
	v_add_co_u32_e32 v7, vcc, v9, v7
	v_addc_co_u32_e32 v9, vcc, 0, v11, vcc
	v_add_co_u32_e32 v3, vcc, v3, v7
	v_addc_co_u32_e32 v5, vcc, v5, v9, vcc
	v_mul_lo_u32 v7, s0, v5
	v_mul_hi_u32 v9, s0, v3
	v_add_u32_e32 v7, v9, v7
	v_mul_lo_u32 v9, s1, v3
	v_add_u32_e32 v7, v7, v9
	v_mul_lo_u32 v11, s0, v3
	v_mul_hi_u32 v13, v5, v11
	v_mul_lo_u32 v15, v5, v11
	v_mul_lo_u32 v20, v3, v7
	v_mul_hi_u32 v11, v3, v11
	v_mul_hi_u32 v17, v3, v7
	v_add_co_u32_e32 v11, vcc, v11, v20
	v_addc_co_u32_e32 v17, vcc, 0, v17, vcc
	v_add_co_u32_e32 v11, vcc, v11, v15
	v_mul_hi_u32 v9, v5, v7
	v_addc_co_u32_e32 v11, vcc, v17, v13, vcc
	v_addc_co_u32_e32 v9, vcc, 0, v9, vcc
	v_mul_lo_u32 v7, v5, v7
	v_add_co_u32_e32 v7, vcc, v11, v7
	v_addc_co_u32_e32 v9, vcc, 0, v9, vcc
	v_add_co_u32_e32 v3, vcc, v3, v7
	v_addc_co_u32_e32 v5, vcc, v5, v9, vcc
	v_ashrrev_i32_e32 v7, 31, v19
	v_add_co_u32_e32 v9, vcc, v18, v7
	v_xor_b32_e32 v9, v9, v7
	v_addc_co_u32_e32 v11, vcc, v19, v7, vcc
	v_mad_u64_u32 v[20:21], s[0:1], v9, v5, 0
	v_mul_hi_u32 v13, v9, v3
	v_xor_b32_e32 v11, v11, v7
	v_add_co_u32_e32 v13, vcc, v13, v20
	v_addc_co_u32_e32 v15, vcc, 0, v21, vcc
	v_mad_u64_u32 v[24:25], s[0:1], v11, v3, 0
	v_add_co_u32_e32 v3, vcc, v13, v24
	v_mad_u64_u32 v[20:21], s[0:1], v11, v5, 0
	v_addc_co_u32_e32 v3, vcc, v15, v25, vcc
	v_addc_co_u32_e32 v5, vcc, 0, v21, vcc
	v_add_co_u32_e32 v3, vcc, v3, v20
	v_addc_co_u32_e32 v5, vcc, 0, v5, vcc
	v_mul_lo_u32 v13, s45, v3
	v_mul_lo_u32 v15, s44, v5
	v_mad_u64_u32 v[20:21], s[0:1], s44, v3, 0
	v_add3_u32 v13, v21, v15, v13
	v_sub_u32_e32 v15, v11, v13
	v_mov_b32_e32 v17, s45
	v_sub_co_u32_e32 v9, vcc, v9, v20
	v_subb_co_u32_e64 v15, s[0:1], v15, v17, vcc
	v_subrev_co_u32_e64 v17, s[0:1], s44, v9
	v_subbrev_co_u32_e64 v15, s[0:1], 0, v15, s[0:1]
	v_cmp_le_u32_e64 s[0:1], s45, v15
	v_cndmask_b32_e64 v19, 0, -1, s[0:1]
	v_cmp_le_u32_e64 s[0:1], s44, v17
	v_cndmask_b32_e64 v17, 0, -1, s[0:1]
	v_cmp_eq_u32_e64 s[0:1], s45, v15
	v_cndmask_b32_e64 v15, v19, v17, s[0:1]
	v_add_co_u32_e64 v17, s[0:1], 2, v3
	v_subb_co_u32_e32 v11, vcc, v11, v13, vcc
	v_addc_co_u32_e64 v19, s[0:1], 0, v5, s[0:1]
	v_cmp_le_u32_e32 vcc, s45, v11
	v_add_co_u32_e64 v20, s[0:1], 1, v3
	v_cndmask_b32_e64 v13, 0, -1, vcc
	v_cmp_le_u32_e32 vcc, s44, v9
	v_addc_co_u32_e64 v21, s[0:1], 0, v5, s[0:1]
	v_cndmask_b32_e64 v9, 0, -1, vcc
	v_cmp_eq_u32_e32 vcc, s45, v11
	v_cmp_ne_u32_e64 s[0:1], 0, v15
	v_cndmask_b32_e32 v9, v13, v9, vcc
	v_cmp_ne_u32_e32 vcc, 0, v9
	v_cndmask_b32_e64 v9, v20, v17, s[0:1]
	v_cndmask_b32_e64 v15, v21, v19, s[0:1]
	v_cndmask_b32_e32 v3, v3, v9, vcc
	v_xor_b32_e32 v9, s43, v7
	v_xor_b32_e32 v7, s42, v7
	v_cndmask_b32_e32 v5, v5, v15, vcc
	v_xor_b32_e32 v3, v3, v7
	v_xor_b32_e32 v5, v5, v9
	v_sub_co_u32_e32 v20, vcc, v3, v7
	v_subb_co_u32_e32 v21, vcc, v5, v9, vcc
.LBB61_32:                              ;   in Loop: Header=BB61_18 Depth=2
	s_andn2_saveexec_b64 s[0:1], s[40:41]
	s_cbranch_execz .LBB61_34
; %bb.33:                               ;   in Loop: Header=BB61_18 Depth=2
	v_cvt_f32_u32_e32 v3, s63
	s_sub_i32 s40, 0, s63
	v_mov_b32_e32 v21, v2
	v_rcp_iflag_f32_e32 v3, v3
	v_mul_f32_e32 v3, 0x4f7ffffe, v3
	v_cvt_u32_f32_e32 v3, v3
	v_mul_lo_u32 v5, s40, v3
	v_mul_hi_u32 v5, v3, v5
	v_add_u32_e32 v3, v3, v5
	v_mul_hi_u32 v3, v18, v3
	v_mul_lo_u32 v5, v3, s63
	v_sub_u32_e32 v5, v18, v5
	v_add_u32_e32 v7, 1, v3
	v_subrev_u32_e32 v9, s63, v5
	v_cmp_le_u32_e32 vcc, s63, v5
	v_cndmask_b32_e32 v5, v5, v9, vcc
	v_cndmask_b32_e32 v3, v3, v7, vcc
	v_add_u32_e32 v7, 1, v3
	v_cmp_le_u32_e32 vcc, s63, v5
	v_cndmask_b32_e32 v20, v3, v7, vcc
.LBB61_34:                              ;   in Loop: Header=BB61_18 Depth=2
	s_or_b64 exec, exec, s[0:1]
	s_add_u32 s0, s50, s2
	v_mul_lo_u32 v3, v14, s56
	v_mul_lo_u32 v7, v16, s57
	s_load_dword s2, s[38:39], 0x6c
	s_addc_u32 s1, s51, s3
	s_load_dword s0, s[0:1], 0x0
	v_sub_u32_e32 v3, v12, v3
	v_sub_u32_e32 v7, v14, v7
	v_mul_lo_u32 v5, s58, v3
	v_mul_lo_u32 v3, s59, v3
	;; [unrolled: 1-line block ×4, first 2 shown]
	v_add3_u32 v5, v5, v10, v9
	v_add3_u32 v3, v3, v8, v7
	v_mul_lo_u32 v7, v18, s60
	v_mul_lo_u32 v9, v20, s63
	v_sub_u32_e32 v7, v16, v7
	v_sub_u32_e32 v9, v18, v9
	v_mul_lo_u32 v8, s64, v7
	s_waitcnt lgkmcnt(0)
	v_mul_lo_u32 v10, s2, v9
	v_mul_lo_u32 v7, s65, v7
	v_add3_u32 v10, v8, v5, v10
	v_mul_lo_u32 v5, s0, v9
	s_add_i32 s20, s20, -4
	s_cmp_eq_u32 s20, -1
	v_add3_u32 v8, v7, v3, v5
	s_cbranch_scc1 .LBB61_41
; %bb.35:                               ;   in Loop: Header=BB61_18 Depth=2
	v_pk_mov_b32 v[12:13], v[20:21], v[20:21] op_sel:[0,1]
	s_branch .LBB61_18
.LBB61_36:                              ;   in Loop: Header=BB61_37 Depth=2
	s_or_b64 exec, exec, s[0:1]
	s_load_dword s38, s[38:39], 0x6c
	s_add_u32 s0, s50, s2
	s_addc_u32 s1, s51, s3
	s_load_dword s2, s[0:1], 0x0
	v_mul_lo_u32 v3, v12, s57
	v_sub_u32_e32 v3, v14, v3
	s_waitcnt lgkmcnt(0)
	v_mad_u64_u32 v[10:11], s[0:1], s38, v3, v[10:11]
	s_add_i32 s20, s20, -1
	s_xor_b32 s0, s55, s56
	s_add_i32 s56, s56, 1
	s_cmp_lg_u32 s0, 2
	v_mad_u64_u32 v[8:9], s[0:1], s2, v3, v[8:9]
	s_cbranch_scc0 .LBB61_17
.LBB61_37:                              ;   Parent Loop BB61_3 Depth=1
                                        ; =>  This Inner Loop Header: Depth=2
	s_lshl_b64 s[2:3], s[20:21], 2
	s_add_u32 s38, s33, s2
	s_addc_u32 s39, s46, s3
	s_load_dword s57, s[38:39], 0x8
	v_pk_mov_b32 v[14:15], v[12:13], v[12:13] op_sel:[0,1]
                                        ; implicit-def: $vgpr12_vgpr13
	s_waitcnt lgkmcnt(0)
	s_ashr_i32 s0, s57, 31
	v_or_b32_e32 v3, s0, v15
	v_cmp_ne_u64_e32 vcc, 0, v[2:3]
	s_and_saveexec_b64 s[40:41], vcc
	s_xor_b64 s[40:41], exec, s[40:41]
	s_cbranch_execz .LBB61_39
; %bb.38:                               ;   in Loop: Header=BB61_37 Depth=2
	s_add_u32 s44, s57, s0
	s_mov_b32 s42, s0
	s_mov_b32 s43, s0
	s_addc_u32 s45, s0, s0
	s_xor_b64 s[44:45], s[44:45], s[42:43]
	v_cvt_f32_u32_e32 v3, s44
	v_cvt_f32_u32_e32 v5, s45
	s_sub_u32 s0, 0, s44
	s_subb_u32 s1, 0, s45
	v_mac_f32_e32 v3, 0x4f800000, v5
	v_rcp_f32_e32 v3, v3
	v_mul_f32_e32 v3, 0x5f7ffffc, v3
	v_mul_f32_e32 v5, 0x2f800000, v3
	v_trunc_f32_e32 v5, v5
	v_mac_f32_e32 v3, 0xcf800000, v5
	v_cvt_u32_f32_e32 v5, v5
	v_cvt_u32_f32_e32 v3, v3
	v_mul_lo_u32 v7, s0, v5
	v_mul_hi_u32 v11, s0, v3
	v_mul_lo_u32 v9, s1, v3
	v_add_u32_e32 v7, v11, v7
	v_mul_lo_u32 v12, s0, v3
	v_add_u32_e32 v7, v7, v9
	v_mul_lo_u32 v11, v3, v7
	v_mul_hi_u32 v13, v3, v12
	v_mul_hi_u32 v9, v3, v7
	v_add_co_u32_e32 v11, vcc, v13, v11
	v_addc_co_u32_e32 v9, vcc, 0, v9, vcc
	v_mul_hi_u32 v16, v5, v12
	v_mul_lo_u32 v12, v5, v12
	v_add_co_u32_e32 v11, vcc, v11, v12
	v_mul_hi_u32 v13, v5, v7
	v_addc_co_u32_e32 v9, vcc, v9, v16, vcc
	v_addc_co_u32_e32 v11, vcc, 0, v13, vcc
	v_mul_lo_u32 v7, v5, v7
	v_add_co_u32_e32 v7, vcc, v9, v7
	v_addc_co_u32_e32 v9, vcc, 0, v11, vcc
	v_add_co_u32_e32 v3, vcc, v3, v7
	v_addc_co_u32_e32 v5, vcc, v5, v9, vcc
	v_mul_lo_u32 v7, s0, v5
	v_mul_hi_u32 v9, s0, v3
	v_add_u32_e32 v7, v9, v7
	v_mul_lo_u32 v9, s1, v3
	v_add_u32_e32 v7, v7, v9
	v_mul_lo_u32 v11, s0, v3
	v_mul_hi_u32 v12, v5, v11
	v_mul_lo_u32 v13, v5, v11
	v_mul_lo_u32 v17, v3, v7
	v_mul_hi_u32 v11, v3, v11
	v_mul_hi_u32 v16, v3, v7
	v_add_co_u32_e32 v11, vcc, v11, v17
	v_addc_co_u32_e32 v16, vcc, 0, v16, vcc
	v_add_co_u32_e32 v11, vcc, v11, v13
	v_mul_hi_u32 v9, v5, v7
	v_addc_co_u32_e32 v11, vcc, v16, v12, vcc
	v_addc_co_u32_e32 v9, vcc, 0, v9, vcc
	v_mul_lo_u32 v7, v5, v7
	v_add_co_u32_e32 v7, vcc, v11, v7
	v_addc_co_u32_e32 v9, vcc, 0, v9, vcc
	v_add_co_u32_e32 v3, vcc, v3, v7
	v_addc_co_u32_e32 v5, vcc, v5, v9, vcc
	v_ashrrev_i32_e32 v7, 31, v15
	v_add_co_u32_e32 v9, vcc, v14, v7
	v_xor_b32_e32 v9, v9, v7
	v_addc_co_u32_e32 v11, vcc, v15, v7, vcc
	v_mad_u64_u32 v[12:13], s[0:1], v9, v5, 0
	v_mul_hi_u32 v15, v9, v3
	v_xor_b32_e32 v11, v11, v7
	v_add_co_u32_e32 v15, vcc, v15, v12
	v_addc_co_u32_e32 v18, vcc, 0, v13, vcc
	v_mad_u64_u32 v[16:17], s[0:1], v11, v3, 0
	v_add_co_u32_e32 v3, vcc, v15, v16
	v_mad_u64_u32 v[12:13], s[0:1], v11, v5, 0
	v_addc_co_u32_e32 v3, vcc, v18, v17, vcc
	v_addc_co_u32_e32 v5, vcc, 0, v13, vcc
	v_add_co_u32_e32 v3, vcc, v3, v12
	v_addc_co_u32_e32 v5, vcc, 0, v5, vcc
	v_mul_lo_u32 v15, s45, v3
	v_mul_lo_u32 v16, s44, v5
	v_mad_u64_u32 v[12:13], s[0:1], s44, v3, 0
	v_add3_u32 v13, v13, v16, v15
	v_sub_u32_e32 v15, v11, v13
	v_mov_b32_e32 v16, s45
	v_sub_co_u32_e32 v9, vcc, v9, v12
	v_subb_co_u32_e64 v12, s[0:1], v15, v16, vcc
	v_subrev_co_u32_e64 v15, s[0:1], s44, v9
	v_subbrev_co_u32_e64 v12, s[0:1], 0, v12, s[0:1]
	v_cmp_le_u32_e64 s[0:1], s45, v12
	v_cndmask_b32_e64 v16, 0, -1, s[0:1]
	v_cmp_le_u32_e64 s[0:1], s44, v15
	v_cndmask_b32_e64 v15, 0, -1, s[0:1]
	v_cmp_eq_u32_e64 s[0:1], s45, v12
	v_cndmask_b32_e64 v12, v16, v15, s[0:1]
	v_add_co_u32_e64 v15, s[0:1], 2, v3
	v_subb_co_u32_e32 v11, vcc, v11, v13, vcc
	v_addc_co_u32_e64 v16, s[0:1], 0, v5, s[0:1]
	v_cmp_le_u32_e32 vcc, s45, v11
	v_add_co_u32_e64 v17, s[0:1], 1, v3
	v_cndmask_b32_e64 v13, 0, -1, vcc
	v_cmp_le_u32_e32 vcc, s44, v9
	v_addc_co_u32_e64 v18, s[0:1], 0, v5, s[0:1]
	v_cndmask_b32_e64 v9, 0, -1, vcc
	v_cmp_eq_u32_e32 vcc, s45, v11
	v_cmp_ne_u32_e64 s[0:1], 0, v12
	v_cndmask_b32_e32 v9, v13, v9, vcc
	v_cmp_ne_u32_e32 vcc, 0, v9
	v_cndmask_b32_e64 v9, v17, v15, s[0:1]
	v_cndmask_b32_e64 v12, v18, v16, s[0:1]
	v_cndmask_b32_e32 v3, v3, v9, vcc
	v_xor_b32_e32 v9, s43, v7
	v_xor_b32_e32 v7, s42, v7
	v_cndmask_b32_e32 v5, v5, v12, vcc
	v_xor_b32_e32 v3, v3, v7
	v_xor_b32_e32 v5, v5, v9
	v_sub_co_u32_e32 v12, vcc, v3, v7
	v_subb_co_u32_e32 v13, vcc, v5, v9, vcc
.LBB61_39:                              ;   in Loop: Header=BB61_37 Depth=2
	s_andn2_saveexec_b64 s[0:1], s[40:41]
	s_cbranch_execz .LBB61_36
; %bb.40:                               ;   in Loop: Header=BB61_37 Depth=2
	v_cvt_f32_u32_e32 v3, s57
	s_sub_i32 s40, 0, s57
	v_mov_b32_e32 v13, v2
	v_rcp_iflag_f32_e32 v3, v3
	v_mul_f32_e32 v3, 0x4f7ffffe, v3
	v_cvt_u32_f32_e32 v3, v3
	v_mul_lo_u32 v5, s40, v3
	v_mul_hi_u32 v5, v3, v5
	v_add_u32_e32 v3, v3, v5
	v_mul_hi_u32 v3, v14, v3
	v_mul_lo_u32 v5, v3, s57
	v_sub_u32_e32 v5, v14, v5
	v_add_u32_e32 v7, 1, v3
	v_subrev_u32_e32 v9, s57, v5
	v_cmp_le_u32_e32 vcc, s57, v5
	v_cndmask_b32_e32 v5, v5, v9, vcc
	v_cndmask_b32_e32 v3, v3, v7, vcc
	v_add_u32_e32 v7, 1, v3
	v_cmp_le_u32_e32 vcc, s57, v5
	v_cndmask_b32_e32 v12, v3, v7, vcc
	s_branch .LBB61_36
.LBB61_41:                              ;   in Loop: Header=BB61_3 Depth=1
	v_mov_b32_e32 v3, v4
	v_sub_u32_e32 v4, v4, v6
	v_add_u32_e32 v4, 2, v4
	v_ashrrev_i32_e32 v5, 31, v4
	v_cmp_le_i64_e32 vcc, s[8:9], v[4:5]
                                        ; implicit-def: $vgpr7
                                        ; implicit-def: $vgpr11
	s_and_saveexec_b64 s[0:1], vcc
	s_xor_b64 s[0:1], exec, s[0:1]
	s_cbranch_execnz .LBB61_44
; %bb.42:                               ;   in Loop: Header=BB61_3 Depth=1
	s_andn2_saveexec_b64 s[0:1], s[0:1]
	s_cbranch_execnz .LBB61_49
.LBB61_43:                              ;   in Loop: Header=BB61_3 Depth=1
	s_or_b64 exec, exec, s[0:1]
	v_cmp_gt_i32_e32 vcc, s13, v3
	s_and_saveexec_b64 s[0:1], vcc
	s_cbranch_execz .LBB61_2
	s_branch .LBB61_50
.LBB61_44:                              ;   in Loop: Header=BB61_3 Depth=1
	v_cmp_gt_i32_e32 vcc, s13, v3
	v_mov_b32_e32 v7, 0
	v_mov_b32_e32 v9, 0
	s_and_saveexec_b64 s[2:3], vcc
	s_cbranch_execz .LBB61_48
; %bb.45:                               ;   in Loop: Header=BB61_3 Depth=1
	v_ashrrev_i32_e32 v11, 31, v10
	v_lshlrev_b64 v[4:5], 2, v[10:11]
	v_mov_b32_e32 v7, s7
	v_add_co_u32_e32 v4, vcc, s6, v4
	v_addc_co_u32_e32 v5, vcc, v7, v5, vcc
	global_load_dword v7, v[4:5], off
	v_add_u32_e32 v9, 1, v3
	v_cmp_gt_i32_e32 vcc, s13, v9
	v_mov_b32_e32 v9, 0
	s_and_saveexec_b64 s[38:39], vcc
	s_xor_b64 s[38:39], exec, s[38:39]
	s_cbranch_execz .LBB61_47
; %bb.46:                               ;   in Loop: Header=BB61_3 Depth=1
	v_mov_b32_e32 v9, s35
	v_add_co_u32_e32 v4, vcc, s34, v4
	v_addc_co_u32_e32 v5, vcc, v5, v9, vcc
	global_load_dword v9, v[4:5], off
.LBB61_47:                              ;   in Loop: Header=BB61_3 Depth=1
	s_or_b64 exec, exec, s[38:39]
.LBB61_48:                              ;   in Loop: Header=BB61_3 Depth=1
	s_or_b64 exec, exec, s[2:3]
	v_sub_u32_e32 v4, v3, v6
	v_add_u32_e32 v12, 1, v4
	v_ashrrev_i32_e32 v5, 31, v4
	v_ashrrev_i32_e32 v13, 31, v12
	v_cmp_le_i64_e32 vcc, s[22:23], v[4:5]
	s_waitcnt vmcnt(0)
	v_cndmask_b32_e32 v11, 0, v7, vcc
	v_cmp_le_i64_e32 vcc, s[24:25], v[12:13]
	v_cndmask_b32_e32 v7, 0, v9, vcc
	s_andn2_saveexec_b64 s[0:1], s[0:1]
	s_cbranch_execz .LBB61_43
.LBB61_49:                              ;   in Loop: Header=BB61_3 Depth=1
	v_mov_b32_e32 v11, 0
	v_mov_b32_e32 v7, 0
	s_or_b64 exec, exec, s[0:1]
	v_cmp_gt_i32_e32 vcc, s13, v3
	s_and_saveexec_b64 s[0:1], vcc
	s_cbranch_execz .LBB61_2
.LBB61_50:                              ;   in Loop: Header=BB61_3 Depth=1
	v_ashrrev_i32_e32 v9, 31, v8
	v_lshlrev_b64 v[4:5], 2, v[8:9]
	v_mov_b32_e32 v6, s5
	v_add_co_u32_e32 v4, vcc, s4, v4
	v_addc_co_u32_e32 v5, vcc, v6, v5, vcc
	v_add_u32_e32 v3, 1, v3
	v_cmp_gt_i32_e32 vcc, s13, v3
	global_store_dword v[4:5], v11, off
	s_and_saveexec_b64 s[2:3], vcc
	s_xor_b64 s[2:3], exec, s[2:3]
	s_cbranch_execz .LBB61_2
; %bb.51:                               ;   in Loop: Header=BB61_3 Depth=1
	v_mov_b32_e32 v3, s37
	v_add_co_u32_e32 v4, vcc, s36, v4
	v_addc_co_u32_e32 v5, vcc, v5, v3, vcc
	global_store_dword v[4:5], v7, off
	s_branch .LBB61_2
.LBB61_52:
	s_endpgm
	.section	.rodata,"a",@progbits
	.p2align	6, 0x0
	.amdhsa_kernel _ZN2at6native16triu_tril_kernelIiiLb1ELi2ELb0EEEvNS_4cuda6detail10TensorInfoIT_T0_EENS4_IKS5_S6_EEllS6_
		.amdhsa_group_segment_fixed_size 0
		.amdhsa_private_segment_fixed_size 0
		.amdhsa_kernarg_size 712
		.amdhsa_user_sgpr_count 6
		.amdhsa_user_sgpr_private_segment_buffer 1
		.amdhsa_user_sgpr_dispatch_ptr 0
		.amdhsa_user_sgpr_queue_ptr 0
		.amdhsa_user_sgpr_kernarg_segment_ptr 1
		.amdhsa_user_sgpr_dispatch_id 0
		.amdhsa_user_sgpr_flat_scratch_init 0
		.amdhsa_user_sgpr_kernarg_preload_length 0
		.amdhsa_user_sgpr_kernarg_preload_offset 0
		.amdhsa_user_sgpr_private_segment_size 0
		.amdhsa_uses_dynamic_stack 0
		.amdhsa_system_sgpr_private_segment_wavefront_offset 0
		.amdhsa_system_sgpr_workgroup_id_x 1
		.amdhsa_system_sgpr_workgroup_id_y 0
		.amdhsa_system_sgpr_workgroup_id_z 0
		.amdhsa_system_sgpr_workgroup_info 0
		.amdhsa_system_vgpr_workitem_id 0
		.amdhsa_next_free_vgpr 26
		.amdhsa_next_free_sgpr 66
		.amdhsa_accum_offset 28
		.amdhsa_reserve_vcc 1
		.amdhsa_reserve_flat_scratch 0
		.amdhsa_float_round_mode_32 0
		.amdhsa_float_round_mode_16_64 0
		.amdhsa_float_denorm_mode_32 3
		.amdhsa_float_denorm_mode_16_64 3
		.amdhsa_dx10_clamp 1
		.amdhsa_ieee_mode 1
		.amdhsa_fp16_overflow 0
		.amdhsa_tg_split 0
		.amdhsa_exception_fp_ieee_invalid_op 0
		.amdhsa_exception_fp_denorm_src 0
		.amdhsa_exception_fp_ieee_div_zero 0
		.amdhsa_exception_fp_ieee_overflow 0
		.amdhsa_exception_fp_ieee_underflow 0
		.amdhsa_exception_fp_ieee_inexact 0
		.amdhsa_exception_int_div_zero 0
	.end_amdhsa_kernel
	.section	.text._ZN2at6native16triu_tril_kernelIiiLb1ELi2ELb0EEEvNS_4cuda6detail10TensorInfoIT_T0_EENS4_IKS5_S6_EEllS6_,"axG",@progbits,_ZN2at6native16triu_tril_kernelIiiLb1ELi2ELb0EEEvNS_4cuda6detail10TensorInfoIT_T0_EENS4_IKS5_S6_EEllS6_,comdat
.Lfunc_end61:
	.size	_ZN2at6native16triu_tril_kernelIiiLb1ELi2ELb0EEEvNS_4cuda6detail10TensorInfoIT_T0_EENS4_IKS5_S6_EEllS6_, .Lfunc_end61-_ZN2at6native16triu_tril_kernelIiiLb1ELi2ELb0EEEvNS_4cuda6detail10TensorInfoIT_T0_EENS4_IKS5_S6_EEllS6_
                                        ; -- End function
	.section	.AMDGPU.csdata,"",@progbits
; Kernel info:
; codeLenInByte = 7656
; NumSgprs: 70
; NumVgprs: 26
; NumAgprs: 0
; TotalNumVgprs: 26
; ScratchSize: 0
; MemoryBound: 0
; FloatMode: 240
; IeeeMode: 1
; LDSByteSize: 0 bytes/workgroup (compile time only)
; SGPRBlocks: 8
; VGPRBlocks: 3
; NumSGPRsForWavesPerEU: 70
; NumVGPRsForWavesPerEU: 26
; AccumOffset: 28
; Occupancy: 8
; WaveLimiterHint : 0
; COMPUTE_PGM_RSRC2:SCRATCH_EN: 0
; COMPUTE_PGM_RSRC2:USER_SGPR: 6
; COMPUTE_PGM_RSRC2:TRAP_HANDLER: 0
; COMPUTE_PGM_RSRC2:TGID_X_EN: 1
; COMPUTE_PGM_RSRC2:TGID_Y_EN: 0
; COMPUTE_PGM_RSRC2:TGID_Z_EN: 0
; COMPUTE_PGM_RSRC2:TIDIG_COMP_CNT: 0
; COMPUTE_PGM_RSRC3_GFX90A:ACCUM_OFFSET: 6
; COMPUTE_PGM_RSRC3_GFX90A:TG_SPLIT: 0
	.section	.text._ZN2at6native16triu_tril_kernelIilLb1ELi2ELb1EEEvNS_4cuda6detail10TensorInfoIT_T0_EENS4_IKS5_S6_EEllS6_,"axG",@progbits,_ZN2at6native16triu_tril_kernelIilLb1ELi2ELb1EEEvNS_4cuda6detail10TensorInfoIT_T0_EENS4_IKS5_S6_EEllS6_,comdat
	.protected	_ZN2at6native16triu_tril_kernelIilLb1ELi2ELb1EEEvNS_4cuda6detail10TensorInfoIT_T0_EENS4_IKS5_S6_EEllS6_ ; -- Begin function _ZN2at6native16triu_tril_kernelIilLb1ELi2ELb1EEEvNS_4cuda6detail10TensorInfoIT_T0_EENS4_IKS5_S6_EEllS6_
	.globl	_ZN2at6native16triu_tril_kernelIilLb1ELi2ELb1EEEvNS_4cuda6detail10TensorInfoIT_T0_EENS4_IKS5_S6_EEllS6_
	.p2align	8
	.type	_ZN2at6native16triu_tril_kernelIilLb1ELi2ELb1EEEvNS_4cuda6detail10TensorInfoIT_T0_EENS4_IKS5_S6_EEllS6_,@function
_ZN2at6native16triu_tril_kernelIilLb1ELi2ELb1EEEvNS_4cuda6detail10TensorInfoIT_T0_EENS4_IKS5_S6_EEllS6_: ; @_ZN2at6native16triu_tril_kernelIilLb1ELi2ELb1EEEvNS_4cuda6detail10TensorInfoIT_T0_EENS4_IKS5_S6_EEllS6_
; %bb.0:
	s_load_dword s2, s[4:5], 0x364
	s_load_dwordx4 s[8:11], s[4:5], 0x340
	s_add_u32 s0, s4, 0x358
	v_mov_b32_e32 v2, 0
	s_addc_u32 s1, s5, 0
	s_waitcnt lgkmcnt(0)
	s_and_b32 s12, s2, 0xffff
	v_mov_b32_e32 v1, v2
	v_mov_b32_e32 v3, s6
	v_mad_u64_u32 v[0:1], s[2:3], s12, v3, v[0:1]
	v_lshlrev_b64 v[0:1], 1, v[0:1]
	v_cmp_gt_i64_e32 vcc, s[10:11], v[0:1]
	s_and_saveexec_b64 s[2:3], vcc
	s_cbranch_execz .LBB62_21
; %bb.1:
	s_load_dword s13, s[0:1], 0x0
	s_load_dword s18, s[4:5], 0x338
	s_load_dwordx2 s[2:3], s[4:5], 0x350
	s_load_dwordx2 s[6:7], s[4:5], 0x0
	s_mov_b32 s48, 0
	s_waitcnt lgkmcnt(0)
	s_mul_i32 s20, s13, s12
	s_ashr_i32 s19, s18, 31
	s_add_u32 s24, s4, 0x1a8
	s_addc_u32 s25, s5, 0
	s_lshl_b64 s[0:1], s[18:19], 3
	s_add_u32 s16, s0, -16
	s_addc_u32 s17, s1, -1
	s_add_u32 s14, s24, s16
	s_addc_u32 s15, s25, s17
	v_cmp_gt_i64_e64 s[12:13], s[18:19], 2
	s_add_u32 s19, s0, -8
	s_addc_u32 s21, s1, -1
	s_add_u32 s26, s4, 0xd0
	s_addc_u32 s27, s5, 0
	s_add_u32 s4, s26, s19
	v_cvt_f32_u32_e32 v3, s2
	s_addc_u32 s5, s27, s21
	s_add_u32 s16, s26, s16
	s_addc_u32 s17, s27, s17
	s_add_i32 s0, s18, -3
	s_ashr_i32 s1, s0, 31
	v_rcp_iflag_f32_e32 v3, v3
	s_add_u32 s18, s24, s19
	s_addc_u32 s19, s25, s21
	s_lshl_b32 s33, s20, 1
	s_lshl_b64 s[22:23], s[0:1], 3
	s_add_u32 s20, s26, s22
	s_load_dwordx2 s[14:15], s[14:15], 0x0
	s_addc_u32 s21, s27, s23
	v_mul_f32_e32 v3, 0x4f7ffffe, v3
	s_add_u32 s22, s24, s22
	v_cvt_u32_f32_e32 v12, v3
	s_addc_u32 s23, s25, s23
	s_add_u32 s24, s0, 1
	s_addc_u32 s25, s1, 0
	s_mov_b64 s[26:27], 0
	s_branch .LBB62_3
.LBB62_2:                               ;   in Loop: Header=BB62_3 Depth=1
	s_or_b64 exec, exec, s[28:29]
	v_mov_b32_e32 v3, s48
	v_add_co_u32_e32 v0, vcc, s33, v0
	v_addc_co_u32_e32 v1, vcc, v1, v3, vcc
	v_cmp_le_i64_e32 vcc, s[10:11], v[0:1]
	s_or_b64 s[26:27], vcc, s[26:27]
	s_andn2_b64 exec, exec, s[26:27]
	s_cbranch_execz .LBB62_21
.LBB62_3:                               ; =>This Loop Header: Depth=1
                                        ;     Child Loop BB62_17 Depth 2
	v_or_b32_e32 v3, s3, v1
	v_cmp_ne_u64_e32 vcc, 0, v[2:3]
                                        ; implicit-def: $vgpr8_vgpr9
	s_and_saveexec_b64 s[0:1], vcc
	s_xor_b64 s[28:29], exec, s[0:1]
	s_cbranch_execz .LBB62_5
; %bb.4:                                ;   in Loop: Header=BB62_3 Depth=1
	s_ashr_i32 s30, s3, 31
	s_add_u32 s0, s2, s30
	s_mov_b32 s31, s30
	s_addc_u32 s1, s3, s30
	s_xor_b64 s[34:35], s[0:1], s[30:31]
	v_cvt_f32_u32_e32 v3, s34
	v_cvt_f32_u32_e32 v4, s35
	s_sub_u32 s0, 0, s34
	s_subb_u32 s1, 0, s35
	v_mac_f32_e32 v3, 0x4f800000, v4
	v_rcp_f32_e32 v3, v3
	v_mul_f32_e32 v3, 0x5f7ffffc, v3
	v_mul_f32_e32 v4, 0x2f800000, v3
	v_trunc_f32_e32 v4, v4
	v_mac_f32_e32 v3, 0xcf800000, v4
	v_cvt_u32_f32_e32 v4, v4
	v_cvt_u32_f32_e32 v3, v3
	v_mul_lo_u32 v5, s0, v4
	v_mul_hi_u32 v7, s0, v3
	v_mul_lo_u32 v6, s1, v3
	v_add_u32_e32 v5, v7, v5
	v_mul_lo_u32 v8, s0, v3
	v_add_u32_e32 v5, v5, v6
	v_mul_lo_u32 v7, v3, v5
	v_mul_hi_u32 v9, v3, v8
	v_mul_hi_u32 v6, v3, v5
	v_add_co_u32_e32 v7, vcc, v9, v7
	v_addc_co_u32_e32 v6, vcc, 0, v6, vcc
	v_mul_hi_u32 v10, v4, v8
	v_mul_lo_u32 v8, v4, v8
	v_add_co_u32_e32 v7, vcc, v7, v8
	v_mul_hi_u32 v9, v4, v5
	v_addc_co_u32_e32 v6, vcc, v6, v10, vcc
	v_addc_co_u32_e32 v7, vcc, 0, v9, vcc
	v_mul_lo_u32 v5, v4, v5
	v_add_co_u32_e32 v5, vcc, v6, v5
	v_addc_co_u32_e32 v6, vcc, 0, v7, vcc
	v_add_co_u32_e32 v3, vcc, v3, v5
	v_addc_co_u32_e32 v4, vcc, v4, v6, vcc
	v_mul_lo_u32 v5, s0, v4
	v_mul_hi_u32 v6, s0, v3
	v_add_u32_e32 v5, v6, v5
	v_mul_lo_u32 v6, s1, v3
	v_add_u32_e32 v5, v5, v6
	v_mul_lo_u32 v7, s0, v3
	v_mul_hi_u32 v8, v4, v7
	v_mul_lo_u32 v9, v4, v7
	v_mul_lo_u32 v11, v3, v5
	v_mul_hi_u32 v7, v3, v7
	v_mul_hi_u32 v10, v3, v5
	v_add_co_u32_e32 v7, vcc, v7, v11
	v_addc_co_u32_e32 v10, vcc, 0, v10, vcc
	v_add_co_u32_e32 v7, vcc, v7, v9
	v_mul_hi_u32 v6, v4, v5
	v_addc_co_u32_e32 v7, vcc, v10, v8, vcc
	v_addc_co_u32_e32 v6, vcc, 0, v6, vcc
	v_mul_lo_u32 v5, v4, v5
	v_add_co_u32_e32 v5, vcc, v7, v5
	v_addc_co_u32_e32 v6, vcc, 0, v6, vcc
	v_add_co_u32_e32 v3, vcc, v3, v5
	v_addc_co_u32_e32 v6, vcc, v4, v6, vcc
	v_ashrrev_i32_e32 v8, 31, v1
	v_add_co_u32_e32 v4, vcc, v0, v8
	v_addc_co_u32_e32 v5, vcc, v1, v8, vcc
	v_xor_b32_e32 v10, v4, v8
	v_xor_b32_e32 v9, v5, v8
	v_mad_u64_u32 v[4:5], s[0:1], v10, v6, 0
	v_mul_hi_u32 v7, v10, v3
	v_add_co_u32_e32 v11, vcc, v7, v4
	v_addc_co_u32_e32 v13, vcc, 0, v5, vcc
	v_mad_u64_u32 v[4:5], s[0:1], v9, v6, 0
	v_mad_u64_u32 v[6:7], s[0:1], v9, v3, 0
	v_add_co_u32_e32 v3, vcc, v11, v6
	v_addc_co_u32_e32 v3, vcc, v13, v7, vcc
	v_addc_co_u32_e32 v5, vcc, 0, v5, vcc
	v_add_co_u32_e32 v3, vcc, v3, v4
	v_addc_co_u32_e32 v6, vcc, 0, v5, vcc
	v_mul_lo_u32 v7, s35, v3
	v_mul_lo_u32 v11, s34, v6
	v_mad_u64_u32 v[4:5], s[0:1], s34, v3, 0
	v_add3_u32 v5, v5, v11, v7
	v_sub_u32_e32 v7, v9, v5
	v_mov_b32_e32 v11, s35
	v_sub_co_u32_e32 v4, vcc, v10, v4
	v_subb_co_u32_e64 v7, s[0:1], v7, v11, vcc
	v_subrev_co_u32_e64 v10, s[0:1], s34, v4
	v_subbrev_co_u32_e64 v7, s[0:1], 0, v7, s[0:1]
	v_cmp_le_u32_e64 s[0:1], s35, v7
	v_cndmask_b32_e64 v11, 0, -1, s[0:1]
	v_cmp_le_u32_e64 s[0:1], s34, v10
	v_cndmask_b32_e64 v10, 0, -1, s[0:1]
	v_cmp_eq_u32_e64 s[0:1], s35, v7
	v_cndmask_b32_e64 v7, v11, v10, s[0:1]
	v_add_co_u32_e64 v10, s[0:1], 2, v3
	v_subb_co_u32_e32 v5, vcc, v9, v5, vcc
	v_addc_co_u32_e64 v11, s[0:1], 0, v6, s[0:1]
	v_cmp_le_u32_e32 vcc, s35, v5
	v_add_co_u32_e64 v13, s[0:1], 1, v3
	v_cndmask_b32_e64 v9, 0, -1, vcc
	v_cmp_le_u32_e32 vcc, s34, v4
	v_addc_co_u32_e64 v14, s[0:1], 0, v6, s[0:1]
	v_cndmask_b32_e64 v4, 0, -1, vcc
	v_cmp_eq_u32_e32 vcc, s35, v5
	v_cmp_ne_u32_e64 s[0:1], 0, v7
	v_cndmask_b32_e32 v4, v9, v4, vcc
	v_cmp_ne_u32_e32 vcc, 0, v4
	v_cndmask_b32_e64 v5, v13, v10, s[0:1]
	v_cndmask_b32_e64 v7, v14, v11, s[0:1]
	v_cndmask_b32_e32 v3, v3, v5, vcc
	v_xor_b32_e32 v5, s30, v8
	v_cndmask_b32_e32 v4, v6, v7, vcc
	v_xor_b32_e32 v3, v3, v5
	v_xor_b32_e32 v4, v4, v5
	v_sub_co_u32_e32 v8, vcc, v3, v5
	v_subb_co_u32_e32 v9, vcc, v4, v5, vcc
.LBB62_5:                               ;   in Loop: Header=BB62_3 Depth=1
	s_andn2_saveexec_b64 s[0:1], s[28:29]
	s_cbranch_execz .LBB62_7
; %bb.6:                                ;   in Loop: Header=BB62_3 Depth=1
	s_sub_i32 s28, 0, s2
	v_mul_lo_u32 v3, s28, v12
	v_mul_hi_u32 v3, v12, v3
	v_add_u32_e32 v3, v12, v3
	v_mul_hi_u32 v3, v0, v3
	v_mul_lo_u32 v4, v3, s2
	v_sub_u32_e32 v4, v0, v4
	v_subrev_u32_e32 v5, s2, v4
	v_cmp_le_u32_e32 vcc, s2, v4
	v_cndmask_b32_e32 v4, v4, v5, vcc
	v_add_u32_e32 v5, 1, v3
	v_cndmask_b32_e32 v3, v3, v5, vcc
	v_add_u32_e32 v5, 1, v3
	v_cmp_le_u32_e32 vcc, s2, v4
	v_cndmask_b32_e32 v8, v3, v5, vcc
	v_mov_b32_e32 v9, v2
.LBB62_7:                               ;   in Loop: Header=BB62_3 Depth=1
	s_or_b64 exec, exec, s[0:1]
	s_waitcnt lgkmcnt(0)
	v_or_b32_e32 v3, s15, v9
	v_cmp_ne_u64_e32 vcc, 0, v[2:3]
                                        ; implicit-def: $vgpr6_vgpr7
	s_and_saveexec_b64 s[0:1], vcc
	s_xor_b64 s[28:29], exec, s[0:1]
	s_cbranch_execz .LBB62_9
; %bb.8:                                ;   in Loop: Header=BB62_3 Depth=1
	s_ashr_i32 s30, s15, 31
	s_add_u32 s0, s14, s30
	s_mov_b32 s31, s30
	s_addc_u32 s1, s15, s30
	s_xor_b64 s[34:35], s[0:1], s[30:31]
	v_cvt_f32_u32_e32 v3, s34
	v_cvt_f32_u32_e32 v4, s35
	s_sub_u32 s0, 0, s34
	s_subb_u32 s1, 0, s35
	v_mac_f32_e32 v3, 0x4f800000, v4
	v_rcp_f32_e32 v3, v3
	v_mul_f32_e32 v3, 0x5f7ffffc, v3
	v_mul_f32_e32 v4, 0x2f800000, v3
	v_trunc_f32_e32 v4, v4
	v_mac_f32_e32 v3, 0xcf800000, v4
	v_cvt_u32_f32_e32 v4, v4
	v_cvt_u32_f32_e32 v3, v3
	v_mul_lo_u32 v5, s0, v4
	v_mul_hi_u32 v7, s0, v3
	v_mul_lo_u32 v6, s1, v3
	v_add_u32_e32 v5, v7, v5
	v_mul_lo_u32 v10, s0, v3
	v_add_u32_e32 v5, v5, v6
	v_mul_lo_u32 v7, v3, v5
	v_mul_hi_u32 v11, v3, v10
	v_mul_hi_u32 v6, v3, v5
	v_add_co_u32_e32 v7, vcc, v11, v7
	v_addc_co_u32_e32 v6, vcc, 0, v6, vcc
	v_mul_hi_u32 v13, v4, v10
	v_mul_lo_u32 v10, v4, v10
	v_add_co_u32_e32 v7, vcc, v7, v10
	v_mul_hi_u32 v11, v4, v5
	v_addc_co_u32_e32 v6, vcc, v6, v13, vcc
	v_addc_co_u32_e32 v7, vcc, 0, v11, vcc
	v_mul_lo_u32 v5, v4, v5
	v_add_co_u32_e32 v5, vcc, v6, v5
	v_addc_co_u32_e32 v6, vcc, 0, v7, vcc
	v_add_co_u32_e32 v3, vcc, v3, v5
	v_addc_co_u32_e32 v4, vcc, v4, v6, vcc
	v_mul_lo_u32 v5, s0, v4
	v_mul_hi_u32 v6, s0, v3
	v_add_u32_e32 v5, v6, v5
	v_mul_lo_u32 v6, s1, v3
	v_add_u32_e32 v5, v5, v6
	v_mul_lo_u32 v7, s0, v3
	v_mul_hi_u32 v10, v4, v7
	v_mul_lo_u32 v11, v4, v7
	v_mul_lo_u32 v14, v3, v5
	v_mul_hi_u32 v7, v3, v7
	v_mul_hi_u32 v13, v3, v5
	v_add_co_u32_e32 v7, vcc, v7, v14
	v_addc_co_u32_e32 v13, vcc, 0, v13, vcc
	v_add_co_u32_e32 v7, vcc, v7, v11
	v_mul_hi_u32 v6, v4, v5
	v_addc_co_u32_e32 v7, vcc, v13, v10, vcc
	v_addc_co_u32_e32 v6, vcc, 0, v6, vcc
	v_mul_lo_u32 v5, v4, v5
	v_add_co_u32_e32 v5, vcc, v7, v5
	v_addc_co_u32_e32 v6, vcc, 0, v6, vcc
	v_add_co_u32_e32 v3, vcc, v3, v5
	v_addc_co_u32_e32 v6, vcc, v4, v6, vcc
	v_ashrrev_i32_e32 v10, 31, v9
	v_add_co_u32_e32 v4, vcc, v8, v10
	v_addc_co_u32_e32 v5, vcc, v9, v10, vcc
	v_xor_b32_e32 v13, v4, v10
	v_xor_b32_e32 v11, v5, v10
	v_mad_u64_u32 v[4:5], s[0:1], v13, v6, 0
	v_mul_hi_u32 v7, v13, v3
	v_add_co_u32_e32 v14, vcc, v7, v4
	v_addc_co_u32_e32 v15, vcc, 0, v5, vcc
	v_mad_u64_u32 v[4:5], s[0:1], v11, v6, 0
	v_mad_u64_u32 v[6:7], s[0:1], v11, v3, 0
	v_add_co_u32_e32 v3, vcc, v14, v6
	v_addc_co_u32_e32 v3, vcc, v15, v7, vcc
	v_addc_co_u32_e32 v5, vcc, 0, v5, vcc
	v_add_co_u32_e32 v3, vcc, v3, v4
	v_addc_co_u32_e32 v6, vcc, 0, v5, vcc
	v_mul_lo_u32 v7, s35, v3
	v_mul_lo_u32 v14, s34, v6
	v_mad_u64_u32 v[4:5], s[0:1], s34, v3, 0
	v_add3_u32 v5, v5, v14, v7
	v_sub_u32_e32 v7, v11, v5
	v_mov_b32_e32 v14, s35
	v_sub_co_u32_e32 v4, vcc, v13, v4
	v_subb_co_u32_e64 v7, s[0:1], v7, v14, vcc
	v_subrev_co_u32_e64 v13, s[0:1], s34, v4
	v_subbrev_co_u32_e64 v7, s[0:1], 0, v7, s[0:1]
	v_cmp_le_u32_e64 s[0:1], s35, v7
	v_cndmask_b32_e64 v14, 0, -1, s[0:1]
	v_cmp_le_u32_e64 s[0:1], s34, v13
	v_cndmask_b32_e64 v13, 0, -1, s[0:1]
	v_cmp_eq_u32_e64 s[0:1], s35, v7
	v_cndmask_b32_e64 v7, v14, v13, s[0:1]
	v_add_co_u32_e64 v13, s[0:1], 2, v3
	v_subb_co_u32_e32 v5, vcc, v11, v5, vcc
	v_addc_co_u32_e64 v14, s[0:1], 0, v6, s[0:1]
	v_cmp_le_u32_e32 vcc, s35, v5
	v_add_co_u32_e64 v15, s[0:1], 1, v3
	v_cndmask_b32_e64 v11, 0, -1, vcc
	v_cmp_le_u32_e32 vcc, s34, v4
	v_addc_co_u32_e64 v16, s[0:1], 0, v6, s[0:1]
	v_cndmask_b32_e64 v4, 0, -1, vcc
	v_cmp_eq_u32_e32 vcc, s35, v5
	v_cmp_ne_u32_e64 s[0:1], 0, v7
	v_cndmask_b32_e32 v4, v11, v4, vcc
	v_cmp_ne_u32_e32 vcc, 0, v4
	v_cndmask_b32_e64 v5, v15, v13, s[0:1]
	v_cndmask_b32_e64 v7, v16, v14, s[0:1]
	v_cndmask_b32_e32 v3, v3, v5, vcc
	v_xor_b32_e32 v5, s30, v10
	v_cndmask_b32_e32 v4, v6, v7, vcc
	v_xor_b32_e32 v3, v3, v5
	v_xor_b32_e32 v4, v4, v5
	v_sub_co_u32_e32 v6, vcc, v3, v5
	v_subb_co_u32_e32 v7, vcc, v4, v5, vcc
.LBB62_9:                               ;   in Loop: Header=BB62_3 Depth=1
	s_andn2_saveexec_b64 s[0:1], s[28:29]
	s_cbranch_execz .LBB62_11
; %bb.10:                               ;   in Loop: Header=BB62_3 Depth=1
	v_cvt_f32_u32_e32 v3, s14
	s_sub_i32 s28, 0, s14
	v_mov_b32_e32 v7, v2
	v_rcp_iflag_f32_e32 v3, v3
	v_mul_f32_e32 v3, 0x4f7ffffe, v3
	v_cvt_u32_f32_e32 v3, v3
	v_mul_lo_u32 v4, s28, v3
	v_mul_hi_u32 v4, v3, v4
	v_add_u32_e32 v3, v3, v4
	v_mul_hi_u32 v3, v8, v3
	v_mul_lo_u32 v4, v3, s14
	v_sub_u32_e32 v4, v8, v4
	v_add_u32_e32 v5, 1, v3
	v_subrev_u32_e32 v6, s14, v4
	v_cmp_le_u32_e32 vcc, s14, v4
	v_cndmask_b32_e32 v4, v4, v6, vcc
	v_cndmask_b32_e32 v3, v3, v5, vcc
	v_add_u32_e32 v5, 1, v3
	v_cmp_le_u32_e32 vcc, s14, v4
	v_cndmask_b32_e32 v6, v3, v5, vcc
.LBB62_11:                              ;   in Loop: Header=BB62_3 Depth=1
	s_or_b64 exec, exec, s[0:1]
	v_mul_lo_u32 v3, v9, s2
	v_mul_lo_u32 v10, v8, s3
	v_mad_u64_u32 v[4:5], s[0:1], v8, s2, 0
	v_add3_u32 v3, v5, v10, v3
	v_sub_co_u32_e32 v4, vcc, v0, v4
	v_subb_co_u32_e32 v5, vcc, v1, v3, vcc
	v_mul_lo_u32 v3, v7, s14
	v_mul_lo_u32 v13, v6, s15
	v_mad_u64_u32 v[10:11], s[0:1], v6, s14, 0
	v_add3_u32 v3, v11, v13, v3
	v_sub_co_u32_e32 v13, vcc, v8, v10
	v_subb_co_u32_e32 v14, vcc, v9, v3, vcc
	v_sub_co_u32_e32 v8, vcc, v4, v13
	v_subb_co_u32_e32 v9, vcc, v5, v14, vcc
	v_cmp_gt_i64_e32 vcc, s[8:9], v[8:9]
	s_and_saveexec_b64 s[28:29], vcc
	s_cbranch_execz .LBB62_2
; %bb.12:                               ;   in Loop: Header=BB62_3 Depth=1
	s_load_dwordx2 s[30:31], s[4:5], 0x0
	s_load_dwordx2 s[0:1], s[16:17], 0x0
	s_and_b64 vcc, exec, s[12:13]
	s_mov_b64 s[36:37], s[22:23]
	s_mov_b64 s[38:39], s[20:21]
	s_waitcnt lgkmcnt(0)
	v_mul_lo_u32 v3, s31, v4
	v_mul_lo_u32 v10, s30, v5
	v_mad_u64_u32 v[8:9], s[34:35], s30, v4, 0
	v_add3_u32 v9, v9, v10, v3
	v_mad_u64_u32 v[8:9], s[34:35], s0, v13, v[8:9]
	v_mul_lo_u32 v3, s0, v14
	v_mul_lo_u32 v10, s1, v13
	v_add3_u32 v9, v10, v9, v3
	s_mov_b64 s[34:35], s[24:25]
	s_cbranch_vccnz .LBB62_17
.LBB62_13:                              ;   in Loop: Header=BB62_3 Depth=1
	s_load_dwordx2 s[0:1], s[18:19], 0x0
	s_waitcnt lgkmcnt(0)
	v_cmp_gt_i64_e32 vcc, s[0:1], v[4:5]
	s_and_b64 exec, exec, vcc
	s_cbranch_execz .LBB62_2
; %bb.14:                               ;   in Loop: Header=BB62_3 Depth=1
	v_lshlrev_b64 v[6:7], 2, v[8:9]
	v_mov_b32_e32 v3, s7
	v_add_co_u32_e32 v6, vcc, s6, v6
	v_addc_co_u32_e32 v7, vcc, v3, v7, vcc
	v_add_co_u32_e32 v4, vcc, 1, v4
	v_addc_co_u32_e32 v5, vcc, 0, v5, vcc
	v_cmp_gt_i64_e32 vcc, s[0:1], v[4:5]
	v_sub_co_u32_e64 v4, s[0:1], v4, v13
	v_subb_co_u32_e64 v5, s[0:1], v5, v14, s[0:1]
	v_cmp_gt_i64_e64 s[0:1], s[8:9], v[4:5]
	s_and_b64 s[0:1], vcc, s[0:1]
	global_store_dword v[6:7], v2, off
	s_and_b64 exec, exec, s[0:1]
	s_cbranch_execz .LBB62_2
; %bb.15:                               ;   in Loop: Header=BB62_3 Depth=1
	s_lshl_b64 s[0:1], s[30:31], 2
	v_mov_b32_e32 v3, s1
	v_add_co_u32_e32 v4, vcc, s0, v6
	v_addc_co_u32_e32 v5, vcc, v7, v3, vcc
	global_store_dword v[4:5], v2, off
	s_branch .LBB62_2
.LBB62_16:                              ;   in Loop: Header=BB62_17 Depth=2
	s_or_b64 exec, exec, s[0:1]
	v_mad_u64_u32 v[16:17], s[0:1], v10, s40, 0
	s_load_dwordx2 s[0:1], s[38:39], 0x0
	s_add_u32 s38, s38, -8
	s_addc_u32 s39, s39, -1
	v_mul_lo_u32 v3, v11, s40
	v_mul_lo_u32 v15, v10, s41
	s_add_u32 s36, s36, -8
	v_add3_u32 v3, v17, v15, v3
	v_sub_co_u32_e32 v6, vcc, v6, v16
	s_addc_u32 s37, s37, -1
	v_subb_co_u32_e32 v3, vcc, v7, v3, vcc
	s_add_u32 s34, s34, -1
	s_waitcnt lgkmcnt(0)
	v_mul_lo_u32 v3, s0, v3
	v_mul_lo_u32 v7, s1, v6
	v_mad_u64_u32 v[8:9], s[0:1], s0, v6, v[8:9]
	s_addc_u32 s35, s35, -1
	v_cmp_lt_i64_e64 s[0:1], s[34:35], 1
	v_add3_u32 v9, v7, v9, v3
	s_and_b64 vcc, exec, s[0:1]
	v_pk_mov_b32 v[6:7], v[10:11], v[10:11] op_sel:[0,1]
	s_cbranch_vccnz .LBB62_13
.LBB62_17:                              ;   Parent Loop BB62_3 Depth=1
                                        ; =>  This Inner Loop Header: Depth=2
	s_load_dwordx2 s[40:41], s[36:37], 0x0
                                        ; implicit-def: $vgpr10_vgpr11
	s_waitcnt lgkmcnt(0)
	v_or_b32_e32 v3, s41, v7
	v_cmp_ne_u64_e32 vcc, 0, v[2:3]
	s_and_saveexec_b64 s[0:1], vcc
	s_xor_b64 s[42:43], exec, s[0:1]
	s_cbranch_execz .LBB62_19
; %bb.18:                               ;   in Loop: Header=BB62_17 Depth=2
	s_ashr_i32 s44, s41, 31
	s_add_u32 s0, s40, s44
	s_mov_b32 s45, s44
	s_addc_u32 s1, s41, s44
	s_xor_b64 s[46:47], s[0:1], s[44:45]
	v_cvt_f32_u32_e32 v3, s46
	v_cvt_f32_u32_e32 v10, s47
	s_sub_u32 s0, 0, s46
	s_subb_u32 s1, 0, s47
	v_mac_f32_e32 v3, 0x4f800000, v10
	v_rcp_f32_e32 v3, v3
	v_mul_f32_e32 v3, 0x5f7ffffc, v3
	v_mul_f32_e32 v10, 0x2f800000, v3
	v_trunc_f32_e32 v10, v10
	v_mac_f32_e32 v3, 0xcf800000, v10
	v_cvt_u32_f32_e32 v10, v10
	v_cvt_u32_f32_e32 v3, v3
	v_mul_lo_u32 v11, s0, v10
	v_mul_hi_u32 v16, s0, v3
	v_mul_lo_u32 v15, s1, v3
	v_add_u32_e32 v11, v16, v11
	v_mul_lo_u32 v17, s0, v3
	v_add_u32_e32 v11, v11, v15
	v_mul_lo_u32 v16, v3, v11
	v_mul_hi_u32 v18, v3, v17
	v_mul_hi_u32 v15, v3, v11
	v_add_co_u32_e32 v16, vcc, v18, v16
	v_addc_co_u32_e32 v15, vcc, 0, v15, vcc
	v_mul_hi_u32 v19, v10, v17
	v_mul_lo_u32 v17, v10, v17
	v_add_co_u32_e32 v16, vcc, v16, v17
	v_mul_hi_u32 v18, v10, v11
	v_addc_co_u32_e32 v15, vcc, v15, v19, vcc
	v_addc_co_u32_e32 v16, vcc, 0, v18, vcc
	v_mul_lo_u32 v11, v10, v11
	v_add_co_u32_e32 v11, vcc, v15, v11
	v_addc_co_u32_e32 v15, vcc, 0, v16, vcc
	v_add_co_u32_e32 v3, vcc, v3, v11
	v_addc_co_u32_e32 v10, vcc, v10, v15, vcc
	v_mul_lo_u32 v11, s0, v10
	v_mul_hi_u32 v15, s0, v3
	v_add_u32_e32 v11, v15, v11
	v_mul_lo_u32 v15, s1, v3
	v_add_u32_e32 v11, v11, v15
	v_mul_lo_u32 v16, s0, v3
	v_mul_hi_u32 v17, v10, v16
	v_mul_lo_u32 v18, v10, v16
	v_mul_lo_u32 v20, v3, v11
	v_mul_hi_u32 v16, v3, v16
	v_mul_hi_u32 v19, v3, v11
	v_add_co_u32_e32 v16, vcc, v16, v20
	v_addc_co_u32_e32 v19, vcc, 0, v19, vcc
	v_add_co_u32_e32 v16, vcc, v16, v18
	v_mul_hi_u32 v15, v10, v11
	v_addc_co_u32_e32 v16, vcc, v19, v17, vcc
	v_addc_co_u32_e32 v15, vcc, 0, v15, vcc
	v_mul_lo_u32 v11, v10, v11
	v_add_co_u32_e32 v11, vcc, v16, v11
	v_addc_co_u32_e32 v15, vcc, 0, v15, vcc
	v_add_co_u32_e32 v3, vcc, v3, v11
	v_addc_co_u32_e32 v15, vcc, v10, v15, vcc
	v_ashrrev_i32_e32 v18, 31, v7
	v_add_co_u32_e32 v10, vcc, v6, v18
	v_addc_co_u32_e32 v11, vcc, v7, v18, vcc
	v_xor_b32_e32 v20, v10, v18
	v_xor_b32_e32 v19, v11, v18
	v_mad_u64_u32 v[10:11], s[0:1], v20, v15, 0
	v_mul_hi_u32 v16, v20, v3
	v_add_co_u32_e32 v21, vcc, v16, v10
	v_addc_co_u32_e32 v22, vcc, 0, v11, vcc
	v_mad_u64_u32 v[16:17], s[0:1], v19, v3, 0
	v_add_co_u32_e32 v3, vcc, v21, v16
	v_mad_u64_u32 v[10:11], s[0:1], v19, v15, 0
	v_addc_co_u32_e32 v3, vcc, v22, v17, vcc
	v_addc_co_u32_e32 v11, vcc, 0, v11, vcc
	v_add_co_u32_e32 v3, vcc, v3, v10
	v_addc_co_u32_e32 v15, vcc, 0, v11, vcc
	v_mul_lo_u32 v16, s47, v3
	v_mul_lo_u32 v17, s46, v15
	v_mad_u64_u32 v[10:11], s[0:1], s46, v3, 0
	v_add3_u32 v11, v11, v17, v16
	v_sub_u32_e32 v16, v19, v11
	v_mov_b32_e32 v17, s47
	v_sub_co_u32_e32 v10, vcc, v20, v10
	v_subb_co_u32_e64 v16, s[0:1], v16, v17, vcc
	v_subrev_co_u32_e64 v17, s[0:1], s46, v10
	v_subbrev_co_u32_e64 v16, s[0:1], 0, v16, s[0:1]
	v_cmp_le_u32_e64 s[0:1], s47, v16
	v_cndmask_b32_e64 v20, 0, -1, s[0:1]
	v_cmp_le_u32_e64 s[0:1], s46, v17
	v_cndmask_b32_e64 v17, 0, -1, s[0:1]
	v_cmp_eq_u32_e64 s[0:1], s47, v16
	v_cndmask_b32_e64 v16, v20, v17, s[0:1]
	v_add_co_u32_e64 v17, s[0:1], 2, v3
	v_subb_co_u32_e32 v11, vcc, v19, v11, vcc
	v_addc_co_u32_e64 v20, s[0:1], 0, v15, s[0:1]
	v_cmp_le_u32_e32 vcc, s47, v11
	v_add_co_u32_e64 v21, s[0:1], 1, v3
	v_cndmask_b32_e64 v19, 0, -1, vcc
	v_cmp_le_u32_e32 vcc, s46, v10
	v_addc_co_u32_e64 v22, s[0:1], 0, v15, s[0:1]
	v_cndmask_b32_e64 v10, 0, -1, vcc
	v_cmp_eq_u32_e32 vcc, s47, v11
	v_cmp_ne_u32_e64 s[0:1], 0, v16
	v_cndmask_b32_e32 v10, v19, v10, vcc
	v_cmp_ne_u32_e32 vcc, 0, v10
	v_cndmask_b32_e64 v11, v21, v17, s[0:1]
	v_cndmask_b32_e64 v16, v22, v20, s[0:1]
	v_cndmask_b32_e32 v3, v3, v11, vcc
	v_xor_b32_e32 v11, s44, v18
	v_cndmask_b32_e32 v10, v15, v16, vcc
	v_xor_b32_e32 v3, v3, v11
	v_xor_b32_e32 v15, v10, v11
	v_sub_co_u32_e32 v10, vcc, v3, v11
	v_subb_co_u32_e32 v11, vcc, v15, v11, vcc
.LBB62_19:                              ;   in Loop: Header=BB62_17 Depth=2
	s_andn2_saveexec_b64 s[0:1], s[42:43]
	s_cbranch_execz .LBB62_16
; %bb.20:                               ;   in Loop: Header=BB62_17 Depth=2
	v_cvt_f32_u32_e32 v3, s40
	s_sub_i32 s42, 0, s40
	v_rcp_iflag_f32_e32 v3, v3
	v_mul_f32_e32 v3, 0x4f7ffffe, v3
	v_cvt_u32_f32_e32 v3, v3
	v_mul_lo_u32 v10, s42, v3
	v_mul_hi_u32 v10, v3, v10
	v_add_u32_e32 v3, v3, v10
	v_mul_hi_u32 v3, v6, v3
	v_mul_lo_u32 v10, v3, s40
	v_sub_u32_e32 v10, v6, v10
	v_add_u32_e32 v11, 1, v3
	v_subrev_u32_e32 v15, s40, v10
	v_cmp_le_u32_e32 vcc, s40, v10
	v_cndmask_b32_e32 v10, v10, v15, vcc
	v_cndmask_b32_e32 v3, v3, v11, vcc
	v_add_u32_e32 v11, 1, v3
	v_cmp_le_u32_e32 vcc, s40, v10
	v_cndmask_b32_e32 v10, v3, v11, vcc
	v_mov_b32_e32 v11, v2
	s_branch .LBB62_16
.LBB62_21:
	s_endpgm
	.section	.rodata,"a",@progbits
	.p2align	6, 0x0
	.amdhsa_kernel _ZN2at6native16triu_tril_kernelIilLb1ELi2ELb1EEEvNS_4cuda6detail10TensorInfoIT_T0_EENS4_IKS5_S6_EEllS6_
		.amdhsa_group_segment_fixed_size 0
		.amdhsa_private_segment_fixed_size 0
		.amdhsa_kernarg_size 1112
		.amdhsa_user_sgpr_count 6
		.amdhsa_user_sgpr_private_segment_buffer 1
		.amdhsa_user_sgpr_dispatch_ptr 0
		.amdhsa_user_sgpr_queue_ptr 0
		.amdhsa_user_sgpr_kernarg_segment_ptr 1
		.amdhsa_user_sgpr_dispatch_id 0
		.amdhsa_user_sgpr_flat_scratch_init 0
		.amdhsa_user_sgpr_kernarg_preload_length 0
		.amdhsa_user_sgpr_kernarg_preload_offset 0
		.amdhsa_user_sgpr_private_segment_size 0
		.amdhsa_uses_dynamic_stack 0
		.amdhsa_system_sgpr_private_segment_wavefront_offset 0
		.amdhsa_system_sgpr_workgroup_id_x 1
		.amdhsa_system_sgpr_workgroup_id_y 0
		.amdhsa_system_sgpr_workgroup_id_z 0
		.amdhsa_system_sgpr_workgroup_info 0
		.amdhsa_system_vgpr_workitem_id 0
		.amdhsa_next_free_vgpr 23
		.amdhsa_next_free_sgpr 49
		.amdhsa_accum_offset 24
		.amdhsa_reserve_vcc 1
		.amdhsa_reserve_flat_scratch 0
		.amdhsa_float_round_mode_32 0
		.amdhsa_float_round_mode_16_64 0
		.amdhsa_float_denorm_mode_32 3
		.amdhsa_float_denorm_mode_16_64 3
		.amdhsa_dx10_clamp 1
		.amdhsa_ieee_mode 1
		.amdhsa_fp16_overflow 0
		.amdhsa_tg_split 0
		.amdhsa_exception_fp_ieee_invalid_op 0
		.amdhsa_exception_fp_denorm_src 0
		.amdhsa_exception_fp_ieee_div_zero 0
		.amdhsa_exception_fp_ieee_overflow 0
		.amdhsa_exception_fp_ieee_underflow 0
		.amdhsa_exception_fp_ieee_inexact 0
		.amdhsa_exception_int_div_zero 0
	.end_amdhsa_kernel
	.section	.text._ZN2at6native16triu_tril_kernelIilLb1ELi2ELb1EEEvNS_4cuda6detail10TensorInfoIT_T0_EENS4_IKS5_S6_EEllS6_,"axG",@progbits,_ZN2at6native16triu_tril_kernelIilLb1ELi2ELb1EEEvNS_4cuda6detail10TensorInfoIT_T0_EENS4_IKS5_S6_EEllS6_,comdat
.Lfunc_end62:
	.size	_ZN2at6native16triu_tril_kernelIilLb1ELi2ELb1EEEvNS_4cuda6detail10TensorInfoIT_T0_EENS4_IKS5_S6_EEllS6_, .Lfunc_end62-_ZN2at6native16triu_tril_kernelIilLb1ELi2ELb1EEEvNS_4cuda6detail10TensorInfoIT_T0_EENS4_IKS5_S6_EEllS6_
                                        ; -- End function
	.section	.AMDGPU.csdata,"",@progbits
; Kernel info:
; codeLenInByte = 3188
; NumSgprs: 53
; NumVgprs: 23
; NumAgprs: 0
; TotalNumVgprs: 23
; ScratchSize: 0
; MemoryBound: 0
; FloatMode: 240
; IeeeMode: 1
; LDSByteSize: 0 bytes/workgroup (compile time only)
; SGPRBlocks: 6
; VGPRBlocks: 2
; NumSGPRsForWavesPerEU: 53
; NumVGPRsForWavesPerEU: 23
; AccumOffset: 24
; Occupancy: 8
; WaveLimiterHint : 0
; COMPUTE_PGM_RSRC2:SCRATCH_EN: 0
; COMPUTE_PGM_RSRC2:USER_SGPR: 6
; COMPUTE_PGM_RSRC2:TRAP_HANDLER: 0
; COMPUTE_PGM_RSRC2:TGID_X_EN: 1
; COMPUTE_PGM_RSRC2:TGID_Y_EN: 0
; COMPUTE_PGM_RSRC2:TGID_Z_EN: 0
; COMPUTE_PGM_RSRC2:TIDIG_COMP_CNT: 0
; COMPUTE_PGM_RSRC3_GFX90A:ACCUM_OFFSET: 5
; COMPUTE_PGM_RSRC3_GFX90A:TG_SPLIT: 0
	.section	.text._ZN2at6native16triu_tril_kernelIilLb1ELi2ELb0EEEvNS_4cuda6detail10TensorInfoIT_T0_EENS4_IKS5_S6_EEllS6_,"axG",@progbits,_ZN2at6native16triu_tril_kernelIilLb1ELi2ELb0EEEvNS_4cuda6detail10TensorInfoIT_T0_EENS4_IKS5_S6_EEllS6_,comdat
	.protected	_ZN2at6native16triu_tril_kernelIilLb1ELi2ELb0EEEvNS_4cuda6detail10TensorInfoIT_T0_EENS4_IKS5_S6_EEllS6_ ; -- Begin function _ZN2at6native16triu_tril_kernelIilLb1ELi2ELb0EEEvNS_4cuda6detail10TensorInfoIT_T0_EENS4_IKS5_S6_EEllS6_
	.globl	_ZN2at6native16triu_tril_kernelIilLb1ELi2ELb0EEEvNS_4cuda6detail10TensorInfoIT_T0_EENS4_IKS5_S6_EEllS6_
	.p2align	8
	.type	_ZN2at6native16triu_tril_kernelIilLb1ELi2ELb0EEEvNS_4cuda6detail10TensorInfoIT_T0_EENS4_IKS5_S6_EEllS6_,@function
_ZN2at6native16triu_tril_kernelIilLb1ELi2ELb0EEEvNS_4cuda6detail10TensorInfoIT_T0_EENS4_IKS5_S6_EEllS6_: ; @_ZN2at6native16triu_tril_kernelIilLb1ELi2ELb0EEEvNS_4cuda6detail10TensorInfoIT_T0_EENS4_IKS5_S6_EEllS6_
; %bb.0:
	s_load_dword s2, s[4:5], 0x364
	s_load_dwordx4 s[8:11], s[4:5], 0x340
	s_add_u32 s0, s4, 0x358
	v_mov_b32_e32 v2, 0
	s_addc_u32 s1, s5, 0
	s_waitcnt lgkmcnt(0)
	s_and_b32 s7, s2, 0xffff
	v_mov_b32_e32 v1, v2
	v_mov_b32_e32 v3, s6
	v_mad_u64_u32 v[0:1], s[2:3], s7, v3, v[0:1]
	v_lshlrev_b64 v[0:1], 1, v[0:1]
	v_cmp_gt_i64_e32 vcc, s[10:11], v[0:1]
	s_and_saveexec_b64 s[2:3], vcc
	s_cbranch_execz .LBB63_26
; %bb.1:
	s_load_dword s6, s[0:1], 0x0
	s_load_dwordx2 s[2:3], s[4:5], 0x350
	s_load_dword s26, s[4:5], 0x338
	s_add_u32 s12, s4, 0x1a0
	s_addc_u32 s13, s5, 0
	s_waitcnt lgkmcnt(0)
	s_mul_i32 s28, s6, s7
	v_cvt_f32_u32_e32 v3, s2
	s_ashr_i32 s27, s26, 31
	s_add_u32 s30, s4, 0x1a8
	s_addc_u32 s31, s5, 0
	s_lshl_b64 s[0:1], s[26:27], 3
	s_add_u32 s22, s0, -16
	s_addc_u32 s23, s1, -1
	s_add_u32 s0, s30, s22
	s_addc_u32 s1, s31, s23
	s_add_u32 s20, s12, s22
	s_addc_u32 s21, s13, s23
	v_cmp_gt_i64_e64 s[24:25], s[26:27], 2
	s_add_u32 s27, s4, 0xd0
	s_addc_u32 s34, s5, 0
	s_load_dwordx4 s[12:15], s[0:1], 0x0
	s_load_dwordx4 s[16:19], s[20:21], 0xd0
	s_add_u32 s0, s27, s22
	s_addc_u32 s1, s34, s23
	s_load_dwordx2 s[6:7], s[4:5], 0x1a0
	s_load_dwordx4 s[20:23], s[0:1], 0x0
	v_rcp_iflag_f32_e32 v3, v3
	s_load_dwordx2 s[4:5], s[4:5], 0x0
	s_add_i32 s0, s26, -3
	s_ashr_i32 s1, s0, 31
	s_lshl_b32 s33, s28, 1
	s_lshl_b64 s[28:29], s[0:1], 3
	s_add_u32 s26, s27, s28
	s_addc_u32 s27, s34, s29
	v_mul_f32_e32 v3, 0x4f7ffffe, v3
	s_add_u32 s28, s30, s28
	v_cvt_u32_f32_e32 v14, v3
	s_addc_u32 s29, s31, s29
	s_add_u32 s30, s0, 1
	s_mov_b32 s50, 0
	s_addc_u32 s31, s1, 0
	s_mov_b64 s[34:35], 0
	s_branch .LBB63_3
.LBB63_2:                               ;   in Loop: Header=BB63_3 Depth=1
	s_or_b64 exec, exec, s[0:1]
	v_mov_b32_e32 v3, s50
	v_add_co_u32_e32 v0, vcc, s33, v0
	v_addc_co_u32_e32 v1, vcc, v1, v3, vcc
	v_cmp_le_i64_e32 vcc, s[10:11], v[0:1]
	s_or_b64 s[34:35], vcc, s[34:35]
	s_andn2_b64 exec, exec, s[34:35]
	s_cbranch_execz .LBB63_26
.LBB63_3:                               ; =>This Loop Header: Depth=1
                                        ;     Child Loop BB63_22 Depth 2
	v_or_b32_e32 v3, s3, v1
	v_cmp_ne_u64_e32 vcc, 0, v[2:3]
                                        ; implicit-def: $vgpr6_vgpr7
	s_and_saveexec_b64 s[0:1], vcc
	s_xor_b64 s[36:37], exec, s[0:1]
	s_cbranch_execz .LBB63_5
; %bb.4:                                ;   in Loop: Header=BB63_3 Depth=1
	s_ashr_i32 s38, s3, 31
	s_add_u32 s0, s2, s38
	s_mov_b32 s39, s38
	s_addc_u32 s1, s3, s38
	s_xor_b64 s[40:41], s[0:1], s[38:39]
	v_cvt_f32_u32_e32 v3, s40
	v_cvt_f32_u32_e32 v4, s41
	s_sub_u32 s0, 0, s40
	s_subb_u32 s1, 0, s41
	v_mac_f32_e32 v3, 0x4f800000, v4
	v_rcp_f32_e32 v3, v3
	v_mul_f32_e32 v3, 0x5f7ffffc, v3
	v_mul_f32_e32 v4, 0x2f800000, v3
	v_trunc_f32_e32 v4, v4
	v_mac_f32_e32 v3, 0xcf800000, v4
	v_cvt_u32_f32_e32 v4, v4
	v_cvt_u32_f32_e32 v3, v3
	v_mul_lo_u32 v5, s0, v4
	v_mul_hi_u32 v7, s0, v3
	v_mul_lo_u32 v6, s1, v3
	v_add_u32_e32 v5, v7, v5
	v_mul_lo_u32 v8, s0, v3
	v_add_u32_e32 v5, v5, v6
	v_mul_lo_u32 v7, v3, v5
	v_mul_hi_u32 v9, v3, v8
	v_mul_hi_u32 v6, v3, v5
	v_add_co_u32_e32 v7, vcc, v9, v7
	v_addc_co_u32_e32 v6, vcc, 0, v6, vcc
	v_mul_hi_u32 v10, v4, v8
	v_mul_lo_u32 v8, v4, v8
	v_add_co_u32_e32 v7, vcc, v7, v8
	v_mul_hi_u32 v9, v4, v5
	v_addc_co_u32_e32 v6, vcc, v6, v10, vcc
	v_addc_co_u32_e32 v7, vcc, 0, v9, vcc
	v_mul_lo_u32 v5, v4, v5
	v_add_co_u32_e32 v5, vcc, v6, v5
	v_addc_co_u32_e32 v6, vcc, 0, v7, vcc
	v_add_co_u32_e32 v3, vcc, v3, v5
	v_addc_co_u32_e32 v4, vcc, v4, v6, vcc
	v_mul_lo_u32 v5, s0, v4
	v_mul_hi_u32 v6, s0, v3
	v_add_u32_e32 v5, v6, v5
	v_mul_lo_u32 v6, s1, v3
	v_add_u32_e32 v5, v5, v6
	v_mul_lo_u32 v7, s0, v3
	v_mul_hi_u32 v8, v4, v7
	v_mul_lo_u32 v9, v4, v7
	v_mul_lo_u32 v11, v3, v5
	v_mul_hi_u32 v7, v3, v7
	v_mul_hi_u32 v10, v3, v5
	v_add_co_u32_e32 v7, vcc, v7, v11
	v_addc_co_u32_e32 v10, vcc, 0, v10, vcc
	v_add_co_u32_e32 v7, vcc, v7, v9
	v_mul_hi_u32 v6, v4, v5
	v_addc_co_u32_e32 v7, vcc, v10, v8, vcc
	v_addc_co_u32_e32 v6, vcc, 0, v6, vcc
	v_mul_lo_u32 v5, v4, v5
	v_add_co_u32_e32 v5, vcc, v7, v5
	v_addc_co_u32_e32 v6, vcc, 0, v6, vcc
	v_add_co_u32_e32 v3, vcc, v3, v5
	v_addc_co_u32_e32 v6, vcc, v4, v6, vcc
	v_ashrrev_i32_e32 v8, 31, v1
	v_add_co_u32_e32 v4, vcc, v0, v8
	v_addc_co_u32_e32 v5, vcc, v1, v8, vcc
	v_xor_b32_e32 v10, v4, v8
	v_xor_b32_e32 v9, v5, v8
	v_mad_u64_u32 v[4:5], s[0:1], v10, v6, 0
	v_mul_hi_u32 v7, v10, v3
	v_add_co_u32_e32 v11, vcc, v7, v4
	v_addc_co_u32_e32 v12, vcc, 0, v5, vcc
	v_mad_u64_u32 v[4:5], s[0:1], v9, v6, 0
	v_mad_u64_u32 v[6:7], s[0:1], v9, v3, 0
	v_add_co_u32_e32 v3, vcc, v11, v6
	v_addc_co_u32_e32 v3, vcc, v12, v7, vcc
	v_addc_co_u32_e32 v5, vcc, 0, v5, vcc
	v_add_co_u32_e32 v3, vcc, v3, v4
	v_addc_co_u32_e32 v6, vcc, 0, v5, vcc
	v_mul_lo_u32 v7, s41, v3
	v_mul_lo_u32 v11, s40, v6
	v_mad_u64_u32 v[4:5], s[0:1], s40, v3, 0
	v_add3_u32 v5, v5, v11, v7
	v_sub_u32_e32 v7, v9, v5
	v_mov_b32_e32 v11, s41
	v_sub_co_u32_e32 v4, vcc, v10, v4
	v_subb_co_u32_e64 v7, s[0:1], v7, v11, vcc
	v_subrev_co_u32_e64 v10, s[0:1], s40, v4
	v_subbrev_co_u32_e64 v7, s[0:1], 0, v7, s[0:1]
	v_cmp_le_u32_e64 s[0:1], s41, v7
	v_cndmask_b32_e64 v11, 0, -1, s[0:1]
	v_cmp_le_u32_e64 s[0:1], s40, v10
	v_cndmask_b32_e64 v10, 0, -1, s[0:1]
	v_cmp_eq_u32_e64 s[0:1], s41, v7
	v_cndmask_b32_e64 v7, v11, v10, s[0:1]
	v_add_co_u32_e64 v10, s[0:1], 2, v3
	v_subb_co_u32_e32 v5, vcc, v9, v5, vcc
	v_addc_co_u32_e64 v11, s[0:1], 0, v6, s[0:1]
	v_cmp_le_u32_e32 vcc, s41, v5
	v_add_co_u32_e64 v12, s[0:1], 1, v3
	v_cndmask_b32_e64 v9, 0, -1, vcc
	v_cmp_le_u32_e32 vcc, s40, v4
	v_addc_co_u32_e64 v13, s[0:1], 0, v6, s[0:1]
	v_cndmask_b32_e64 v4, 0, -1, vcc
	v_cmp_eq_u32_e32 vcc, s41, v5
	v_cmp_ne_u32_e64 s[0:1], 0, v7
	v_cndmask_b32_e32 v4, v9, v4, vcc
	v_cmp_ne_u32_e32 vcc, 0, v4
	v_cndmask_b32_e64 v5, v12, v10, s[0:1]
	v_cndmask_b32_e64 v7, v13, v11, s[0:1]
	v_cndmask_b32_e32 v3, v3, v5, vcc
	v_xor_b32_e32 v5, s38, v8
	v_cndmask_b32_e32 v4, v6, v7, vcc
	v_xor_b32_e32 v3, v3, v5
	v_xor_b32_e32 v4, v4, v5
	v_sub_co_u32_e32 v6, vcc, v3, v5
	v_subb_co_u32_e32 v7, vcc, v4, v5, vcc
.LBB63_5:                               ;   in Loop: Header=BB63_3 Depth=1
	s_andn2_saveexec_b64 s[0:1], s[36:37]
	s_cbranch_execz .LBB63_7
; %bb.6:                                ;   in Loop: Header=BB63_3 Depth=1
	s_sub_i32 s36, 0, s2
	v_mul_lo_u32 v3, s36, v14
	v_mul_hi_u32 v3, v14, v3
	v_add_u32_e32 v3, v14, v3
	v_mul_hi_u32 v3, v0, v3
	v_mul_lo_u32 v4, v3, s2
	v_sub_u32_e32 v4, v0, v4
	v_subrev_u32_e32 v5, s2, v4
	v_cmp_le_u32_e32 vcc, s2, v4
	v_cndmask_b32_e32 v4, v4, v5, vcc
	v_add_u32_e32 v5, 1, v3
	v_cndmask_b32_e32 v3, v3, v5, vcc
	v_add_u32_e32 v5, 1, v3
	v_cmp_le_u32_e32 vcc, s2, v4
	v_cndmask_b32_e32 v6, v3, v5, vcc
	v_mov_b32_e32 v7, v2
.LBB63_7:                               ;   in Loop: Header=BB63_3 Depth=1
	s_or_b64 exec, exec, s[0:1]
	s_waitcnt lgkmcnt(0)
	v_or_b32_e32 v3, s13, v7
	v_cmp_ne_u64_e32 vcc, 0, v[2:3]
                                        ; implicit-def: $vgpr10_vgpr11
	s_and_saveexec_b64 s[0:1], vcc
	s_xor_b64 s[36:37], exec, s[0:1]
	s_cbranch_execz .LBB63_9
; %bb.8:                                ;   in Loop: Header=BB63_3 Depth=1
	s_ashr_i32 s38, s13, 31
	s_add_u32 s0, s12, s38
	s_mov_b32 s39, s38
	s_addc_u32 s1, s13, s38
	s_xor_b64 s[40:41], s[0:1], s[38:39]
	v_cvt_f32_u32_e32 v3, s40
	v_cvt_f32_u32_e32 v4, s41
	s_sub_u32 s0, 0, s40
	s_subb_u32 s1, 0, s41
	v_mac_f32_e32 v3, 0x4f800000, v4
	v_rcp_f32_e32 v3, v3
	v_mul_f32_e32 v3, 0x5f7ffffc, v3
	v_mul_f32_e32 v4, 0x2f800000, v3
	v_trunc_f32_e32 v4, v4
	v_mac_f32_e32 v3, 0xcf800000, v4
	v_cvt_u32_f32_e32 v4, v4
	v_cvt_u32_f32_e32 v3, v3
	v_mul_lo_u32 v5, s0, v4
	v_mul_hi_u32 v9, s0, v3
	v_mul_lo_u32 v8, s1, v3
	v_add_u32_e32 v5, v9, v5
	v_mul_lo_u32 v10, s0, v3
	v_add_u32_e32 v5, v5, v8
	v_mul_lo_u32 v9, v3, v5
	v_mul_hi_u32 v11, v3, v10
	v_mul_hi_u32 v8, v3, v5
	v_add_co_u32_e32 v9, vcc, v11, v9
	v_addc_co_u32_e32 v8, vcc, 0, v8, vcc
	v_mul_hi_u32 v12, v4, v10
	v_mul_lo_u32 v10, v4, v10
	v_add_co_u32_e32 v9, vcc, v9, v10
	v_mul_hi_u32 v11, v4, v5
	v_addc_co_u32_e32 v8, vcc, v8, v12, vcc
	v_addc_co_u32_e32 v9, vcc, 0, v11, vcc
	v_mul_lo_u32 v5, v4, v5
	v_add_co_u32_e32 v5, vcc, v8, v5
	v_addc_co_u32_e32 v8, vcc, 0, v9, vcc
	v_add_co_u32_e32 v3, vcc, v3, v5
	v_addc_co_u32_e32 v4, vcc, v4, v8, vcc
	v_mul_lo_u32 v5, s0, v4
	v_mul_hi_u32 v8, s0, v3
	v_add_u32_e32 v5, v8, v5
	v_mul_lo_u32 v8, s1, v3
	v_add_u32_e32 v5, v5, v8
	v_mul_lo_u32 v9, s0, v3
	v_mul_hi_u32 v10, v4, v9
	v_mul_lo_u32 v11, v4, v9
	v_mul_lo_u32 v13, v3, v5
	v_mul_hi_u32 v9, v3, v9
	v_mul_hi_u32 v12, v3, v5
	v_add_co_u32_e32 v9, vcc, v9, v13
	v_addc_co_u32_e32 v12, vcc, 0, v12, vcc
	v_add_co_u32_e32 v9, vcc, v9, v11
	v_mul_hi_u32 v8, v4, v5
	v_addc_co_u32_e32 v9, vcc, v12, v10, vcc
	v_addc_co_u32_e32 v8, vcc, 0, v8, vcc
	v_mul_lo_u32 v5, v4, v5
	v_add_co_u32_e32 v5, vcc, v9, v5
	v_addc_co_u32_e32 v8, vcc, 0, v8, vcc
	v_add_co_u32_e32 v3, vcc, v3, v5
	v_addc_co_u32_e32 v8, vcc, v4, v8, vcc
	v_ashrrev_i32_e32 v10, 31, v7
	v_add_co_u32_e32 v4, vcc, v6, v10
	v_addc_co_u32_e32 v5, vcc, v7, v10, vcc
	v_xor_b32_e32 v12, v4, v10
	v_xor_b32_e32 v11, v5, v10
	v_mad_u64_u32 v[4:5], s[0:1], v12, v8, 0
	v_mul_hi_u32 v9, v12, v3
	v_add_co_u32_e32 v13, vcc, v9, v4
	v_addc_co_u32_e32 v15, vcc, 0, v5, vcc
	v_mad_u64_u32 v[4:5], s[0:1], v11, v8, 0
	v_mad_u64_u32 v[8:9], s[0:1], v11, v3, 0
	v_add_co_u32_e32 v3, vcc, v13, v8
	v_addc_co_u32_e32 v3, vcc, v15, v9, vcc
	v_addc_co_u32_e32 v5, vcc, 0, v5, vcc
	v_add_co_u32_e32 v3, vcc, v3, v4
	v_addc_co_u32_e32 v8, vcc, 0, v5, vcc
	v_mul_lo_u32 v9, s41, v3
	v_mul_lo_u32 v13, s40, v8
	v_mad_u64_u32 v[4:5], s[0:1], s40, v3, 0
	v_add3_u32 v5, v5, v13, v9
	v_sub_u32_e32 v9, v11, v5
	v_mov_b32_e32 v13, s41
	v_sub_co_u32_e32 v4, vcc, v12, v4
	v_subb_co_u32_e64 v9, s[0:1], v9, v13, vcc
	v_subrev_co_u32_e64 v12, s[0:1], s40, v4
	v_subbrev_co_u32_e64 v9, s[0:1], 0, v9, s[0:1]
	v_cmp_le_u32_e64 s[0:1], s41, v9
	v_cndmask_b32_e64 v13, 0, -1, s[0:1]
	v_cmp_le_u32_e64 s[0:1], s40, v12
	v_cndmask_b32_e64 v12, 0, -1, s[0:1]
	v_cmp_eq_u32_e64 s[0:1], s41, v9
	v_cndmask_b32_e64 v9, v13, v12, s[0:1]
	v_add_co_u32_e64 v12, s[0:1], 2, v3
	v_subb_co_u32_e32 v5, vcc, v11, v5, vcc
	v_addc_co_u32_e64 v13, s[0:1], 0, v8, s[0:1]
	v_cmp_le_u32_e32 vcc, s41, v5
	v_add_co_u32_e64 v15, s[0:1], 1, v3
	v_cndmask_b32_e64 v11, 0, -1, vcc
	v_cmp_le_u32_e32 vcc, s40, v4
	v_addc_co_u32_e64 v16, s[0:1], 0, v8, s[0:1]
	v_cndmask_b32_e64 v4, 0, -1, vcc
	v_cmp_eq_u32_e32 vcc, s41, v5
	v_cmp_ne_u32_e64 s[0:1], 0, v9
	v_cndmask_b32_e32 v4, v11, v4, vcc
	v_cmp_ne_u32_e32 vcc, 0, v4
	v_cndmask_b32_e64 v5, v15, v12, s[0:1]
	v_cndmask_b32_e64 v9, v16, v13, s[0:1]
	v_cndmask_b32_e32 v3, v3, v5, vcc
	v_xor_b32_e32 v5, s38, v10
	v_cndmask_b32_e32 v4, v8, v9, vcc
	v_xor_b32_e32 v3, v3, v5
	v_xor_b32_e32 v4, v4, v5
	v_sub_co_u32_e32 v10, vcc, v3, v5
	v_subb_co_u32_e32 v11, vcc, v4, v5, vcc
.LBB63_9:                               ;   in Loop: Header=BB63_3 Depth=1
	s_andn2_saveexec_b64 s[0:1], s[36:37]
	s_cbranch_execz .LBB63_11
; %bb.10:                               ;   in Loop: Header=BB63_3 Depth=1
	v_cvt_f32_u32_e32 v3, s12
	s_sub_i32 s36, 0, s12
	v_mov_b32_e32 v11, v2
	v_rcp_iflag_f32_e32 v3, v3
	v_mul_f32_e32 v3, 0x4f7ffffe, v3
	v_cvt_u32_f32_e32 v3, v3
	v_mul_lo_u32 v4, s36, v3
	v_mul_hi_u32 v4, v3, v4
	v_add_u32_e32 v3, v3, v4
	v_mul_hi_u32 v3, v6, v3
	v_mul_lo_u32 v4, v3, s12
	v_sub_u32_e32 v4, v6, v4
	v_add_u32_e32 v5, 1, v3
	v_subrev_u32_e32 v8, s12, v4
	v_cmp_le_u32_e32 vcc, s12, v4
	v_cndmask_b32_e32 v4, v4, v8, vcc
	v_cndmask_b32_e32 v3, v3, v5, vcc
	v_add_u32_e32 v5, 1, v3
	v_cmp_le_u32_e32 vcc, s12, v4
	v_cndmask_b32_e32 v10, v3, v5, vcc
.LBB63_11:                              ;   in Loop: Header=BB63_3 Depth=1
	s_or_b64 exec, exec, s[0:1]
	v_mul_lo_u32 v3, v7, s2
	v_mul_lo_u32 v8, v6, s3
	v_mad_u64_u32 v[4:5], s[0:1], v6, s2, 0
	v_add3_u32 v3, v5, v8, v3
	v_sub_co_u32_e32 v4, vcc, v0, v4
	v_subb_co_u32_e32 v5, vcc, v1, v3, vcc
	v_mul_lo_u32 v3, v11, s12
	v_mul_lo_u32 v12, v10, s13
	v_mad_u64_u32 v[8:9], s[0:1], v10, s12, 0
	v_add3_u32 v3, v9, v12, v3
	v_sub_co_u32_e32 v15, vcc, v6, v8
	v_subb_co_u32_e32 v16, vcc, v7, v3, vcc
	v_mul_lo_u32 v3, s19, v4
	v_mul_lo_u32 v8, s18, v5
	v_mad_u64_u32 v[6:7], s[0:1], s18, v4, 0
	v_add3_u32 v7, v7, v8, v3
	v_mul_lo_u32 v3, s23, v4
	v_mul_lo_u32 v8, s22, v5
	v_mad_u64_u32 v[12:13], s[0:1], s22, v4, 0
	v_add3_u32 v13, v13, v8, v3
	v_mad_u64_u32 v[8:9], s[0:1], s16, v15, v[6:7]
	v_mul_lo_u32 v3, s16, v16
	v_mul_lo_u32 v6, s17, v15
	v_add3_u32 v9, v6, v9, v3
	v_mad_u64_u32 v[6:7], s[0:1], s20, v15, v[12:13]
	v_mul_lo_u32 v3, s20, v16
	v_mul_lo_u32 v12, s21, v15
	v_add3_u32 v7, v12, v7, v3
	s_and_b64 vcc, exec, s[24:25]
	s_mov_b64 s[36:37], s[30:31]
	s_mov_b64 s[38:39], s[28:29]
	;; [unrolled: 1-line block ×3, first 2 shown]
	s_cbranch_vccnz .LBB63_22
.LBB63_12:                              ;   in Loop: Header=BB63_3 Depth=1
	v_sub_co_u32_e32 v10, vcc, v4, v15
	v_subb_co_u32_e32 v11, vcc, v5, v16, vcc
	v_add_co_u32_e32 v12, vcc, 2, v10
	v_addc_co_u32_e32 v13, vcc, 0, v11, vcc
	v_cmp_le_i64_e32 vcc, s[8:9], v[12:13]
	v_mov_b32_e32 v3, 0
	v_mov_b32_e32 v12, 0
	s_and_saveexec_b64 s[0:1], vcc
	s_cbranch_execz .LBB63_18
; %bb.13:                               ;   in Loop: Header=BB63_3 Depth=1
	v_cmp_gt_i64_e32 vcc, s[14:15], v[4:5]
	v_mov_b32_e32 v3, 0
	v_mov_b32_e32 v13, 0
	s_and_saveexec_b64 s[36:37], vcc
	s_cbranch_execz .LBB63_17
; %bb.14:                               ;   in Loop: Header=BB63_3 Depth=1
	v_lshlrev_b64 v[8:9], 2, v[8:9]
	v_mov_b32_e32 v3, s7
	v_add_co_u32_e32 v8, vcc, s6, v8
	v_addc_co_u32_e32 v9, vcc, v3, v9, vcc
	global_load_dword v3, v[8:9], off
	v_add_co_u32_e32 v12, vcc, 1, v4
	v_addc_co_u32_e32 v13, vcc, 0, v5, vcc
	v_cmp_gt_i64_e32 vcc, s[14:15], v[12:13]
	v_mov_b32_e32 v13, 0
	s_and_saveexec_b64 s[38:39], vcc
	s_xor_b64 s[38:39], exec, s[38:39]
	s_cbranch_execz .LBB63_16
; %bb.15:                               ;   in Loop: Header=BB63_3 Depth=1
	s_lshl_b64 s[40:41], s[18:19], 2
	v_mov_b32_e32 v12, s41
	v_add_co_u32_e32 v8, vcc, s40, v8
	v_addc_co_u32_e32 v9, vcc, v9, v12, vcc
	global_load_dword v13, v[8:9], off
.LBB63_16:                              ;   in Loop: Header=BB63_3 Depth=1
	s_or_b64 exec, exec, s[38:39]
.LBB63_17:                              ;   in Loop: Header=BB63_3 Depth=1
	s_or_b64 exec, exec, s[36:37]
	v_cmp_le_i64_e32 vcc, s[8:9], v[10:11]
	s_waitcnt vmcnt(0)
	v_cndmask_b32_e32 v12, 0, v3, vcc
	v_add_co_u32_e32 v8, vcc, 1, v10
	v_addc_co_u32_e32 v9, vcc, 0, v11, vcc
	v_cmp_le_i64_e32 vcc, s[8:9], v[8:9]
	v_cndmask_b32_e32 v3, 0, v13, vcc
.LBB63_18:                              ;   in Loop: Header=BB63_3 Depth=1
	s_or_b64 exec, exec, s[0:1]
	v_cmp_gt_i64_e32 vcc, s[14:15], v[4:5]
	s_and_saveexec_b64 s[0:1], vcc
	s_cbranch_execz .LBB63_2
; %bb.19:                               ;   in Loop: Header=BB63_3 Depth=1
	v_lshlrev_b64 v[6:7], 2, v[6:7]
	v_mov_b32_e32 v8, s5
	v_add_co_u32_e32 v6, vcc, s4, v6
	v_addc_co_u32_e32 v7, vcc, v8, v7, vcc
	v_add_co_u32_e32 v4, vcc, 1, v4
	v_addc_co_u32_e32 v5, vcc, 0, v5, vcc
	v_cmp_gt_i64_e32 vcc, s[14:15], v[4:5]
	global_store_dword v[6:7], v12, off
	s_and_saveexec_b64 s[36:37], vcc
	s_xor_b64 s[36:37], exec, s[36:37]
	s_cbranch_execz .LBB63_2
; %bb.20:                               ;   in Loop: Header=BB63_3 Depth=1
	s_lshl_b64 s[36:37], s[22:23], 2
	v_mov_b32_e32 v5, s37
	v_add_co_u32_e32 v4, vcc, s36, v6
	v_addc_co_u32_e32 v5, vcc, v7, v5, vcc
	global_store_dword v[4:5], v3, off
	s_branch .LBB63_2
.LBB63_21:                              ;   in Loop: Header=BB63_22 Depth=2
	s_or_b64 exec, exec, s[0:1]
	v_mad_u64_u32 v[18:19], s[0:1], v12, s42, 0
	v_mul_lo_u32 v3, v13, s42
	v_mul_lo_u32 v17, v12, s43
	s_load_dwordx2 s[0:1], s[38:39], 0xc8
	s_load_dwordx2 s[42:43], s[40:41], 0x0
	s_add_u32 s40, s40, -8
	s_addc_u32 s41, s41, -1
	s_add_u32 s38, s38, -8
	v_add3_u32 v3, v19, v17, v3
	v_sub_co_u32_e32 v10, vcc, v10, v18
	s_addc_u32 s39, s39, -1
	v_subb_co_u32_e32 v3, vcc, v11, v3, vcc
	s_add_u32 s36, s36, -1
	s_waitcnt lgkmcnt(0)
	v_mul_lo_u32 v11, s0, v3
	v_mul_lo_u32 v17, s1, v10
	v_mad_u64_u32 v[8:9], s[0:1], s0, v10, v[8:9]
	v_mad_u64_u32 v[6:7], s[0:1], s42, v10, v[6:7]
	s_addc_u32 s37, s37, -1
	v_add3_u32 v9, v17, v9, v11
	v_mul_lo_u32 v3, s42, v3
	v_mul_lo_u32 v11, s43, v10
	v_cmp_lt_i64_e64 s[0:1], s[36:37], 1
	v_add3_u32 v7, v11, v7, v3
	s_and_b64 vcc, exec, s[0:1]
	v_pk_mov_b32 v[10:11], v[12:13], v[12:13] op_sel:[0,1]
	s_cbranch_vccnz .LBB63_12
.LBB63_22:                              ;   Parent Loop BB63_3 Depth=1
                                        ; =>  This Inner Loop Header: Depth=2
	s_load_dwordx2 s[42:43], s[38:39], 0x0
                                        ; implicit-def: $vgpr12_vgpr13
	s_waitcnt lgkmcnt(0)
	v_or_b32_e32 v3, s43, v11
	v_cmp_ne_u64_e32 vcc, 0, v[2:3]
	s_and_saveexec_b64 s[0:1], vcc
	s_xor_b64 s[44:45], exec, s[0:1]
	s_cbranch_execz .LBB63_24
; %bb.23:                               ;   in Loop: Header=BB63_22 Depth=2
	s_ashr_i32 s46, s43, 31
	s_add_u32 s0, s42, s46
	s_mov_b32 s47, s46
	s_addc_u32 s1, s43, s46
	s_xor_b64 s[48:49], s[0:1], s[46:47]
	v_cvt_f32_u32_e32 v3, s48
	v_cvt_f32_u32_e32 v12, s49
	s_sub_u32 s0, 0, s48
	s_subb_u32 s1, 0, s49
	v_mac_f32_e32 v3, 0x4f800000, v12
	v_rcp_f32_e32 v3, v3
	v_mul_f32_e32 v3, 0x5f7ffffc, v3
	v_mul_f32_e32 v12, 0x2f800000, v3
	v_trunc_f32_e32 v12, v12
	v_mac_f32_e32 v3, 0xcf800000, v12
	v_cvt_u32_f32_e32 v12, v12
	v_cvt_u32_f32_e32 v3, v3
	v_mul_lo_u32 v13, s0, v12
	v_mul_hi_u32 v18, s0, v3
	v_mul_lo_u32 v17, s1, v3
	v_add_u32_e32 v13, v18, v13
	v_mul_lo_u32 v19, s0, v3
	v_add_u32_e32 v13, v13, v17
	v_mul_lo_u32 v18, v3, v13
	v_mul_hi_u32 v20, v3, v19
	v_mul_hi_u32 v17, v3, v13
	v_add_co_u32_e32 v18, vcc, v20, v18
	v_addc_co_u32_e32 v17, vcc, 0, v17, vcc
	v_mul_hi_u32 v21, v12, v19
	v_mul_lo_u32 v19, v12, v19
	v_add_co_u32_e32 v18, vcc, v18, v19
	v_mul_hi_u32 v20, v12, v13
	v_addc_co_u32_e32 v17, vcc, v17, v21, vcc
	v_addc_co_u32_e32 v18, vcc, 0, v20, vcc
	v_mul_lo_u32 v13, v12, v13
	v_add_co_u32_e32 v13, vcc, v17, v13
	v_addc_co_u32_e32 v17, vcc, 0, v18, vcc
	v_add_co_u32_e32 v3, vcc, v3, v13
	v_addc_co_u32_e32 v12, vcc, v12, v17, vcc
	v_mul_lo_u32 v13, s0, v12
	v_mul_hi_u32 v17, s0, v3
	v_add_u32_e32 v13, v17, v13
	v_mul_lo_u32 v17, s1, v3
	v_add_u32_e32 v13, v13, v17
	v_mul_lo_u32 v18, s0, v3
	v_mul_hi_u32 v19, v12, v18
	v_mul_lo_u32 v20, v12, v18
	v_mul_lo_u32 v22, v3, v13
	v_mul_hi_u32 v18, v3, v18
	v_mul_hi_u32 v21, v3, v13
	v_add_co_u32_e32 v18, vcc, v18, v22
	v_addc_co_u32_e32 v21, vcc, 0, v21, vcc
	v_add_co_u32_e32 v18, vcc, v18, v20
	v_mul_hi_u32 v17, v12, v13
	v_addc_co_u32_e32 v18, vcc, v21, v19, vcc
	v_addc_co_u32_e32 v17, vcc, 0, v17, vcc
	v_mul_lo_u32 v13, v12, v13
	v_add_co_u32_e32 v13, vcc, v18, v13
	v_addc_co_u32_e32 v17, vcc, 0, v17, vcc
	v_add_co_u32_e32 v3, vcc, v3, v13
	v_addc_co_u32_e32 v17, vcc, v12, v17, vcc
	v_ashrrev_i32_e32 v20, 31, v11
	v_add_co_u32_e32 v12, vcc, v10, v20
	v_addc_co_u32_e32 v13, vcc, v11, v20, vcc
	v_xor_b32_e32 v22, v12, v20
	v_xor_b32_e32 v21, v13, v20
	v_mad_u64_u32 v[12:13], s[0:1], v22, v17, 0
	v_mul_hi_u32 v18, v22, v3
	v_add_co_u32_e32 v23, vcc, v18, v12
	v_addc_co_u32_e32 v24, vcc, 0, v13, vcc
	v_mad_u64_u32 v[18:19], s[0:1], v21, v3, 0
	v_add_co_u32_e32 v3, vcc, v23, v18
	v_mad_u64_u32 v[12:13], s[0:1], v21, v17, 0
	v_addc_co_u32_e32 v3, vcc, v24, v19, vcc
	v_addc_co_u32_e32 v13, vcc, 0, v13, vcc
	v_add_co_u32_e32 v3, vcc, v3, v12
	v_addc_co_u32_e32 v17, vcc, 0, v13, vcc
	v_mul_lo_u32 v18, s49, v3
	v_mul_lo_u32 v19, s48, v17
	v_mad_u64_u32 v[12:13], s[0:1], s48, v3, 0
	v_add3_u32 v13, v13, v19, v18
	v_sub_u32_e32 v18, v21, v13
	v_mov_b32_e32 v19, s49
	v_sub_co_u32_e32 v12, vcc, v22, v12
	v_subb_co_u32_e64 v18, s[0:1], v18, v19, vcc
	v_subrev_co_u32_e64 v19, s[0:1], s48, v12
	v_subbrev_co_u32_e64 v18, s[0:1], 0, v18, s[0:1]
	v_cmp_le_u32_e64 s[0:1], s49, v18
	v_cndmask_b32_e64 v22, 0, -1, s[0:1]
	v_cmp_le_u32_e64 s[0:1], s48, v19
	v_cndmask_b32_e64 v19, 0, -1, s[0:1]
	v_cmp_eq_u32_e64 s[0:1], s49, v18
	v_cndmask_b32_e64 v18, v22, v19, s[0:1]
	v_add_co_u32_e64 v19, s[0:1], 2, v3
	v_subb_co_u32_e32 v13, vcc, v21, v13, vcc
	v_addc_co_u32_e64 v22, s[0:1], 0, v17, s[0:1]
	v_cmp_le_u32_e32 vcc, s49, v13
	v_add_co_u32_e64 v23, s[0:1], 1, v3
	v_cndmask_b32_e64 v21, 0, -1, vcc
	v_cmp_le_u32_e32 vcc, s48, v12
	v_addc_co_u32_e64 v24, s[0:1], 0, v17, s[0:1]
	v_cndmask_b32_e64 v12, 0, -1, vcc
	v_cmp_eq_u32_e32 vcc, s49, v13
	v_cmp_ne_u32_e64 s[0:1], 0, v18
	v_cndmask_b32_e32 v12, v21, v12, vcc
	v_cmp_ne_u32_e32 vcc, 0, v12
	v_cndmask_b32_e64 v13, v23, v19, s[0:1]
	v_cndmask_b32_e64 v18, v24, v22, s[0:1]
	v_cndmask_b32_e32 v3, v3, v13, vcc
	v_xor_b32_e32 v13, s46, v20
	v_cndmask_b32_e32 v12, v17, v18, vcc
	v_xor_b32_e32 v3, v3, v13
	v_xor_b32_e32 v17, v12, v13
	v_sub_co_u32_e32 v12, vcc, v3, v13
	v_subb_co_u32_e32 v13, vcc, v17, v13, vcc
.LBB63_24:                              ;   in Loop: Header=BB63_22 Depth=2
	s_andn2_saveexec_b64 s[0:1], s[44:45]
	s_cbranch_execz .LBB63_21
; %bb.25:                               ;   in Loop: Header=BB63_22 Depth=2
	v_cvt_f32_u32_e32 v3, s42
	s_sub_i32 s44, 0, s42
	v_rcp_iflag_f32_e32 v3, v3
	v_mul_f32_e32 v3, 0x4f7ffffe, v3
	v_cvt_u32_f32_e32 v3, v3
	v_mul_lo_u32 v12, s44, v3
	v_mul_hi_u32 v12, v3, v12
	v_add_u32_e32 v3, v3, v12
	v_mul_hi_u32 v3, v10, v3
	v_mul_lo_u32 v12, v3, s42
	v_sub_u32_e32 v12, v10, v12
	v_add_u32_e32 v13, 1, v3
	v_subrev_u32_e32 v17, s42, v12
	v_cmp_le_u32_e32 vcc, s42, v12
	v_cndmask_b32_e32 v12, v12, v17, vcc
	v_cndmask_b32_e32 v3, v3, v13, vcc
	v_add_u32_e32 v13, 1, v3
	v_cmp_le_u32_e32 vcc, s42, v12
	v_cndmask_b32_e32 v12, v3, v13, vcc
	v_mov_b32_e32 v13, v2
	s_branch .LBB63_21
.LBB63_26:
	s_endpgm
	.section	.rodata,"a",@progbits
	.p2align	6, 0x0
	.amdhsa_kernel _ZN2at6native16triu_tril_kernelIilLb1ELi2ELb0EEEvNS_4cuda6detail10TensorInfoIT_T0_EENS4_IKS5_S6_EEllS6_
		.amdhsa_group_segment_fixed_size 0
		.amdhsa_private_segment_fixed_size 0
		.amdhsa_kernarg_size 1112
		.amdhsa_user_sgpr_count 6
		.amdhsa_user_sgpr_private_segment_buffer 1
		.amdhsa_user_sgpr_dispatch_ptr 0
		.amdhsa_user_sgpr_queue_ptr 0
		.amdhsa_user_sgpr_kernarg_segment_ptr 1
		.amdhsa_user_sgpr_dispatch_id 0
		.amdhsa_user_sgpr_flat_scratch_init 0
		.amdhsa_user_sgpr_kernarg_preload_length 0
		.amdhsa_user_sgpr_kernarg_preload_offset 0
		.amdhsa_user_sgpr_private_segment_size 0
		.amdhsa_uses_dynamic_stack 0
		.amdhsa_system_sgpr_private_segment_wavefront_offset 0
		.amdhsa_system_sgpr_workgroup_id_x 1
		.amdhsa_system_sgpr_workgroup_id_y 0
		.amdhsa_system_sgpr_workgroup_id_z 0
		.amdhsa_system_sgpr_workgroup_info 0
		.amdhsa_system_vgpr_workitem_id 0
		.amdhsa_next_free_vgpr 25
		.amdhsa_next_free_sgpr 51
		.amdhsa_accum_offset 28
		.amdhsa_reserve_vcc 1
		.amdhsa_reserve_flat_scratch 0
		.amdhsa_float_round_mode_32 0
		.amdhsa_float_round_mode_16_64 0
		.amdhsa_float_denorm_mode_32 3
		.amdhsa_float_denorm_mode_16_64 3
		.amdhsa_dx10_clamp 1
		.amdhsa_ieee_mode 1
		.amdhsa_fp16_overflow 0
		.amdhsa_tg_split 0
		.amdhsa_exception_fp_ieee_invalid_op 0
		.amdhsa_exception_fp_denorm_src 0
		.amdhsa_exception_fp_ieee_div_zero 0
		.amdhsa_exception_fp_ieee_overflow 0
		.amdhsa_exception_fp_ieee_underflow 0
		.amdhsa_exception_fp_ieee_inexact 0
		.amdhsa_exception_int_div_zero 0
	.end_amdhsa_kernel
	.section	.text._ZN2at6native16triu_tril_kernelIilLb1ELi2ELb0EEEvNS_4cuda6detail10TensorInfoIT_T0_EENS4_IKS5_S6_EEllS6_,"axG",@progbits,_ZN2at6native16triu_tril_kernelIilLb1ELi2ELb0EEEvNS_4cuda6detail10TensorInfoIT_T0_EENS4_IKS5_S6_EEllS6_,comdat
.Lfunc_end63:
	.size	_ZN2at6native16triu_tril_kernelIilLb1ELi2ELb0EEEvNS_4cuda6detail10TensorInfoIT_T0_EENS4_IKS5_S6_EEllS6_, .Lfunc_end63-_ZN2at6native16triu_tril_kernelIilLb1ELi2ELb0EEEvNS_4cuda6detail10TensorInfoIT_T0_EENS4_IKS5_S6_EEllS6_
                                        ; -- End function
	.section	.AMDGPU.csdata,"",@progbits
; Kernel info:
; codeLenInByte = 3412
; NumSgprs: 55
; NumVgprs: 25
; NumAgprs: 0
; TotalNumVgprs: 25
; ScratchSize: 0
; MemoryBound: 0
; FloatMode: 240
; IeeeMode: 1
; LDSByteSize: 0 bytes/workgroup (compile time only)
; SGPRBlocks: 6
; VGPRBlocks: 3
; NumSGPRsForWavesPerEU: 55
; NumVGPRsForWavesPerEU: 25
; AccumOffset: 28
; Occupancy: 8
; WaveLimiterHint : 0
; COMPUTE_PGM_RSRC2:SCRATCH_EN: 0
; COMPUTE_PGM_RSRC2:USER_SGPR: 6
; COMPUTE_PGM_RSRC2:TRAP_HANDLER: 0
; COMPUTE_PGM_RSRC2:TGID_X_EN: 1
; COMPUTE_PGM_RSRC2:TGID_Y_EN: 0
; COMPUTE_PGM_RSRC2:TGID_Z_EN: 0
; COMPUTE_PGM_RSRC2:TIDIG_COMP_CNT: 0
; COMPUTE_PGM_RSRC3_GFX90A:ACCUM_OFFSET: 6
; COMPUTE_PGM_RSRC3_GFX90A:TG_SPLIT: 0
	.section	.text._ZN2at6native16triu_tril_kernelIliLb1ELi2ELb1EEEvNS_4cuda6detail10TensorInfoIT_T0_EENS4_IKS5_S6_EEllS6_,"axG",@progbits,_ZN2at6native16triu_tril_kernelIliLb1ELi2ELb1EEEvNS_4cuda6detail10TensorInfoIT_T0_EENS4_IKS5_S6_EEllS6_,comdat
	.protected	_ZN2at6native16triu_tril_kernelIliLb1ELi2ELb1EEEvNS_4cuda6detail10TensorInfoIT_T0_EENS4_IKS5_S6_EEllS6_ ; -- Begin function _ZN2at6native16triu_tril_kernelIliLb1ELi2ELb1EEEvNS_4cuda6detail10TensorInfoIT_T0_EENS4_IKS5_S6_EEllS6_
	.globl	_ZN2at6native16triu_tril_kernelIliLb1ELi2ELb1EEEvNS_4cuda6detail10TensorInfoIT_T0_EENS4_IKS5_S6_EEllS6_
	.p2align	8
	.type	_ZN2at6native16triu_tril_kernelIliLb1ELi2ELb1EEEvNS_4cuda6detail10TensorInfoIT_T0_EENS4_IKS5_S6_EEllS6_,@function
_ZN2at6native16triu_tril_kernelIliLb1ELi2ELb1EEEvNS_4cuda6detail10TensorInfoIT_T0_EENS4_IKS5_S6_EEllS6_: ; @_ZN2at6native16triu_tril_kernelIliLb1ELi2ELb1EEEvNS_4cuda6detail10TensorInfoIT_T0_EENS4_IKS5_S6_EEllS6_
; %bb.0:
	s_load_dword s2, s[4:5], 0x1d4
	s_load_dwordx4 s[8:11], s[4:5], 0x1b0
	s_add_u32 s0, s4, 0x1c8
	v_mov_b32_e32 v2, 0
	s_addc_u32 s1, s5, 0
	s_waitcnt lgkmcnt(0)
	s_and_b32 s7, s2, 0xffff
	v_mov_b32_e32 v1, v2
	v_mov_b32_e32 v3, s6
	v_mad_u64_u32 v[0:1], s[2:3], s7, v3, v[0:1]
	v_lshlrev_b64 v[0:1], 1, v[0:1]
	v_cmp_gt_i64_e32 vcc, s[10:11], v[0:1]
	s_and_saveexec_b64 s[2:3], vcc
	s_cbranch_execz .LBB64_61
; %bb.1:
	s_load_dword s33, s[4:5], 0x1c0
	s_load_dword s14, s[4:5], 0x1a8
	;; [unrolled: 1-line block ×3, first 2 shown]
	s_load_dwordx2 s[2:3], s[4:5], 0x0
	s_mov_b64 s[22:23], 0
	s_waitcnt lgkmcnt(0)
	s_ashr_i32 s38, s33, 31
	s_ashr_i32 s15, s14, 31
	s_add_u32 s39, s4, 0xe0
	s_addc_u32 s40, s5, 0
	s_add_i32 s0, s14, -2
	s_ashr_i32 s1, s0, 31
	s_lshl_b64 s[12:13], s[0:1], 2
	s_add_u32 s16, s39, s12
	s_addc_u32 s17, s40, s13
	s_load_dword s41, s[16:17], 0x0
	s_lshl_b64 s[16:17], s[14:15], 2
	s_mul_i32 s1, s6, s7
	v_cmp_gt_i64_e64 s[6:7], s[14:15], 2
	v_cvt_f32_u32_e32 v3, s33
	s_waitcnt lgkmcnt(0)
	s_ashr_i32 s42, s41, 31
	s_add_u32 s15, s16, -4
	s_addc_u32 s16, s17, -1
	s_add_u32 s43, s4, 0x6c
	s_addc_u32 s44, s5, 0
	s_add_u32 s4, s43, s15
	v_rcp_iflag_f32_e32 v3, v3
	s_addc_u32 s5, s44, s16
	s_add_u32 s12, s43, s12
	s_addc_u32 s13, s44, s13
	s_add_i32 s45, s14, -3
	s_add_u32 s14, s39, s15
	v_mul_f32_e32 v3, 0x4f7ffffe, v3
	s_addc_u32 s15, s40, s16
	s_lshl_b32 s46, s1, 1
	s_and_b32 s48, s0, 7
	v_cvt_u32_f32_e32 v24, v3
	s_cmp_lg_u32 s48, 0
	s_mov_b32 s17, 0
	s_cselect_b64 s[18:19], -1, 0
	s_cmp_gt_u32 s45, 6
	s_mov_b32 s47, s17
	s_cselect_b64 s[20:21], -1, 0
	s_branch .LBB64_3
.LBB64_2:                               ;   in Loop: Header=BB64_3 Depth=1
	s_or_b64 exec, exec, s[24:25]
	v_mov_b32_e32 v3, s47
	v_add_co_u32_e32 v0, vcc, s46, v0
	v_addc_co_u32_e32 v1, vcc, v1, v3, vcc
	v_cmp_le_i64_e32 vcc, s[10:11], v[0:1]
	s_or_b64 s[22:23], vcc, s[22:23]
	s_andn2_b64 exec, exec, s[22:23]
	s_cbranch_execz .LBB64_61
.LBB64_3:                               ; =>This Loop Header: Depth=1
                                        ;     Child Loop BB64_16 Depth 2
                                        ;     Child Loop BB64_23 Depth 2
	v_or_b32_e32 v3, s38, v1
	v_cmp_ne_u64_e32 vcc, 0, v[2:3]
                                        ; implicit-def: $vgpr4_vgpr5
	s_and_saveexec_b64 s[0:1], vcc
	s_xor_b64 s[24:25], exec, s[0:1]
	s_cbranch_execz .LBB64_5
; %bb.4:                                ;   in Loop: Header=BB64_3 Depth=1
	s_add_u32 s0, s33, s38
	s_mov_b32 s26, s38
	s_mov_b32 s27, s38
	s_addc_u32 s1, s38, s38
	s_xor_b64 s[28:29], s[0:1], s[26:27]
	v_cvt_f32_u32_e32 v3, s28
	v_cvt_f32_u32_e32 v4, s29
	s_sub_u32 s0, 0, s28
	s_subb_u32 s1, 0, s29
	v_mac_f32_e32 v3, 0x4f800000, v4
	v_rcp_f32_e32 v3, v3
	v_mul_f32_e32 v3, 0x5f7ffffc, v3
	v_mul_f32_e32 v4, 0x2f800000, v3
	v_trunc_f32_e32 v4, v4
	v_mac_f32_e32 v3, 0xcf800000, v4
	v_cvt_u32_f32_e32 v4, v4
	v_cvt_u32_f32_e32 v3, v3
	v_mul_lo_u32 v5, s0, v4
	v_mul_hi_u32 v7, s0, v3
	v_mul_lo_u32 v6, s1, v3
	v_add_u32_e32 v5, v7, v5
	v_mul_lo_u32 v8, s0, v3
	v_add_u32_e32 v5, v5, v6
	v_mul_lo_u32 v7, v3, v5
	v_mul_hi_u32 v9, v3, v8
	v_mul_hi_u32 v6, v3, v5
	v_add_co_u32_e32 v7, vcc, v9, v7
	v_addc_co_u32_e32 v6, vcc, 0, v6, vcc
	v_mul_hi_u32 v10, v4, v8
	v_mul_lo_u32 v8, v4, v8
	v_add_co_u32_e32 v7, vcc, v7, v8
	v_mul_hi_u32 v9, v4, v5
	v_addc_co_u32_e32 v6, vcc, v6, v10, vcc
	v_addc_co_u32_e32 v7, vcc, 0, v9, vcc
	v_mul_lo_u32 v5, v4, v5
	v_add_co_u32_e32 v5, vcc, v6, v5
	v_addc_co_u32_e32 v6, vcc, 0, v7, vcc
	v_add_co_u32_e32 v3, vcc, v3, v5
	v_addc_co_u32_e32 v4, vcc, v4, v6, vcc
	v_mul_lo_u32 v5, s0, v4
	v_mul_hi_u32 v6, s0, v3
	v_add_u32_e32 v5, v6, v5
	v_mul_lo_u32 v6, s1, v3
	v_add_u32_e32 v5, v5, v6
	v_mul_lo_u32 v7, s0, v3
	v_mul_hi_u32 v8, v4, v7
	v_mul_lo_u32 v9, v4, v7
	v_mul_lo_u32 v11, v3, v5
	v_mul_hi_u32 v7, v3, v7
	v_mul_hi_u32 v10, v3, v5
	v_add_co_u32_e32 v7, vcc, v7, v11
	v_addc_co_u32_e32 v10, vcc, 0, v10, vcc
	v_add_co_u32_e32 v7, vcc, v7, v9
	v_mul_hi_u32 v6, v4, v5
	v_addc_co_u32_e32 v7, vcc, v10, v8, vcc
	v_addc_co_u32_e32 v6, vcc, 0, v6, vcc
	v_mul_lo_u32 v5, v4, v5
	v_add_co_u32_e32 v5, vcc, v7, v5
	v_addc_co_u32_e32 v6, vcc, 0, v6, vcc
	v_add_co_u32_e32 v3, vcc, v3, v5
	v_addc_co_u32_e32 v6, vcc, v4, v6, vcc
	v_ashrrev_i32_e32 v8, 31, v1
	v_add_co_u32_e32 v4, vcc, v0, v8
	v_addc_co_u32_e32 v5, vcc, v1, v8, vcc
	v_xor_b32_e32 v10, v4, v8
	v_xor_b32_e32 v9, v5, v8
	v_mad_u64_u32 v[4:5], s[0:1], v10, v6, 0
	v_mul_hi_u32 v7, v10, v3
	v_add_co_u32_e32 v11, vcc, v7, v4
	v_addc_co_u32_e32 v12, vcc, 0, v5, vcc
	v_mad_u64_u32 v[4:5], s[0:1], v9, v6, 0
	v_mad_u64_u32 v[6:7], s[0:1], v9, v3, 0
	v_add_co_u32_e32 v3, vcc, v11, v6
	v_addc_co_u32_e32 v3, vcc, v12, v7, vcc
	v_addc_co_u32_e32 v5, vcc, 0, v5, vcc
	v_add_co_u32_e32 v3, vcc, v3, v4
	v_addc_co_u32_e32 v6, vcc, 0, v5, vcc
	v_mul_lo_u32 v7, s29, v3
	v_mul_lo_u32 v11, s28, v6
	v_mad_u64_u32 v[4:5], s[0:1], s28, v3, 0
	v_add3_u32 v5, v5, v11, v7
	v_sub_u32_e32 v7, v9, v5
	v_mov_b32_e32 v11, s29
	v_sub_co_u32_e32 v4, vcc, v10, v4
	v_subb_co_u32_e64 v7, s[0:1], v7, v11, vcc
	v_subrev_co_u32_e64 v10, s[0:1], s28, v4
	v_subbrev_co_u32_e64 v7, s[0:1], 0, v7, s[0:1]
	v_cmp_le_u32_e64 s[0:1], s29, v7
	v_cndmask_b32_e64 v11, 0, -1, s[0:1]
	v_cmp_le_u32_e64 s[0:1], s28, v10
	v_cndmask_b32_e64 v10, 0, -1, s[0:1]
	v_cmp_eq_u32_e64 s[0:1], s29, v7
	v_cndmask_b32_e64 v7, v11, v10, s[0:1]
	v_add_co_u32_e64 v10, s[0:1], 2, v3
	v_subb_co_u32_e32 v5, vcc, v9, v5, vcc
	v_addc_co_u32_e64 v11, s[0:1], 0, v6, s[0:1]
	v_cmp_le_u32_e32 vcc, s29, v5
	v_add_co_u32_e64 v12, s[0:1], 1, v3
	v_cndmask_b32_e64 v9, 0, -1, vcc
	v_cmp_le_u32_e32 vcc, s28, v4
	v_addc_co_u32_e64 v13, s[0:1], 0, v6, s[0:1]
	v_cndmask_b32_e64 v4, 0, -1, vcc
	v_cmp_eq_u32_e32 vcc, s29, v5
	v_cmp_ne_u32_e64 s[0:1], 0, v7
	v_cndmask_b32_e32 v4, v9, v4, vcc
	v_cndmask_b32_e64 v7, v13, v11, s[0:1]
	v_cmp_ne_u32_e32 vcc, 0, v4
	v_cndmask_b32_e64 v5, v12, v10, s[0:1]
	v_cndmask_b32_e32 v4, v6, v7, vcc
	v_cndmask_b32_e32 v3, v3, v5, vcc
	v_xor_b32_e32 v6, s26, v8
	v_xor_b32_e32 v5, s27, v8
	;; [unrolled: 1-line block ×4, first 2 shown]
	v_sub_co_u32_e32 v4, vcc, v3, v6
	v_subb_co_u32_e32 v5, vcc, v7, v5, vcc
.LBB64_5:                               ;   in Loop: Header=BB64_3 Depth=1
	s_andn2_saveexec_b64 s[0:1], s[24:25]
	s_cbranch_execz .LBB64_7
; %bb.6:                                ;   in Loop: Header=BB64_3 Depth=1
	s_sub_i32 s16, 0, s33
	v_mul_lo_u32 v3, s16, v24
	v_mul_hi_u32 v3, v24, v3
	v_add_u32_e32 v3, v24, v3
	v_mul_hi_u32 v3, v0, v3
	v_mul_lo_u32 v4, v3, s33
	v_sub_u32_e32 v4, v0, v4
	v_subrev_u32_e32 v5, s33, v4
	v_cmp_le_u32_e32 vcc, s33, v4
	v_cndmask_b32_e32 v4, v4, v5, vcc
	v_add_u32_e32 v5, 1, v3
	v_cndmask_b32_e32 v3, v3, v5, vcc
	v_add_u32_e32 v5, 1, v3
	v_cmp_le_u32_e32 vcc, s33, v4
	v_cndmask_b32_e32 v4, v3, v5, vcc
	v_mov_b32_e32 v5, v2
.LBB64_7:                               ;   in Loop: Header=BB64_3 Depth=1
	s_or_b64 exec, exec, s[0:1]
	v_or_b32_e32 v3, s42, v5
	v_cmp_ne_u64_e32 vcc, 0, v[2:3]
                                        ; implicit-def: $vgpr6_vgpr7
	s_and_saveexec_b64 s[0:1], vcc
	s_xor_b64 s[24:25], exec, s[0:1]
	s_cbranch_execz .LBB64_9
; %bb.8:                                ;   in Loop: Header=BB64_3 Depth=1
	s_add_u32 s0, s41, s42
	s_mov_b32 s26, s42
	s_mov_b32 s27, s42
	s_addc_u32 s1, s42, s42
	s_xor_b64 s[28:29], s[0:1], s[26:27]
	v_cvt_f32_u32_e32 v3, s28
	v_cvt_f32_u32_e32 v6, s29
	s_sub_u32 s0, 0, s28
	s_subb_u32 s1, 0, s29
	v_mac_f32_e32 v3, 0x4f800000, v6
	v_rcp_f32_e32 v3, v3
	v_mul_f32_e32 v3, 0x5f7ffffc, v3
	v_mul_f32_e32 v6, 0x2f800000, v3
	v_trunc_f32_e32 v6, v6
	v_mac_f32_e32 v3, 0xcf800000, v6
	v_cvt_u32_f32_e32 v6, v6
	v_cvt_u32_f32_e32 v3, v3
	v_mul_lo_u32 v7, s0, v6
	v_mul_hi_u32 v9, s0, v3
	v_mul_lo_u32 v8, s1, v3
	v_add_u32_e32 v7, v9, v7
	v_mul_lo_u32 v10, s0, v3
	v_add_u32_e32 v7, v7, v8
	v_mul_lo_u32 v9, v3, v7
	v_mul_hi_u32 v11, v3, v10
	v_mul_hi_u32 v8, v3, v7
	v_add_co_u32_e32 v9, vcc, v11, v9
	v_addc_co_u32_e32 v8, vcc, 0, v8, vcc
	v_mul_hi_u32 v12, v6, v10
	v_mul_lo_u32 v10, v6, v10
	v_add_co_u32_e32 v9, vcc, v9, v10
	v_mul_hi_u32 v11, v6, v7
	v_addc_co_u32_e32 v8, vcc, v8, v12, vcc
	v_addc_co_u32_e32 v9, vcc, 0, v11, vcc
	v_mul_lo_u32 v7, v6, v7
	v_add_co_u32_e32 v7, vcc, v8, v7
	v_addc_co_u32_e32 v8, vcc, 0, v9, vcc
	v_add_co_u32_e32 v3, vcc, v3, v7
	v_addc_co_u32_e32 v6, vcc, v6, v8, vcc
	v_mul_lo_u32 v7, s0, v6
	v_mul_hi_u32 v8, s0, v3
	v_add_u32_e32 v7, v8, v7
	v_mul_lo_u32 v8, s1, v3
	v_add_u32_e32 v7, v7, v8
	v_mul_lo_u32 v9, s0, v3
	v_mul_hi_u32 v10, v6, v9
	v_mul_lo_u32 v11, v6, v9
	v_mul_lo_u32 v13, v3, v7
	v_mul_hi_u32 v9, v3, v9
	v_mul_hi_u32 v12, v3, v7
	v_add_co_u32_e32 v9, vcc, v9, v13
	v_addc_co_u32_e32 v12, vcc, 0, v12, vcc
	v_add_co_u32_e32 v9, vcc, v9, v11
	v_mul_hi_u32 v8, v6, v7
	v_addc_co_u32_e32 v9, vcc, v12, v10, vcc
	v_addc_co_u32_e32 v8, vcc, 0, v8, vcc
	v_mul_lo_u32 v7, v6, v7
	v_add_co_u32_e32 v7, vcc, v9, v7
	v_addc_co_u32_e32 v8, vcc, 0, v8, vcc
	v_add_co_u32_e32 v3, vcc, v3, v7
	v_addc_co_u32_e32 v8, vcc, v6, v8, vcc
	v_ashrrev_i32_e32 v10, 31, v5
	v_add_co_u32_e32 v6, vcc, v4, v10
	v_xor_b32_e32 v11, v6, v10
	v_addc_co_u32_e32 v5, vcc, v5, v10, vcc
	v_mad_u64_u32 v[6:7], s[0:1], v11, v8, 0
	v_mul_hi_u32 v9, v11, v3
	v_xor_b32_e32 v5, v5, v10
	v_add_co_u32_e32 v12, vcc, v9, v6
	v_addc_co_u32_e32 v13, vcc, 0, v7, vcc
	v_mad_u64_u32 v[6:7], s[0:1], v5, v8, 0
	v_mad_u64_u32 v[8:9], s[0:1], v5, v3, 0
	v_add_co_u32_e32 v3, vcc, v12, v8
	v_addc_co_u32_e32 v3, vcc, v13, v9, vcc
	v_addc_co_u32_e32 v7, vcc, 0, v7, vcc
	v_add_co_u32_e32 v3, vcc, v3, v6
	v_addc_co_u32_e32 v8, vcc, 0, v7, vcc
	v_mul_lo_u32 v9, s29, v3
	v_mul_lo_u32 v12, s28, v8
	v_mad_u64_u32 v[6:7], s[0:1], s28, v3, 0
	v_add3_u32 v7, v7, v12, v9
	v_sub_u32_e32 v9, v5, v7
	v_mov_b32_e32 v12, s29
	v_sub_co_u32_e32 v6, vcc, v11, v6
	v_subb_co_u32_e64 v9, s[0:1], v9, v12, vcc
	v_subrev_co_u32_e64 v11, s[0:1], s28, v6
	v_subbrev_co_u32_e64 v9, s[0:1], 0, v9, s[0:1]
	v_cmp_le_u32_e64 s[0:1], s29, v9
	v_cndmask_b32_e64 v12, 0, -1, s[0:1]
	v_cmp_le_u32_e64 s[0:1], s28, v11
	v_cndmask_b32_e64 v11, 0, -1, s[0:1]
	v_cmp_eq_u32_e64 s[0:1], s29, v9
	v_cndmask_b32_e64 v9, v12, v11, s[0:1]
	v_add_co_u32_e64 v11, s[0:1], 2, v3
	v_subb_co_u32_e32 v5, vcc, v5, v7, vcc
	v_addc_co_u32_e64 v12, s[0:1], 0, v8, s[0:1]
	v_cmp_le_u32_e32 vcc, s29, v5
	v_add_co_u32_e64 v13, s[0:1], 1, v3
	v_cndmask_b32_e64 v7, 0, -1, vcc
	v_cmp_le_u32_e32 vcc, s28, v6
	v_addc_co_u32_e64 v14, s[0:1], 0, v8, s[0:1]
	v_cndmask_b32_e64 v6, 0, -1, vcc
	v_cmp_eq_u32_e32 vcc, s29, v5
	v_cmp_ne_u32_e64 s[0:1], 0, v9
	v_cndmask_b32_e32 v5, v7, v6, vcc
	v_cmp_ne_u32_e32 vcc, 0, v5
	v_cndmask_b32_e64 v6, v13, v11, s[0:1]
	v_cndmask_b32_e64 v9, v14, v12, s[0:1]
	v_cndmask_b32_e32 v3, v3, v6, vcc
	v_xor_b32_e32 v6, s26, v10
	v_cndmask_b32_e32 v5, v8, v9, vcc
	v_xor_b32_e32 v7, s27, v10
	v_xor_b32_e32 v3, v3, v6
	;; [unrolled: 1-line block ×3, first 2 shown]
	v_sub_co_u32_e32 v6, vcc, v3, v6
	v_subb_co_u32_e32 v7, vcc, v5, v7, vcc
.LBB64_9:                               ;   in Loop: Header=BB64_3 Depth=1
	s_andn2_saveexec_b64 s[0:1], s[24:25]
	s_cbranch_execz .LBB64_11
; %bb.10:                               ;   in Loop: Header=BB64_3 Depth=1
	v_cvt_f32_u32_e32 v3, s41
	s_sub_i32 s16, 0, s41
	v_rcp_iflag_f32_e32 v3, v3
	v_mul_f32_e32 v3, 0x4f7ffffe, v3
	v_cvt_u32_f32_e32 v3, v3
	v_mul_lo_u32 v5, s16, v3
	v_mul_hi_u32 v5, v3, v5
	v_add_u32_e32 v3, v3, v5
	v_mul_hi_u32 v3, v4, v3
	v_mul_lo_u32 v5, v3, s41
	v_sub_u32_e32 v5, v4, v5
	v_add_u32_e32 v6, 1, v3
	v_subrev_u32_e32 v7, s41, v5
	v_cmp_le_u32_e32 vcc, s41, v5
	v_cndmask_b32_e32 v5, v5, v7, vcc
	v_cndmask_b32_e32 v3, v3, v6, vcc
	v_add_u32_e32 v6, 1, v3
	v_cmp_le_u32_e32 vcc, s41, v5
	v_cndmask_b32_e32 v6, v3, v6, vcc
	v_mov_b32_e32 v7, v2
.LBB64_11:                              ;   in Loop: Header=BB64_3 Depth=1
	s_or_b64 exec, exec, s[0:1]
	v_mad_u64_u32 v[8:9], s[0:1], v4, s33, 0
	v_sub_co_u32_e32 v26, vcc, v0, v8
	v_mad_u64_u32 v[8:9], s[0:1], v6, s41, 0
	v_sub_co_u32_e32 v25, vcc, v4, v8
	v_sub_u32_e32 v4, v26, v25
	v_ashrrev_i32_e32 v5, 31, v4
	v_cmp_gt_i64_e32 vcc, s[8:9], v[4:5]
	s_and_saveexec_b64 s[24:25], vcc
	s_cbranch_execz .LBB64_2
; %bb.12:                               ;   in Loop: Header=BB64_3 Depth=1
	s_load_dword s49, s[4:5], 0x0
	s_load_dword s0, s[12:13], 0x0
	s_andn2_b64 vcc, exec, s[6:7]
	s_waitcnt lgkmcnt(0)
	v_mul_lo_u32 v4, s49, v26
	v_mad_u64_u32 v[4:5], s[0:1], s0, v25, v[4:5]
	s_cbranch_vccnz .LBB64_57
; %bb.13:                               ;   in Loop: Header=BB64_3 Depth=1
	s_andn2_b64 vcc, exec, s[18:19]
	s_cbranch_vccnz .LBB64_20
; %bb.14:                               ;   in Loop: Header=BB64_3 Depth=1
	s_mov_b32 s36, s48
	s_mov_b32 s16, s45
	s_branch .LBB64_16
.LBB64_15:                              ;   in Loop: Header=BB64_16 Depth=2
	s_or_b64 exec, exec, s[0:1]
	s_add_u32 s0, s43, s26
	s_addc_u32 s1, s44, s27
	s_load_dword s0, s[0:1], 0x0
	v_mul_lo_u32 v3, v6, s37
	v_sub_u32_e32 v3, v8, v3
	s_add_i32 s16, s16, -1
	s_add_i32 s36, s36, -1
	s_cmp_lg_u32 s36, 0
	s_waitcnt lgkmcnt(0)
	v_mad_u64_u32 v[4:5], s[0:1], s0, v3, v[4:5]
	s_cbranch_scc0 .LBB64_21
.LBB64_16:                              ;   Parent Loop BB64_3 Depth=1
                                        ; =>  This Inner Loop Header: Depth=2
	s_lshl_b64 s[26:27], s[16:17], 2
	s_add_u32 s0, s39, s26
	s_addc_u32 s1, s40, s27
	s_load_dword s37, s[0:1], 0x0
	v_pk_mov_b32 v[8:9], v[6:7], v[6:7] op_sel:[0,1]
                                        ; implicit-def: $vgpr6_vgpr7
	s_waitcnt lgkmcnt(0)
	s_ashr_i32 s0, s37, 31
	v_or_b32_e32 v3, s0, v9
	v_cmp_ne_u64_e32 vcc, 0, v[2:3]
	s_and_saveexec_b64 s[28:29], vcc
	s_xor_b64 s[28:29], exec, s[28:29]
	s_cbranch_execz .LBB64_18
; %bb.17:                               ;   in Loop: Header=BB64_16 Depth=2
	s_add_u32 s34, s37, s0
	s_mov_b32 s30, s0
	s_mov_b32 s31, s0
	s_addc_u32 s35, s0, s0
	s_xor_b64 s[34:35], s[34:35], s[30:31]
	v_cvt_f32_u32_e32 v3, s34
	v_cvt_f32_u32_e32 v5, s35
	s_sub_u32 s0, 0, s34
	s_subb_u32 s1, 0, s35
	v_mac_f32_e32 v3, 0x4f800000, v5
	v_rcp_f32_e32 v3, v3
	v_mul_f32_e32 v3, 0x5f7ffffc, v3
	v_mul_f32_e32 v5, 0x2f800000, v3
	v_trunc_f32_e32 v5, v5
	v_mac_f32_e32 v3, 0xcf800000, v5
	v_cvt_u32_f32_e32 v5, v5
	v_cvt_u32_f32_e32 v3, v3
	v_mul_lo_u32 v6, s0, v5
	v_mul_hi_u32 v10, s0, v3
	v_mul_lo_u32 v7, s1, v3
	v_add_u32_e32 v6, v10, v6
	v_mul_lo_u32 v11, s0, v3
	v_add_u32_e32 v6, v6, v7
	v_mul_lo_u32 v10, v3, v6
	v_mul_hi_u32 v12, v3, v11
	v_mul_hi_u32 v7, v3, v6
	v_add_co_u32_e32 v10, vcc, v12, v10
	v_addc_co_u32_e32 v7, vcc, 0, v7, vcc
	v_mul_hi_u32 v13, v5, v11
	v_mul_lo_u32 v11, v5, v11
	v_add_co_u32_e32 v10, vcc, v10, v11
	v_mul_hi_u32 v12, v5, v6
	v_addc_co_u32_e32 v7, vcc, v7, v13, vcc
	v_addc_co_u32_e32 v10, vcc, 0, v12, vcc
	v_mul_lo_u32 v6, v5, v6
	v_add_co_u32_e32 v6, vcc, v7, v6
	v_addc_co_u32_e32 v7, vcc, 0, v10, vcc
	v_add_co_u32_e32 v3, vcc, v3, v6
	v_addc_co_u32_e32 v5, vcc, v5, v7, vcc
	v_mul_lo_u32 v6, s0, v5
	v_mul_hi_u32 v7, s0, v3
	v_add_u32_e32 v6, v7, v6
	v_mul_lo_u32 v7, s1, v3
	v_add_u32_e32 v6, v6, v7
	v_mul_lo_u32 v10, s0, v3
	v_mul_hi_u32 v11, v5, v10
	v_mul_lo_u32 v12, v5, v10
	v_mul_lo_u32 v14, v3, v6
	v_mul_hi_u32 v10, v3, v10
	v_mul_hi_u32 v13, v3, v6
	v_add_co_u32_e32 v10, vcc, v10, v14
	v_addc_co_u32_e32 v13, vcc, 0, v13, vcc
	v_add_co_u32_e32 v10, vcc, v10, v12
	v_mul_hi_u32 v7, v5, v6
	v_addc_co_u32_e32 v10, vcc, v13, v11, vcc
	v_addc_co_u32_e32 v7, vcc, 0, v7, vcc
	v_mul_lo_u32 v6, v5, v6
	v_add_co_u32_e32 v6, vcc, v10, v6
	v_addc_co_u32_e32 v7, vcc, 0, v7, vcc
	v_add_co_u32_e32 v3, vcc, v3, v6
	v_addc_co_u32_e32 v5, vcc, v5, v7, vcc
	v_ashrrev_i32_e32 v12, 31, v9
	v_add_co_u32_e32 v6, vcc, v8, v12
	v_addc_co_u32_e32 v7, vcc, v9, v12, vcc
	v_xor_b32_e32 v13, v6, v12
	v_xor_b32_e32 v9, v7, v12
	v_mad_u64_u32 v[6:7], s[0:1], v13, v5, 0
	v_mul_hi_u32 v10, v13, v3
	v_add_co_u32_e32 v14, vcc, v10, v6
	v_addc_co_u32_e32 v15, vcc, 0, v7, vcc
	v_mad_u64_u32 v[10:11], s[0:1], v9, v3, 0
	v_add_co_u32_e32 v3, vcc, v14, v10
	v_mad_u64_u32 v[6:7], s[0:1], v9, v5, 0
	v_addc_co_u32_e32 v3, vcc, v15, v11, vcc
	v_addc_co_u32_e32 v5, vcc, 0, v7, vcc
	v_add_co_u32_e32 v3, vcc, v3, v6
	v_addc_co_u32_e32 v5, vcc, 0, v5, vcc
	v_mul_lo_u32 v10, s35, v3
	v_mul_lo_u32 v11, s34, v5
	v_mad_u64_u32 v[6:7], s[0:1], s34, v3, 0
	v_add3_u32 v7, v7, v11, v10
	v_sub_u32_e32 v10, v9, v7
	v_mov_b32_e32 v11, s35
	v_sub_co_u32_e32 v6, vcc, v13, v6
	v_subb_co_u32_e64 v10, s[0:1], v10, v11, vcc
	v_subrev_co_u32_e64 v11, s[0:1], s34, v6
	v_subbrev_co_u32_e64 v10, s[0:1], 0, v10, s[0:1]
	v_cmp_le_u32_e64 s[0:1], s35, v10
	v_cndmask_b32_e64 v13, 0, -1, s[0:1]
	v_cmp_le_u32_e64 s[0:1], s34, v11
	v_cndmask_b32_e64 v11, 0, -1, s[0:1]
	v_cmp_eq_u32_e64 s[0:1], s35, v10
	v_cndmask_b32_e64 v10, v13, v11, s[0:1]
	v_add_co_u32_e64 v11, s[0:1], 2, v3
	v_subb_co_u32_e32 v7, vcc, v9, v7, vcc
	v_addc_co_u32_e64 v13, s[0:1], 0, v5, s[0:1]
	v_cmp_le_u32_e32 vcc, s35, v7
	v_add_co_u32_e64 v14, s[0:1], 1, v3
	v_cndmask_b32_e64 v9, 0, -1, vcc
	v_cmp_le_u32_e32 vcc, s34, v6
	v_addc_co_u32_e64 v15, s[0:1], 0, v5, s[0:1]
	v_cndmask_b32_e64 v6, 0, -1, vcc
	v_cmp_eq_u32_e32 vcc, s35, v7
	v_cmp_ne_u32_e64 s[0:1], 0, v10
	v_cndmask_b32_e32 v6, v9, v6, vcc
	v_cmp_ne_u32_e32 vcc, 0, v6
	v_cndmask_b32_e64 v6, v14, v11, s[0:1]
	v_cndmask_b32_e64 v10, v15, v13, s[0:1]
	v_cndmask_b32_e32 v3, v3, v6, vcc
	v_xor_b32_e32 v6, s30, v12
	v_cndmask_b32_e32 v5, v5, v10, vcc
	v_xor_b32_e32 v7, s31, v12
	v_xor_b32_e32 v3, v3, v6
	;; [unrolled: 1-line block ×3, first 2 shown]
	v_sub_co_u32_e32 v6, vcc, v3, v6
	v_subb_co_u32_e32 v7, vcc, v5, v7, vcc
.LBB64_18:                              ;   in Loop: Header=BB64_16 Depth=2
	s_andn2_saveexec_b64 s[0:1], s[28:29]
	s_cbranch_execz .LBB64_15
; %bb.19:                               ;   in Loop: Header=BB64_16 Depth=2
	v_cvt_f32_u32_e32 v3, s37
	s_sub_i32 s28, 0, s37
	v_rcp_iflag_f32_e32 v3, v3
	v_mul_f32_e32 v3, 0x4f7ffffe, v3
	v_cvt_u32_f32_e32 v3, v3
	v_mul_lo_u32 v5, s28, v3
	v_mul_hi_u32 v5, v3, v5
	v_add_u32_e32 v3, v3, v5
	v_mul_hi_u32 v3, v8, v3
	v_mul_lo_u32 v5, v3, s37
	v_sub_u32_e32 v5, v8, v5
	v_add_u32_e32 v6, 1, v3
	v_subrev_u32_e32 v7, s37, v5
	v_cmp_le_u32_e32 vcc, s37, v5
	v_cndmask_b32_e32 v5, v5, v7, vcc
	v_cndmask_b32_e32 v3, v3, v6, vcc
	v_add_u32_e32 v6, 1, v3
	v_cmp_le_u32_e32 vcc, s37, v5
	v_cndmask_b32_e32 v6, v3, v6, vcc
	v_mov_b32_e32 v7, v2
	s_branch .LBB64_15
.LBB64_20:                              ;   in Loop: Header=BB64_3 Depth=1
	s_mov_b32 s16, s45
.LBB64_21:                              ;   in Loop: Header=BB64_3 Depth=1
	s_andn2_b64 vcc, exec, s[20:21]
	s_cbranch_vccnz .LBB64_57
; %bb.22:                               ;   in Loop: Header=BB64_3 Depth=1
	s_add_i32 s26, s16, -7
.LBB64_23:                              ;   Parent Loop BB64_3 Depth=1
                                        ; =>  This Inner Loop Header: Depth=2
	s_add_i32 s16, s26, 7
	s_lshl_b64 s[28:29], s[16:17], 2
	s_add_u32 s0, s39, s28
	s_addc_u32 s1, s40, s29
	s_load_dword s50, s[0:1], 0x0
                                        ; implicit-def: $vgpr8_vgpr9
	s_waitcnt lgkmcnt(0)
	s_ashr_i32 s0, s50, 31
	v_or_b32_e32 v3, s0, v7
	v_cmp_ne_u64_e32 vcc, 0, v[2:3]
	s_and_saveexec_b64 s[30:31], vcc
	s_xor_b64 s[30:31], exec, s[30:31]
	s_cbranch_execz .LBB64_25
; %bb.24:                               ;   in Loop: Header=BB64_23 Depth=2
	s_add_u32 s36, s50, s0
	s_mov_b32 s34, s0
	s_mov_b32 s35, s0
	s_addc_u32 s37, s0, s0
	s_xor_b64 s[36:37], s[36:37], s[34:35]
	v_cvt_f32_u32_e32 v3, s36
	v_cvt_f32_u32_e32 v5, s37
	s_sub_u32 s0, 0, s36
	s_subb_u32 s1, 0, s37
	v_mac_f32_e32 v3, 0x4f800000, v5
	v_rcp_f32_e32 v3, v3
	v_mul_f32_e32 v3, 0x5f7ffffc, v3
	v_mul_f32_e32 v5, 0x2f800000, v3
	v_trunc_f32_e32 v5, v5
	v_mac_f32_e32 v3, 0xcf800000, v5
	v_cvt_u32_f32_e32 v5, v5
	v_cvt_u32_f32_e32 v3, v3
	v_mul_lo_u32 v8, s0, v5
	v_mul_hi_u32 v10, s0, v3
	v_mul_lo_u32 v9, s1, v3
	v_add_u32_e32 v8, v10, v8
	v_mul_lo_u32 v11, s0, v3
	v_add_u32_e32 v8, v8, v9
	v_mul_lo_u32 v10, v3, v8
	v_mul_hi_u32 v12, v3, v11
	v_mul_hi_u32 v9, v3, v8
	v_add_co_u32_e32 v10, vcc, v12, v10
	v_addc_co_u32_e32 v9, vcc, 0, v9, vcc
	v_mul_hi_u32 v13, v5, v11
	v_mul_lo_u32 v11, v5, v11
	v_add_co_u32_e32 v10, vcc, v10, v11
	v_mul_hi_u32 v12, v5, v8
	v_addc_co_u32_e32 v9, vcc, v9, v13, vcc
	v_addc_co_u32_e32 v10, vcc, 0, v12, vcc
	v_mul_lo_u32 v8, v5, v8
	v_add_co_u32_e32 v8, vcc, v9, v8
	v_addc_co_u32_e32 v9, vcc, 0, v10, vcc
	v_add_co_u32_e32 v3, vcc, v3, v8
	v_addc_co_u32_e32 v5, vcc, v5, v9, vcc
	v_mul_lo_u32 v8, s0, v5
	v_mul_hi_u32 v9, s0, v3
	v_add_u32_e32 v8, v9, v8
	v_mul_lo_u32 v9, s1, v3
	v_add_u32_e32 v8, v8, v9
	v_mul_lo_u32 v10, s0, v3
	v_mul_hi_u32 v11, v5, v10
	v_mul_lo_u32 v12, v5, v10
	v_mul_lo_u32 v14, v3, v8
	v_mul_hi_u32 v10, v3, v10
	v_mul_hi_u32 v13, v3, v8
	v_add_co_u32_e32 v10, vcc, v10, v14
	v_addc_co_u32_e32 v13, vcc, 0, v13, vcc
	v_add_co_u32_e32 v10, vcc, v10, v12
	v_mul_hi_u32 v9, v5, v8
	v_addc_co_u32_e32 v10, vcc, v13, v11, vcc
	v_addc_co_u32_e32 v9, vcc, 0, v9, vcc
	v_mul_lo_u32 v8, v5, v8
	v_add_co_u32_e32 v8, vcc, v10, v8
	v_addc_co_u32_e32 v9, vcc, 0, v9, vcc
	v_add_co_u32_e32 v3, vcc, v3, v8
	v_addc_co_u32_e32 v5, vcc, v5, v9, vcc
	v_ashrrev_i32_e32 v12, 31, v7
	v_add_co_u32_e32 v8, vcc, v6, v12
	v_xor_b32_e32 v13, v8, v12
	v_addc_co_u32_e32 v7, vcc, v7, v12, vcc
	v_mad_u64_u32 v[8:9], s[0:1], v13, v5, 0
	v_mul_hi_u32 v10, v13, v3
	v_xor_b32_e32 v7, v7, v12
	v_add_co_u32_e32 v14, vcc, v10, v8
	v_addc_co_u32_e32 v15, vcc, 0, v9, vcc
	v_mad_u64_u32 v[10:11], s[0:1], v7, v3, 0
	v_add_co_u32_e32 v3, vcc, v14, v10
	v_mad_u64_u32 v[8:9], s[0:1], v7, v5, 0
	v_addc_co_u32_e32 v3, vcc, v15, v11, vcc
	v_addc_co_u32_e32 v5, vcc, 0, v9, vcc
	v_add_co_u32_e32 v3, vcc, v3, v8
	v_addc_co_u32_e32 v5, vcc, 0, v5, vcc
	v_mul_lo_u32 v10, s37, v3
	v_mul_lo_u32 v11, s36, v5
	v_mad_u64_u32 v[8:9], s[0:1], s36, v3, 0
	v_add3_u32 v9, v9, v11, v10
	v_sub_u32_e32 v10, v7, v9
	v_mov_b32_e32 v11, s37
	v_sub_co_u32_e32 v8, vcc, v13, v8
	v_subb_co_u32_e64 v10, s[0:1], v10, v11, vcc
	v_subrev_co_u32_e64 v11, s[0:1], s36, v8
	v_subbrev_co_u32_e64 v10, s[0:1], 0, v10, s[0:1]
	v_cmp_le_u32_e64 s[0:1], s37, v10
	v_cndmask_b32_e64 v13, 0, -1, s[0:1]
	v_cmp_le_u32_e64 s[0:1], s36, v11
	v_cndmask_b32_e64 v11, 0, -1, s[0:1]
	v_cmp_eq_u32_e64 s[0:1], s37, v10
	v_cndmask_b32_e64 v10, v13, v11, s[0:1]
	v_add_co_u32_e64 v11, s[0:1], 2, v3
	v_subb_co_u32_e32 v7, vcc, v7, v9, vcc
	v_addc_co_u32_e64 v13, s[0:1], 0, v5, s[0:1]
	v_cmp_le_u32_e32 vcc, s37, v7
	v_add_co_u32_e64 v14, s[0:1], 1, v3
	v_cndmask_b32_e64 v9, 0, -1, vcc
	v_cmp_le_u32_e32 vcc, s36, v8
	v_addc_co_u32_e64 v15, s[0:1], 0, v5, s[0:1]
	v_cndmask_b32_e64 v8, 0, -1, vcc
	v_cmp_eq_u32_e32 vcc, s37, v7
	v_cmp_ne_u32_e64 s[0:1], 0, v10
	v_cndmask_b32_e32 v7, v9, v8, vcc
	v_cmp_ne_u32_e32 vcc, 0, v7
	v_cndmask_b32_e64 v7, v14, v11, s[0:1]
	v_cndmask_b32_e64 v10, v15, v13, s[0:1]
	v_cndmask_b32_e32 v3, v3, v7, vcc
	v_xor_b32_e32 v8, s34, v12
	v_cndmask_b32_e32 v5, v5, v10, vcc
	v_xor_b32_e32 v7, s35, v12
	v_xor_b32_e32 v3, v3, v8
	;; [unrolled: 1-line block ×3, first 2 shown]
	v_sub_co_u32_e32 v8, vcc, v3, v8
	v_subb_co_u32_e32 v9, vcc, v5, v7, vcc
.LBB64_25:                              ;   in Loop: Header=BB64_23 Depth=2
	s_andn2_saveexec_b64 s[0:1], s[30:31]
	s_cbranch_execz .LBB64_27
; %bb.26:                               ;   in Loop: Header=BB64_23 Depth=2
	v_cvt_f32_u32_e32 v3, s50
	s_sub_i32 s16, 0, s50
	v_mov_b32_e32 v9, v2
	v_rcp_iflag_f32_e32 v3, v3
	v_mul_f32_e32 v3, 0x4f7ffffe, v3
	v_cvt_u32_f32_e32 v3, v3
	v_mul_lo_u32 v5, s16, v3
	v_mul_hi_u32 v5, v3, v5
	v_add_u32_e32 v3, v3, v5
	v_mul_hi_u32 v3, v6, v3
	v_mul_lo_u32 v5, v3, s50
	v_sub_u32_e32 v5, v6, v5
	v_add_u32_e32 v7, 1, v3
	v_subrev_u32_e32 v8, s50, v5
	v_cmp_le_u32_e32 vcc, s50, v5
	v_cndmask_b32_e32 v5, v5, v8, vcc
	v_cndmask_b32_e32 v3, v3, v7, vcc
	v_add_u32_e32 v7, 1, v3
	v_cmp_le_u32_e32 vcc, s50, v5
	v_cndmask_b32_e32 v8, v3, v7, vcc
.LBB64_27:                              ;   in Loop: Header=BB64_23 Depth=2
	s_or_b64 exec, exec, s[0:1]
	s_add_u32 s0, s43, s28
	s_addc_u32 s1, s44, s29
	s_add_i32 s16, s26, 6
	s_lshl_b64 s[28:29], s[16:17], 2
	s_add_u32 s30, s39, s28
	s_addc_u32 s31, s40, s29
	s_load_dword s51, s[30:31], 0x0
	s_load_dword s52, s[0:1], 0x0
                                        ; implicit-def: $vgpr10_vgpr11
	s_waitcnt lgkmcnt(0)
	s_ashr_i32 s0, s51, 31
	v_or_b32_e32 v3, s0, v9
	v_cmp_ne_u64_e32 vcc, 0, v[2:3]
	s_and_saveexec_b64 s[30:31], vcc
	s_xor_b64 s[30:31], exec, s[30:31]
	s_cbranch_execz .LBB64_29
; %bb.28:                               ;   in Loop: Header=BB64_23 Depth=2
	s_add_u32 s36, s51, s0
	s_mov_b32 s34, s0
	s_mov_b32 s35, s0
	s_addc_u32 s37, s0, s0
	s_xor_b64 s[36:37], s[36:37], s[34:35]
	v_cvt_f32_u32_e32 v3, s36
	v_cvt_f32_u32_e32 v5, s37
	s_sub_u32 s0, 0, s36
	s_subb_u32 s1, 0, s37
	v_mac_f32_e32 v3, 0x4f800000, v5
	v_rcp_f32_e32 v3, v3
	v_mul_f32_e32 v3, 0x5f7ffffc, v3
	v_mul_f32_e32 v5, 0x2f800000, v3
	v_trunc_f32_e32 v5, v5
	v_mac_f32_e32 v3, 0xcf800000, v5
	v_cvt_u32_f32_e32 v5, v5
	v_cvt_u32_f32_e32 v3, v3
	v_mul_lo_u32 v7, s0, v5
	v_mul_hi_u32 v11, s0, v3
	v_mul_lo_u32 v10, s1, v3
	v_add_u32_e32 v7, v11, v7
	v_mul_lo_u32 v12, s0, v3
	v_add_u32_e32 v7, v7, v10
	v_mul_lo_u32 v11, v3, v7
	v_mul_hi_u32 v13, v3, v12
	v_mul_hi_u32 v10, v3, v7
	v_add_co_u32_e32 v11, vcc, v13, v11
	v_addc_co_u32_e32 v10, vcc, 0, v10, vcc
	v_mul_hi_u32 v14, v5, v12
	v_mul_lo_u32 v12, v5, v12
	v_add_co_u32_e32 v11, vcc, v11, v12
	v_mul_hi_u32 v13, v5, v7
	v_addc_co_u32_e32 v10, vcc, v10, v14, vcc
	v_addc_co_u32_e32 v11, vcc, 0, v13, vcc
	v_mul_lo_u32 v7, v5, v7
	v_add_co_u32_e32 v7, vcc, v10, v7
	v_addc_co_u32_e32 v10, vcc, 0, v11, vcc
	v_add_co_u32_e32 v3, vcc, v3, v7
	v_addc_co_u32_e32 v5, vcc, v5, v10, vcc
	v_mul_lo_u32 v7, s0, v5
	v_mul_hi_u32 v10, s0, v3
	v_add_u32_e32 v7, v10, v7
	v_mul_lo_u32 v10, s1, v3
	v_add_u32_e32 v7, v7, v10
	v_mul_lo_u32 v11, s0, v3
	v_mul_hi_u32 v12, v5, v11
	v_mul_lo_u32 v13, v5, v11
	v_mul_lo_u32 v15, v3, v7
	v_mul_hi_u32 v11, v3, v11
	v_mul_hi_u32 v14, v3, v7
	v_add_co_u32_e32 v11, vcc, v11, v15
	v_addc_co_u32_e32 v14, vcc, 0, v14, vcc
	v_add_co_u32_e32 v11, vcc, v11, v13
	v_mul_hi_u32 v10, v5, v7
	v_addc_co_u32_e32 v11, vcc, v14, v12, vcc
	v_addc_co_u32_e32 v10, vcc, 0, v10, vcc
	v_mul_lo_u32 v7, v5, v7
	v_add_co_u32_e32 v7, vcc, v11, v7
	v_addc_co_u32_e32 v10, vcc, 0, v10, vcc
	v_add_co_u32_e32 v3, vcc, v3, v7
	v_addc_co_u32_e32 v5, vcc, v5, v10, vcc
	v_ashrrev_i32_e32 v7, 31, v9
	v_add_co_u32_e32 v10, vcc, v8, v7
	v_xor_b32_e32 v14, v10, v7
	v_addc_co_u32_e32 v9, vcc, v9, v7, vcc
	v_mad_u64_u32 v[10:11], s[0:1], v14, v5, 0
	v_mul_hi_u32 v12, v14, v3
	v_xor_b32_e32 v9, v9, v7
	v_add_co_u32_e32 v15, vcc, v12, v10
	v_addc_co_u32_e32 v16, vcc, 0, v11, vcc
	v_mad_u64_u32 v[12:13], s[0:1], v9, v3, 0
	v_add_co_u32_e32 v3, vcc, v15, v12
	v_mad_u64_u32 v[10:11], s[0:1], v9, v5, 0
	v_addc_co_u32_e32 v3, vcc, v16, v13, vcc
	v_addc_co_u32_e32 v5, vcc, 0, v11, vcc
	v_add_co_u32_e32 v3, vcc, v3, v10
	v_addc_co_u32_e32 v5, vcc, 0, v5, vcc
	v_mul_lo_u32 v12, s37, v3
	v_mul_lo_u32 v13, s36, v5
	v_mad_u64_u32 v[10:11], s[0:1], s36, v3, 0
	v_add3_u32 v11, v11, v13, v12
	v_sub_u32_e32 v12, v9, v11
	v_mov_b32_e32 v13, s37
	v_sub_co_u32_e32 v10, vcc, v14, v10
	v_subb_co_u32_e64 v12, s[0:1], v12, v13, vcc
	v_subrev_co_u32_e64 v13, s[0:1], s36, v10
	v_subbrev_co_u32_e64 v12, s[0:1], 0, v12, s[0:1]
	v_cmp_le_u32_e64 s[0:1], s37, v12
	v_cndmask_b32_e64 v14, 0, -1, s[0:1]
	v_cmp_le_u32_e64 s[0:1], s36, v13
	v_cndmask_b32_e64 v13, 0, -1, s[0:1]
	v_cmp_eq_u32_e64 s[0:1], s37, v12
	v_cndmask_b32_e64 v12, v14, v13, s[0:1]
	v_add_co_u32_e64 v13, s[0:1], 2, v3
	v_subb_co_u32_e32 v9, vcc, v9, v11, vcc
	v_addc_co_u32_e64 v14, s[0:1], 0, v5, s[0:1]
	v_cmp_le_u32_e32 vcc, s37, v9
	v_add_co_u32_e64 v15, s[0:1], 1, v3
	v_cndmask_b32_e64 v11, 0, -1, vcc
	v_cmp_le_u32_e32 vcc, s36, v10
	v_addc_co_u32_e64 v16, s[0:1], 0, v5, s[0:1]
	v_cndmask_b32_e64 v10, 0, -1, vcc
	v_cmp_eq_u32_e32 vcc, s37, v9
	v_cmp_ne_u32_e64 s[0:1], 0, v12
	v_cndmask_b32_e32 v9, v11, v10, vcc
	v_cmp_ne_u32_e32 vcc, 0, v9
	v_cndmask_b32_e64 v9, v15, v13, s[0:1]
	v_cndmask_b32_e64 v12, v16, v14, s[0:1]
	v_cndmask_b32_e32 v3, v3, v9, vcc
	v_xor_b32_e32 v9, s35, v7
	v_xor_b32_e32 v7, s34, v7
	v_cndmask_b32_e32 v5, v5, v12, vcc
	v_xor_b32_e32 v3, v3, v7
	v_xor_b32_e32 v5, v5, v9
	v_sub_co_u32_e32 v10, vcc, v3, v7
	v_subb_co_u32_e32 v11, vcc, v5, v9, vcc
.LBB64_29:                              ;   in Loop: Header=BB64_23 Depth=2
	s_andn2_saveexec_b64 s[0:1], s[30:31]
	s_cbranch_execz .LBB64_31
; %bb.30:                               ;   in Loop: Header=BB64_23 Depth=2
	v_cvt_f32_u32_e32 v3, s51
	s_sub_i32 s16, 0, s51
	v_mov_b32_e32 v11, v2
	v_rcp_iflag_f32_e32 v3, v3
	v_mul_f32_e32 v3, 0x4f7ffffe, v3
	v_cvt_u32_f32_e32 v3, v3
	v_mul_lo_u32 v5, s16, v3
	v_mul_hi_u32 v5, v3, v5
	v_add_u32_e32 v3, v3, v5
	v_mul_hi_u32 v3, v8, v3
	v_mul_lo_u32 v5, v3, s51
	v_sub_u32_e32 v5, v8, v5
	v_add_u32_e32 v7, 1, v3
	v_subrev_u32_e32 v9, s51, v5
	v_cmp_le_u32_e32 vcc, s51, v5
	v_cndmask_b32_e32 v5, v5, v9, vcc
	v_cndmask_b32_e32 v3, v3, v7, vcc
	v_add_u32_e32 v7, 1, v3
	v_cmp_le_u32_e32 vcc, s51, v5
	v_cndmask_b32_e32 v10, v3, v7, vcc
.LBB64_31:                              ;   in Loop: Header=BB64_23 Depth=2
	s_or_b64 exec, exec, s[0:1]
	s_add_u32 s0, s43, s28
	s_addc_u32 s1, s44, s29
	s_add_i32 s16, s26, 5
	s_lshl_b64 s[28:29], s[16:17], 2
	s_add_u32 s30, s39, s28
	s_addc_u32 s31, s40, s29
	s_load_dword s53, s[30:31], 0x0
	s_load_dword s54, s[0:1], 0x0
                                        ; implicit-def: $vgpr12_vgpr13
	s_waitcnt lgkmcnt(0)
	s_ashr_i32 s0, s53, 31
	v_or_b32_e32 v3, s0, v11
	v_cmp_ne_u64_e32 vcc, 0, v[2:3]
	s_and_saveexec_b64 s[30:31], vcc
	s_xor_b64 s[30:31], exec, s[30:31]
	s_cbranch_execz .LBB64_33
; %bb.32:                               ;   in Loop: Header=BB64_23 Depth=2
	s_add_u32 s36, s53, s0
	s_mov_b32 s34, s0
	s_mov_b32 s35, s0
	s_addc_u32 s37, s0, s0
	s_xor_b64 s[36:37], s[36:37], s[34:35]
	v_cvt_f32_u32_e32 v3, s36
	v_cvt_f32_u32_e32 v5, s37
	s_sub_u32 s0, 0, s36
	s_subb_u32 s1, 0, s37
	v_mac_f32_e32 v3, 0x4f800000, v5
	v_rcp_f32_e32 v3, v3
	v_mul_f32_e32 v3, 0x5f7ffffc, v3
	v_mul_f32_e32 v5, 0x2f800000, v3
	v_trunc_f32_e32 v5, v5
	v_mac_f32_e32 v3, 0xcf800000, v5
	v_cvt_u32_f32_e32 v5, v5
	v_cvt_u32_f32_e32 v3, v3
	v_mul_lo_u32 v7, s0, v5
	v_mul_hi_u32 v12, s0, v3
	v_mul_lo_u32 v9, s1, v3
	v_add_u32_e32 v7, v12, v7
	v_mul_lo_u32 v13, s0, v3
	v_add_u32_e32 v7, v7, v9
	v_mul_lo_u32 v12, v3, v7
	v_mul_hi_u32 v14, v3, v13
	v_mul_hi_u32 v9, v3, v7
	v_add_co_u32_e32 v12, vcc, v14, v12
	v_addc_co_u32_e32 v9, vcc, 0, v9, vcc
	v_mul_hi_u32 v15, v5, v13
	v_mul_lo_u32 v13, v5, v13
	v_add_co_u32_e32 v12, vcc, v12, v13
	v_mul_hi_u32 v14, v5, v7
	v_addc_co_u32_e32 v9, vcc, v9, v15, vcc
	v_addc_co_u32_e32 v12, vcc, 0, v14, vcc
	v_mul_lo_u32 v7, v5, v7
	v_add_co_u32_e32 v7, vcc, v9, v7
	v_addc_co_u32_e32 v9, vcc, 0, v12, vcc
	v_add_co_u32_e32 v3, vcc, v3, v7
	v_addc_co_u32_e32 v5, vcc, v5, v9, vcc
	v_mul_lo_u32 v7, s0, v5
	v_mul_hi_u32 v9, s0, v3
	v_add_u32_e32 v7, v9, v7
	v_mul_lo_u32 v9, s1, v3
	v_add_u32_e32 v7, v7, v9
	v_mul_lo_u32 v12, s0, v3
	v_mul_hi_u32 v13, v5, v12
	v_mul_lo_u32 v14, v5, v12
	v_mul_lo_u32 v16, v3, v7
	v_mul_hi_u32 v12, v3, v12
	v_mul_hi_u32 v15, v3, v7
	v_add_co_u32_e32 v12, vcc, v12, v16
	v_addc_co_u32_e32 v15, vcc, 0, v15, vcc
	v_add_co_u32_e32 v12, vcc, v12, v14
	v_mul_hi_u32 v9, v5, v7
	v_addc_co_u32_e32 v12, vcc, v15, v13, vcc
	v_addc_co_u32_e32 v9, vcc, 0, v9, vcc
	v_mul_lo_u32 v7, v5, v7
	v_add_co_u32_e32 v7, vcc, v12, v7
	v_addc_co_u32_e32 v9, vcc, 0, v9, vcc
	v_add_co_u32_e32 v3, vcc, v3, v7
	v_addc_co_u32_e32 v5, vcc, v5, v9, vcc
	v_ashrrev_i32_e32 v7, 31, v11
	v_add_co_u32_e32 v9, vcc, v10, v7
	v_xor_b32_e32 v9, v9, v7
	v_addc_co_u32_e32 v11, vcc, v11, v7, vcc
	v_mad_u64_u32 v[12:13], s[0:1], v9, v5, 0
	v_mul_hi_u32 v14, v9, v3
	v_xor_b32_e32 v11, v11, v7
	v_add_co_u32_e32 v16, vcc, v14, v12
	v_addc_co_u32_e32 v17, vcc, 0, v13, vcc
	v_mad_u64_u32 v[14:15], s[0:1], v11, v3, 0
	v_add_co_u32_e32 v3, vcc, v16, v14
	v_mad_u64_u32 v[12:13], s[0:1], v11, v5, 0
	v_addc_co_u32_e32 v3, vcc, v17, v15, vcc
	v_addc_co_u32_e32 v5, vcc, 0, v13, vcc
	v_add_co_u32_e32 v3, vcc, v3, v12
	v_addc_co_u32_e32 v5, vcc, 0, v5, vcc
	v_mul_lo_u32 v14, s37, v3
	v_mul_lo_u32 v15, s36, v5
	v_mad_u64_u32 v[12:13], s[0:1], s36, v3, 0
	v_add3_u32 v13, v13, v15, v14
	v_sub_u32_e32 v14, v11, v13
	v_mov_b32_e32 v15, s37
	v_sub_co_u32_e32 v9, vcc, v9, v12
	v_subb_co_u32_e64 v12, s[0:1], v14, v15, vcc
	v_subrev_co_u32_e64 v14, s[0:1], s36, v9
	v_subbrev_co_u32_e64 v12, s[0:1], 0, v12, s[0:1]
	v_cmp_le_u32_e64 s[0:1], s37, v12
	v_cndmask_b32_e64 v15, 0, -1, s[0:1]
	v_cmp_le_u32_e64 s[0:1], s36, v14
	v_cndmask_b32_e64 v14, 0, -1, s[0:1]
	v_cmp_eq_u32_e64 s[0:1], s37, v12
	v_cndmask_b32_e64 v12, v15, v14, s[0:1]
	v_add_co_u32_e64 v14, s[0:1], 2, v3
	v_subb_co_u32_e32 v11, vcc, v11, v13, vcc
	v_addc_co_u32_e64 v15, s[0:1], 0, v5, s[0:1]
	v_cmp_le_u32_e32 vcc, s37, v11
	v_add_co_u32_e64 v16, s[0:1], 1, v3
	v_cndmask_b32_e64 v13, 0, -1, vcc
	v_cmp_le_u32_e32 vcc, s36, v9
	v_addc_co_u32_e64 v17, s[0:1], 0, v5, s[0:1]
	v_cndmask_b32_e64 v9, 0, -1, vcc
	v_cmp_eq_u32_e32 vcc, s37, v11
	v_cmp_ne_u32_e64 s[0:1], 0, v12
	v_cndmask_b32_e32 v9, v13, v9, vcc
	v_cmp_ne_u32_e32 vcc, 0, v9
	v_cndmask_b32_e64 v9, v16, v14, s[0:1]
	v_cndmask_b32_e64 v12, v17, v15, s[0:1]
	v_cndmask_b32_e32 v3, v3, v9, vcc
	v_xor_b32_e32 v9, s35, v7
	v_xor_b32_e32 v7, s34, v7
	v_cndmask_b32_e32 v5, v5, v12, vcc
	v_xor_b32_e32 v3, v3, v7
	v_xor_b32_e32 v5, v5, v9
	v_sub_co_u32_e32 v12, vcc, v3, v7
	v_subb_co_u32_e32 v13, vcc, v5, v9, vcc
.LBB64_33:                              ;   in Loop: Header=BB64_23 Depth=2
	s_andn2_saveexec_b64 s[0:1], s[30:31]
	s_cbranch_execz .LBB64_35
; %bb.34:                               ;   in Loop: Header=BB64_23 Depth=2
	v_cvt_f32_u32_e32 v3, s53
	s_sub_i32 s16, 0, s53
	v_mov_b32_e32 v13, v2
	v_rcp_iflag_f32_e32 v3, v3
	v_mul_f32_e32 v3, 0x4f7ffffe, v3
	v_cvt_u32_f32_e32 v3, v3
	v_mul_lo_u32 v5, s16, v3
	v_mul_hi_u32 v5, v3, v5
	v_add_u32_e32 v3, v3, v5
	v_mul_hi_u32 v3, v10, v3
	v_mul_lo_u32 v5, v3, s53
	v_sub_u32_e32 v5, v10, v5
	v_add_u32_e32 v7, 1, v3
	v_subrev_u32_e32 v9, s53, v5
	v_cmp_le_u32_e32 vcc, s53, v5
	v_cndmask_b32_e32 v5, v5, v9, vcc
	v_cndmask_b32_e32 v3, v3, v7, vcc
	v_add_u32_e32 v7, 1, v3
	v_cmp_le_u32_e32 vcc, s53, v5
	v_cndmask_b32_e32 v12, v3, v7, vcc
.LBB64_35:                              ;   in Loop: Header=BB64_23 Depth=2
	s_or_b64 exec, exec, s[0:1]
	s_add_u32 s0, s43, s28
	s_addc_u32 s1, s44, s29
	s_add_i32 s16, s26, 4
	s_lshl_b64 s[28:29], s[16:17], 2
	s_add_u32 s30, s39, s28
	s_addc_u32 s31, s40, s29
	s_load_dword s55, s[30:31], 0x0
	s_load_dword s56, s[0:1], 0x0
                                        ; implicit-def: $vgpr14_vgpr15
	s_waitcnt lgkmcnt(0)
	s_ashr_i32 s0, s55, 31
	v_or_b32_e32 v3, s0, v13
	v_cmp_ne_u64_e32 vcc, 0, v[2:3]
	s_and_saveexec_b64 s[30:31], vcc
	s_xor_b64 s[30:31], exec, s[30:31]
	s_cbranch_execz .LBB64_37
; %bb.36:                               ;   in Loop: Header=BB64_23 Depth=2
	s_add_u32 s36, s55, s0
	s_mov_b32 s34, s0
	s_mov_b32 s35, s0
	s_addc_u32 s37, s0, s0
	s_xor_b64 s[36:37], s[36:37], s[34:35]
	v_cvt_f32_u32_e32 v3, s36
	v_cvt_f32_u32_e32 v5, s37
	s_sub_u32 s0, 0, s36
	s_subb_u32 s1, 0, s37
	v_mac_f32_e32 v3, 0x4f800000, v5
	v_rcp_f32_e32 v3, v3
	v_mul_f32_e32 v3, 0x5f7ffffc, v3
	v_mul_f32_e32 v5, 0x2f800000, v3
	v_trunc_f32_e32 v5, v5
	v_mac_f32_e32 v3, 0xcf800000, v5
	v_cvt_u32_f32_e32 v5, v5
	v_cvt_u32_f32_e32 v3, v3
	v_mul_lo_u32 v7, s0, v5
	v_mul_hi_u32 v11, s0, v3
	v_mul_lo_u32 v9, s1, v3
	v_add_u32_e32 v7, v11, v7
	v_mul_lo_u32 v14, s0, v3
	v_add_u32_e32 v7, v7, v9
	v_mul_lo_u32 v11, v3, v7
	v_mul_hi_u32 v15, v3, v14
	v_mul_hi_u32 v9, v3, v7
	v_add_co_u32_e32 v11, vcc, v15, v11
	v_addc_co_u32_e32 v9, vcc, 0, v9, vcc
	v_mul_hi_u32 v16, v5, v14
	v_mul_lo_u32 v14, v5, v14
	v_add_co_u32_e32 v11, vcc, v11, v14
	v_mul_hi_u32 v15, v5, v7
	v_addc_co_u32_e32 v9, vcc, v9, v16, vcc
	v_addc_co_u32_e32 v11, vcc, 0, v15, vcc
	v_mul_lo_u32 v7, v5, v7
	v_add_co_u32_e32 v7, vcc, v9, v7
	v_addc_co_u32_e32 v9, vcc, 0, v11, vcc
	v_add_co_u32_e32 v3, vcc, v3, v7
	v_addc_co_u32_e32 v5, vcc, v5, v9, vcc
	v_mul_lo_u32 v7, s0, v5
	v_mul_hi_u32 v9, s0, v3
	v_add_u32_e32 v7, v9, v7
	v_mul_lo_u32 v9, s1, v3
	v_add_u32_e32 v7, v7, v9
	v_mul_lo_u32 v11, s0, v3
	v_mul_hi_u32 v14, v5, v11
	v_mul_lo_u32 v15, v5, v11
	v_mul_lo_u32 v17, v3, v7
	v_mul_hi_u32 v11, v3, v11
	v_mul_hi_u32 v16, v3, v7
	v_add_co_u32_e32 v11, vcc, v11, v17
	v_addc_co_u32_e32 v16, vcc, 0, v16, vcc
	v_add_co_u32_e32 v11, vcc, v11, v15
	v_mul_hi_u32 v9, v5, v7
	v_addc_co_u32_e32 v11, vcc, v16, v14, vcc
	v_addc_co_u32_e32 v9, vcc, 0, v9, vcc
	v_mul_lo_u32 v7, v5, v7
	v_add_co_u32_e32 v7, vcc, v11, v7
	v_addc_co_u32_e32 v9, vcc, 0, v9, vcc
	v_add_co_u32_e32 v3, vcc, v3, v7
	v_addc_co_u32_e32 v5, vcc, v5, v9, vcc
	v_ashrrev_i32_e32 v7, 31, v13
	v_add_co_u32_e32 v9, vcc, v12, v7
	v_xor_b32_e32 v9, v9, v7
	v_addc_co_u32_e32 v11, vcc, v13, v7, vcc
	v_mad_u64_u32 v[14:15], s[0:1], v9, v5, 0
	v_mul_hi_u32 v13, v9, v3
	v_xor_b32_e32 v11, v11, v7
	v_add_co_u32_e32 v13, vcc, v13, v14
	v_addc_co_u32_e32 v18, vcc, 0, v15, vcc
	v_mad_u64_u32 v[16:17], s[0:1], v11, v3, 0
	v_add_co_u32_e32 v3, vcc, v13, v16
	v_mad_u64_u32 v[14:15], s[0:1], v11, v5, 0
	v_addc_co_u32_e32 v3, vcc, v18, v17, vcc
	v_addc_co_u32_e32 v5, vcc, 0, v15, vcc
	v_add_co_u32_e32 v3, vcc, v3, v14
	v_addc_co_u32_e32 v5, vcc, 0, v5, vcc
	v_mul_lo_u32 v13, s37, v3
	v_mul_lo_u32 v16, s36, v5
	v_mad_u64_u32 v[14:15], s[0:1], s36, v3, 0
	v_add3_u32 v13, v15, v16, v13
	v_sub_u32_e32 v15, v11, v13
	v_mov_b32_e32 v16, s37
	v_sub_co_u32_e32 v9, vcc, v9, v14
	v_subb_co_u32_e64 v14, s[0:1], v15, v16, vcc
	v_subrev_co_u32_e64 v15, s[0:1], s36, v9
	v_subbrev_co_u32_e64 v14, s[0:1], 0, v14, s[0:1]
	v_cmp_le_u32_e64 s[0:1], s37, v14
	v_cndmask_b32_e64 v16, 0, -1, s[0:1]
	v_cmp_le_u32_e64 s[0:1], s36, v15
	v_cndmask_b32_e64 v15, 0, -1, s[0:1]
	v_cmp_eq_u32_e64 s[0:1], s37, v14
	v_cndmask_b32_e64 v14, v16, v15, s[0:1]
	v_add_co_u32_e64 v15, s[0:1], 2, v3
	v_subb_co_u32_e32 v11, vcc, v11, v13, vcc
	v_addc_co_u32_e64 v16, s[0:1], 0, v5, s[0:1]
	v_cmp_le_u32_e32 vcc, s37, v11
	v_add_co_u32_e64 v17, s[0:1], 1, v3
	v_cndmask_b32_e64 v13, 0, -1, vcc
	v_cmp_le_u32_e32 vcc, s36, v9
	v_addc_co_u32_e64 v18, s[0:1], 0, v5, s[0:1]
	v_cndmask_b32_e64 v9, 0, -1, vcc
	v_cmp_eq_u32_e32 vcc, s37, v11
	v_cmp_ne_u32_e64 s[0:1], 0, v14
	v_cndmask_b32_e32 v9, v13, v9, vcc
	v_cmp_ne_u32_e32 vcc, 0, v9
	v_cndmask_b32_e64 v9, v17, v15, s[0:1]
	v_cndmask_b32_e64 v14, v18, v16, s[0:1]
	v_cndmask_b32_e32 v3, v3, v9, vcc
	v_xor_b32_e32 v9, s35, v7
	v_xor_b32_e32 v7, s34, v7
	v_cndmask_b32_e32 v5, v5, v14, vcc
	v_xor_b32_e32 v3, v3, v7
	v_xor_b32_e32 v5, v5, v9
	v_sub_co_u32_e32 v14, vcc, v3, v7
	v_subb_co_u32_e32 v15, vcc, v5, v9, vcc
.LBB64_37:                              ;   in Loop: Header=BB64_23 Depth=2
	s_andn2_saveexec_b64 s[0:1], s[30:31]
	s_cbranch_execz .LBB64_39
; %bb.38:                               ;   in Loop: Header=BB64_23 Depth=2
	v_cvt_f32_u32_e32 v3, s55
	s_sub_i32 s16, 0, s55
	v_mov_b32_e32 v15, v2
	v_rcp_iflag_f32_e32 v3, v3
	v_mul_f32_e32 v3, 0x4f7ffffe, v3
	v_cvt_u32_f32_e32 v3, v3
	v_mul_lo_u32 v5, s16, v3
	v_mul_hi_u32 v5, v3, v5
	v_add_u32_e32 v3, v3, v5
	v_mul_hi_u32 v3, v12, v3
	v_mul_lo_u32 v5, v3, s55
	v_sub_u32_e32 v5, v12, v5
	v_add_u32_e32 v7, 1, v3
	v_subrev_u32_e32 v9, s55, v5
	v_cmp_le_u32_e32 vcc, s55, v5
	v_cndmask_b32_e32 v5, v5, v9, vcc
	v_cndmask_b32_e32 v3, v3, v7, vcc
	v_add_u32_e32 v7, 1, v3
	v_cmp_le_u32_e32 vcc, s55, v5
	v_cndmask_b32_e32 v14, v3, v7, vcc
.LBB64_39:                              ;   in Loop: Header=BB64_23 Depth=2
	s_or_b64 exec, exec, s[0:1]
	s_add_u32 s0, s43, s28
	s_addc_u32 s1, s44, s29
	s_add_i32 s16, s26, 3
	s_lshl_b64 s[28:29], s[16:17], 2
	s_add_u32 s30, s39, s28
	s_addc_u32 s31, s40, s29
	s_load_dword s57, s[30:31], 0x0
	s_load_dword s58, s[0:1], 0x0
                                        ; implicit-def: $vgpr16_vgpr17
	s_waitcnt lgkmcnt(0)
	s_ashr_i32 s0, s57, 31
	v_or_b32_e32 v3, s0, v15
	v_cmp_ne_u64_e32 vcc, 0, v[2:3]
	s_and_saveexec_b64 s[30:31], vcc
	s_xor_b64 s[30:31], exec, s[30:31]
	s_cbranch_execz .LBB64_41
; %bb.40:                               ;   in Loop: Header=BB64_23 Depth=2
	s_add_u32 s36, s57, s0
	s_mov_b32 s34, s0
	s_mov_b32 s35, s0
	s_addc_u32 s37, s0, s0
	s_xor_b64 s[36:37], s[36:37], s[34:35]
	v_cvt_f32_u32_e32 v3, s36
	v_cvt_f32_u32_e32 v5, s37
	s_sub_u32 s0, 0, s36
	s_subb_u32 s1, 0, s37
	v_mac_f32_e32 v3, 0x4f800000, v5
	v_rcp_f32_e32 v3, v3
	v_mul_f32_e32 v3, 0x5f7ffffc, v3
	v_mul_f32_e32 v5, 0x2f800000, v3
	v_trunc_f32_e32 v5, v5
	v_mac_f32_e32 v3, 0xcf800000, v5
	v_cvt_u32_f32_e32 v5, v5
	v_cvt_u32_f32_e32 v3, v3
	v_mul_lo_u32 v7, s0, v5
	v_mul_hi_u32 v11, s0, v3
	v_mul_lo_u32 v9, s1, v3
	v_add_u32_e32 v7, v11, v7
	v_mul_lo_u32 v13, s0, v3
	v_add_u32_e32 v7, v7, v9
	v_mul_lo_u32 v11, v3, v7
	v_mul_hi_u32 v16, v3, v13
	v_mul_hi_u32 v9, v3, v7
	v_add_co_u32_e32 v11, vcc, v16, v11
	v_addc_co_u32_e32 v9, vcc, 0, v9, vcc
	v_mul_hi_u32 v17, v5, v13
	v_mul_lo_u32 v13, v5, v13
	v_add_co_u32_e32 v11, vcc, v11, v13
	v_mul_hi_u32 v16, v5, v7
	v_addc_co_u32_e32 v9, vcc, v9, v17, vcc
	v_addc_co_u32_e32 v11, vcc, 0, v16, vcc
	v_mul_lo_u32 v7, v5, v7
	v_add_co_u32_e32 v7, vcc, v9, v7
	v_addc_co_u32_e32 v9, vcc, 0, v11, vcc
	v_add_co_u32_e32 v3, vcc, v3, v7
	v_addc_co_u32_e32 v5, vcc, v5, v9, vcc
	v_mul_lo_u32 v7, s0, v5
	v_mul_hi_u32 v9, s0, v3
	v_add_u32_e32 v7, v9, v7
	v_mul_lo_u32 v9, s1, v3
	v_add_u32_e32 v7, v7, v9
	v_mul_lo_u32 v11, s0, v3
	v_mul_hi_u32 v13, v5, v11
	v_mul_lo_u32 v16, v5, v11
	v_mul_lo_u32 v18, v3, v7
	v_mul_hi_u32 v11, v3, v11
	v_mul_hi_u32 v17, v3, v7
	v_add_co_u32_e32 v11, vcc, v11, v18
	v_addc_co_u32_e32 v17, vcc, 0, v17, vcc
	v_add_co_u32_e32 v11, vcc, v11, v16
	v_mul_hi_u32 v9, v5, v7
	v_addc_co_u32_e32 v11, vcc, v17, v13, vcc
	v_addc_co_u32_e32 v9, vcc, 0, v9, vcc
	v_mul_lo_u32 v7, v5, v7
	v_add_co_u32_e32 v7, vcc, v11, v7
	v_addc_co_u32_e32 v9, vcc, 0, v9, vcc
	v_add_co_u32_e32 v3, vcc, v3, v7
	v_addc_co_u32_e32 v5, vcc, v5, v9, vcc
	v_ashrrev_i32_e32 v7, 31, v15
	v_add_co_u32_e32 v9, vcc, v14, v7
	v_xor_b32_e32 v9, v9, v7
	v_addc_co_u32_e32 v11, vcc, v15, v7, vcc
	v_mad_u64_u32 v[16:17], s[0:1], v9, v5, 0
	v_mul_hi_u32 v13, v9, v3
	v_xor_b32_e32 v11, v11, v7
	v_add_co_u32_e32 v13, vcc, v13, v16
	v_addc_co_u32_e32 v15, vcc, 0, v17, vcc
	v_mad_u64_u32 v[18:19], s[0:1], v11, v3, 0
	v_add_co_u32_e32 v3, vcc, v13, v18
	v_mad_u64_u32 v[16:17], s[0:1], v11, v5, 0
	v_addc_co_u32_e32 v3, vcc, v15, v19, vcc
	v_addc_co_u32_e32 v5, vcc, 0, v17, vcc
	v_add_co_u32_e32 v3, vcc, v3, v16
	v_addc_co_u32_e32 v5, vcc, 0, v5, vcc
	v_mul_lo_u32 v13, s37, v3
	v_mul_lo_u32 v15, s36, v5
	v_mad_u64_u32 v[16:17], s[0:1], s36, v3, 0
	v_add3_u32 v13, v17, v15, v13
	v_sub_u32_e32 v15, v11, v13
	v_mov_b32_e32 v17, s37
	v_sub_co_u32_e32 v9, vcc, v9, v16
	v_subb_co_u32_e64 v15, s[0:1], v15, v17, vcc
	v_subrev_co_u32_e64 v16, s[0:1], s36, v9
	v_subbrev_co_u32_e64 v15, s[0:1], 0, v15, s[0:1]
	v_cmp_le_u32_e64 s[0:1], s37, v15
	v_cndmask_b32_e64 v17, 0, -1, s[0:1]
	v_cmp_le_u32_e64 s[0:1], s36, v16
	v_cndmask_b32_e64 v16, 0, -1, s[0:1]
	v_cmp_eq_u32_e64 s[0:1], s37, v15
	v_cndmask_b32_e64 v15, v17, v16, s[0:1]
	v_add_co_u32_e64 v16, s[0:1], 2, v3
	v_subb_co_u32_e32 v11, vcc, v11, v13, vcc
	v_addc_co_u32_e64 v17, s[0:1], 0, v5, s[0:1]
	v_cmp_le_u32_e32 vcc, s37, v11
	v_add_co_u32_e64 v18, s[0:1], 1, v3
	v_cndmask_b32_e64 v13, 0, -1, vcc
	v_cmp_le_u32_e32 vcc, s36, v9
	v_addc_co_u32_e64 v19, s[0:1], 0, v5, s[0:1]
	v_cndmask_b32_e64 v9, 0, -1, vcc
	v_cmp_eq_u32_e32 vcc, s37, v11
	v_cmp_ne_u32_e64 s[0:1], 0, v15
	v_cndmask_b32_e32 v9, v13, v9, vcc
	v_cmp_ne_u32_e32 vcc, 0, v9
	v_cndmask_b32_e64 v9, v18, v16, s[0:1]
	v_cndmask_b32_e64 v15, v19, v17, s[0:1]
	v_cndmask_b32_e32 v3, v3, v9, vcc
	v_xor_b32_e32 v9, s35, v7
	v_xor_b32_e32 v7, s34, v7
	v_cndmask_b32_e32 v5, v5, v15, vcc
	v_xor_b32_e32 v3, v3, v7
	v_xor_b32_e32 v5, v5, v9
	v_sub_co_u32_e32 v16, vcc, v3, v7
	v_subb_co_u32_e32 v17, vcc, v5, v9, vcc
.LBB64_41:                              ;   in Loop: Header=BB64_23 Depth=2
	s_andn2_saveexec_b64 s[0:1], s[30:31]
	s_cbranch_execz .LBB64_43
; %bb.42:                               ;   in Loop: Header=BB64_23 Depth=2
	v_cvt_f32_u32_e32 v3, s57
	s_sub_i32 s16, 0, s57
	v_mov_b32_e32 v17, v2
	v_rcp_iflag_f32_e32 v3, v3
	v_mul_f32_e32 v3, 0x4f7ffffe, v3
	v_cvt_u32_f32_e32 v3, v3
	v_mul_lo_u32 v5, s16, v3
	v_mul_hi_u32 v5, v3, v5
	v_add_u32_e32 v3, v3, v5
	v_mul_hi_u32 v3, v14, v3
	v_mul_lo_u32 v5, v3, s57
	v_sub_u32_e32 v5, v14, v5
	v_add_u32_e32 v7, 1, v3
	v_subrev_u32_e32 v9, s57, v5
	v_cmp_le_u32_e32 vcc, s57, v5
	v_cndmask_b32_e32 v5, v5, v9, vcc
	v_cndmask_b32_e32 v3, v3, v7, vcc
	v_add_u32_e32 v7, 1, v3
	v_cmp_le_u32_e32 vcc, s57, v5
	v_cndmask_b32_e32 v16, v3, v7, vcc
.LBB64_43:                              ;   in Loop: Header=BB64_23 Depth=2
	s_or_b64 exec, exec, s[0:1]
	s_add_u32 s0, s43, s28
	s_addc_u32 s1, s44, s29
	s_add_i32 s16, s26, 2
	s_lshl_b64 s[28:29], s[16:17], 2
	s_add_u32 s30, s39, s28
	s_addc_u32 s31, s40, s29
	s_load_dword s59, s[30:31], 0x0
	s_load_dword s60, s[0:1], 0x0
                                        ; implicit-def: $vgpr18_vgpr19
	s_waitcnt lgkmcnt(0)
	s_ashr_i32 s0, s59, 31
	v_or_b32_e32 v3, s0, v17
	v_cmp_ne_u64_e32 vcc, 0, v[2:3]
	s_and_saveexec_b64 s[30:31], vcc
	s_xor_b64 s[30:31], exec, s[30:31]
	s_cbranch_execz .LBB64_45
; %bb.44:                               ;   in Loop: Header=BB64_23 Depth=2
	s_add_u32 s36, s59, s0
	s_mov_b32 s34, s0
	s_mov_b32 s35, s0
	s_addc_u32 s37, s0, s0
	s_xor_b64 s[36:37], s[36:37], s[34:35]
	v_cvt_f32_u32_e32 v3, s36
	v_cvt_f32_u32_e32 v5, s37
	s_sub_u32 s0, 0, s36
	s_subb_u32 s1, 0, s37
	v_mac_f32_e32 v3, 0x4f800000, v5
	v_rcp_f32_e32 v3, v3
	v_mul_f32_e32 v3, 0x5f7ffffc, v3
	v_mul_f32_e32 v5, 0x2f800000, v3
	v_trunc_f32_e32 v5, v5
	v_mac_f32_e32 v3, 0xcf800000, v5
	v_cvt_u32_f32_e32 v5, v5
	v_cvt_u32_f32_e32 v3, v3
	v_mul_lo_u32 v7, s0, v5
	v_mul_hi_u32 v11, s0, v3
	v_mul_lo_u32 v9, s1, v3
	v_add_u32_e32 v7, v11, v7
	v_mul_lo_u32 v13, s0, v3
	v_add_u32_e32 v7, v7, v9
	v_mul_lo_u32 v11, v3, v7
	v_mul_hi_u32 v15, v3, v13
	v_mul_hi_u32 v9, v3, v7
	v_add_co_u32_e32 v11, vcc, v15, v11
	v_addc_co_u32_e32 v9, vcc, 0, v9, vcc
	v_mul_hi_u32 v18, v5, v13
	v_mul_lo_u32 v13, v5, v13
	v_add_co_u32_e32 v11, vcc, v11, v13
	v_mul_hi_u32 v15, v5, v7
	v_addc_co_u32_e32 v9, vcc, v9, v18, vcc
	v_addc_co_u32_e32 v11, vcc, 0, v15, vcc
	v_mul_lo_u32 v7, v5, v7
	v_add_co_u32_e32 v7, vcc, v9, v7
	v_addc_co_u32_e32 v9, vcc, 0, v11, vcc
	v_add_co_u32_e32 v3, vcc, v3, v7
	v_addc_co_u32_e32 v5, vcc, v5, v9, vcc
	v_mul_lo_u32 v7, s0, v5
	v_mul_hi_u32 v9, s0, v3
	v_add_u32_e32 v7, v9, v7
	v_mul_lo_u32 v9, s1, v3
	v_add_u32_e32 v7, v7, v9
	v_mul_lo_u32 v11, s0, v3
	v_mul_hi_u32 v13, v5, v11
	v_mul_lo_u32 v15, v5, v11
	v_mul_lo_u32 v19, v3, v7
	v_mul_hi_u32 v11, v3, v11
	v_mul_hi_u32 v18, v3, v7
	v_add_co_u32_e32 v11, vcc, v11, v19
	v_addc_co_u32_e32 v18, vcc, 0, v18, vcc
	v_add_co_u32_e32 v11, vcc, v11, v15
	v_mul_hi_u32 v9, v5, v7
	v_addc_co_u32_e32 v11, vcc, v18, v13, vcc
	v_addc_co_u32_e32 v9, vcc, 0, v9, vcc
	v_mul_lo_u32 v7, v5, v7
	v_add_co_u32_e32 v7, vcc, v11, v7
	v_addc_co_u32_e32 v9, vcc, 0, v9, vcc
	v_add_co_u32_e32 v3, vcc, v3, v7
	v_addc_co_u32_e32 v5, vcc, v5, v9, vcc
	v_ashrrev_i32_e32 v7, 31, v17
	v_add_co_u32_e32 v9, vcc, v16, v7
	v_xor_b32_e32 v9, v9, v7
	v_addc_co_u32_e32 v11, vcc, v17, v7, vcc
	v_mad_u64_u32 v[18:19], s[0:1], v9, v5, 0
	v_mul_hi_u32 v13, v9, v3
	v_xor_b32_e32 v11, v11, v7
	v_add_co_u32_e32 v13, vcc, v13, v18
	v_addc_co_u32_e32 v15, vcc, 0, v19, vcc
	v_mad_u64_u32 v[20:21], s[0:1], v11, v3, 0
	v_add_co_u32_e32 v3, vcc, v13, v20
	v_mad_u64_u32 v[18:19], s[0:1], v11, v5, 0
	v_addc_co_u32_e32 v3, vcc, v15, v21, vcc
	v_addc_co_u32_e32 v5, vcc, 0, v19, vcc
	v_add_co_u32_e32 v3, vcc, v3, v18
	v_addc_co_u32_e32 v5, vcc, 0, v5, vcc
	v_mul_lo_u32 v13, s37, v3
	v_mul_lo_u32 v15, s36, v5
	v_mad_u64_u32 v[18:19], s[0:1], s36, v3, 0
	v_add3_u32 v13, v19, v15, v13
	v_sub_u32_e32 v15, v11, v13
	v_mov_b32_e32 v17, s37
	v_sub_co_u32_e32 v9, vcc, v9, v18
	v_subb_co_u32_e64 v15, s[0:1], v15, v17, vcc
	v_subrev_co_u32_e64 v17, s[0:1], s36, v9
	v_subbrev_co_u32_e64 v15, s[0:1], 0, v15, s[0:1]
	v_cmp_le_u32_e64 s[0:1], s37, v15
	v_cndmask_b32_e64 v18, 0, -1, s[0:1]
	v_cmp_le_u32_e64 s[0:1], s36, v17
	v_cndmask_b32_e64 v17, 0, -1, s[0:1]
	v_cmp_eq_u32_e64 s[0:1], s37, v15
	v_cndmask_b32_e64 v15, v18, v17, s[0:1]
	v_add_co_u32_e64 v17, s[0:1], 2, v3
	v_subb_co_u32_e32 v11, vcc, v11, v13, vcc
	v_addc_co_u32_e64 v18, s[0:1], 0, v5, s[0:1]
	v_cmp_le_u32_e32 vcc, s37, v11
	v_add_co_u32_e64 v19, s[0:1], 1, v3
	v_cndmask_b32_e64 v13, 0, -1, vcc
	v_cmp_le_u32_e32 vcc, s36, v9
	v_addc_co_u32_e64 v20, s[0:1], 0, v5, s[0:1]
	v_cndmask_b32_e64 v9, 0, -1, vcc
	v_cmp_eq_u32_e32 vcc, s37, v11
	v_cmp_ne_u32_e64 s[0:1], 0, v15
	v_cndmask_b32_e32 v9, v13, v9, vcc
	v_cmp_ne_u32_e32 vcc, 0, v9
	v_cndmask_b32_e64 v9, v19, v17, s[0:1]
	v_cndmask_b32_e64 v15, v20, v18, s[0:1]
	v_cndmask_b32_e32 v3, v3, v9, vcc
	v_xor_b32_e32 v9, s35, v7
	v_xor_b32_e32 v7, s34, v7
	v_cndmask_b32_e32 v5, v5, v15, vcc
	v_xor_b32_e32 v3, v3, v7
	v_xor_b32_e32 v5, v5, v9
	v_sub_co_u32_e32 v18, vcc, v3, v7
	v_subb_co_u32_e32 v19, vcc, v5, v9, vcc
.LBB64_45:                              ;   in Loop: Header=BB64_23 Depth=2
	s_andn2_saveexec_b64 s[0:1], s[30:31]
	s_cbranch_execz .LBB64_47
; %bb.46:                               ;   in Loop: Header=BB64_23 Depth=2
	v_cvt_f32_u32_e32 v3, s59
	s_sub_i32 s16, 0, s59
	v_mov_b32_e32 v19, v2
	v_rcp_iflag_f32_e32 v3, v3
	v_mul_f32_e32 v3, 0x4f7ffffe, v3
	v_cvt_u32_f32_e32 v3, v3
	v_mul_lo_u32 v5, s16, v3
	v_mul_hi_u32 v5, v3, v5
	v_add_u32_e32 v3, v3, v5
	v_mul_hi_u32 v3, v16, v3
	v_mul_lo_u32 v5, v3, s59
	v_sub_u32_e32 v5, v16, v5
	v_add_u32_e32 v7, 1, v3
	v_subrev_u32_e32 v9, s59, v5
	v_cmp_le_u32_e32 vcc, s59, v5
	v_cndmask_b32_e32 v5, v5, v9, vcc
	v_cndmask_b32_e32 v3, v3, v7, vcc
	v_add_u32_e32 v7, 1, v3
	v_cmp_le_u32_e32 vcc, s59, v5
	v_cndmask_b32_e32 v18, v3, v7, vcc
.LBB64_47:                              ;   in Loop: Header=BB64_23 Depth=2
	s_or_b64 exec, exec, s[0:1]
	s_add_u32 s0, s43, s28
	s_addc_u32 s1, s44, s29
	s_add_i32 s16, s26, 1
	s_lshl_b64 s[28:29], s[16:17], 2
	s_add_u32 s30, s39, s28
	s_addc_u32 s31, s40, s29
	s_load_dword s16, s[30:31], 0x0
	s_load_dword s61, s[0:1], 0x0
                                        ; implicit-def: $vgpr20_vgpr21
	s_waitcnt lgkmcnt(0)
	s_ashr_i32 s0, s16, 31
	v_or_b32_e32 v3, s0, v19
	v_cmp_ne_u64_e32 vcc, 0, v[2:3]
	s_and_saveexec_b64 s[30:31], vcc
	s_xor_b64 s[30:31], exec, s[30:31]
	s_cbranch_execz .LBB64_49
; %bb.48:                               ;   in Loop: Header=BB64_23 Depth=2
	s_add_u32 s36, s16, s0
	s_mov_b32 s34, s0
	s_mov_b32 s35, s0
	s_addc_u32 s37, s0, s0
	s_xor_b64 s[36:37], s[36:37], s[34:35]
	v_cvt_f32_u32_e32 v3, s36
	v_cvt_f32_u32_e32 v5, s37
	s_sub_u32 s0, 0, s36
	s_subb_u32 s1, 0, s37
	v_mac_f32_e32 v3, 0x4f800000, v5
	v_rcp_f32_e32 v3, v3
	v_mul_f32_e32 v3, 0x5f7ffffc, v3
	v_mul_f32_e32 v5, 0x2f800000, v3
	v_trunc_f32_e32 v5, v5
	v_mac_f32_e32 v3, 0xcf800000, v5
	v_cvt_u32_f32_e32 v5, v5
	v_cvt_u32_f32_e32 v3, v3
	v_mul_lo_u32 v7, s0, v5
	v_mul_hi_u32 v11, s0, v3
	v_mul_lo_u32 v9, s1, v3
	v_add_u32_e32 v7, v11, v7
	v_mul_lo_u32 v13, s0, v3
	v_add_u32_e32 v7, v7, v9
	v_mul_lo_u32 v11, v3, v7
	v_mul_hi_u32 v15, v3, v13
	v_mul_hi_u32 v9, v3, v7
	v_add_co_u32_e32 v11, vcc, v15, v11
	v_addc_co_u32_e32 v9, vcc, 0, v9, vcc
	v_mul_hi_u32 v17, v5, v13
	v_mul_lo_u32 v13, v5, v13
	v_add_co_u32_e32 v11, vcc, v11, v13
	v_mul_hi_u32 v15, v5, v7
	v_addc_co_u32_e32 v9, vcc, v9, v17, vcc
	v_addc_co_u32_e32 v11, vcc, 0, v15, vcc
	v_mul_lo_u32 v7, v5, v7
	v_add_co_u32_e32 v7, vcc, v9, v7
	v_addc_co_u32_e32 v9, vcc, 0, v11, vcc
	v_add_co_u32_e32 v3, vcc, v3, v7
	v_addc_co_u32_e32 v5, vcc, v5, v9, vcc
	v_mul_lo_u32 v7, s0, v5
	v_mul_hi_u32 v9, s0, v3
	v_add_u32_e32 v7, v9, v7
	v_mul_lo_u32 v9, s1, v3
	v_add_u32_e32 v7, v7, v9
	v_mul_lo_u32 v11, s0, v3
	v_mul_hi_u32 v13, v5, v11
	v_mul_lo_u32 v15, v5, v11
	v_mul_lo_u32 v20, v3, v7
	v_mul_hi_u32 v11, v3, v11
	v_mul_hi_u32 v17, v3, v7
	v_add_co_u32_e32 v11, vcc, v11, v20
	v_addc_co_u32_e32 v17, vcc, 0, v17, vcc
	v_add_co_u32_e32 v11, vcc, v11, v15
	v_mul_hi_u32 v9, v5, v7
	v_addc_co_u32_e32 v11, vcc, v17, v13, vcc
	v_addc_co_u32_e32 v9, vcc, 0, v9, vcc
	v_mul_lo_u32 v7, v5, v7
	v_add_co_u32_e32 v7, vcc, v11, v7
	v_addc_co_u32_e32 v9, vcc, 0, v9, vcc
	v_add_co_u32_e32 v3, vcc, v3, v7
	v_addc_co_u32_e32 v5, vcc, v5, v9, vcc
	v_ashrrev_i32_e32 v7, 31, v19
	v_add_co_u32_e32 v9, vcc, v18, v7
	v_xor_b32_e32 v9, v9, v7
	v_addc_co_u32_e32 v11, vcc, v19, v7, vcc
	v_mad_u64_u32 v[20:21], s[0:1], v9, v5, 0
	v_mul_hi_u32 v13, v9, v3
	v_xor_b32_e32 v11, v11, v7
	v_add_co_u32_e32 v13, vcc, v13, v20
	v_addc_co_u32_e32 v15, vcc, 0, v21, vcc
	v_mad_u64_u32 v[22:23], s[0:1], v11, v3, 0
	v_add_co_u32_e32 v3, vcc, v13, v22
	v_mad_u64_u32 v[20:21], s[0:1], v11, v5, 0
	v_addc_co_u32_e32 v3, vcc, v15, v23, vcc
	v_addc_co_u32_e32 v5, vcc, 0, v21, vcc
	v_add_co_u32_e32 v3, vcc, v3, v20
	v_addc_co_u32_e32 v5, vcc, 0, v5, vcc
	v_mul_lo_u32 v13, s37, v3
	v_mul_lo_u32 v15, s36, v5
	v_mad_u64_u32 v[20:21], s[0:1], s36, v3, 0
	v_add3_u32 v13, v21, v15, v13
	v_sub_u32_e32 v15, v11, v13
	v_mov_b32_e32 v17, s37
	v_sub_co_u32_e32 v9, vcc, v9, v20
	v_subb_co_u32_e64 v15, s[0:1], v15, v17, vcc
	v_subrev_co_u32_e64 v17, s[0:1], s36, v9
	v_subbrev_co_u32_e64 v15, s[0:1], 0, v15, s[0:1]
	v_cmp_le_u32_e64 s[0:1], s37, v15
	v_cndmask_b32_e64 v19, 0, -1, s[0:1]
	v_cmp_le_u32_e64 s[0:1], s36, v17
	v_cndmask_b32_e64 v17, 0, -1, s[0:1]
	v_cmp_eq_u32_e64 s[0:1], s37, v15
	v_cndmask_b32_e64 v15, v19, v17, s[0:1]
	v_add_co_u32_e64 v17, s[0:1], 2, v3
	v_subb_co_u32_e32 v11, vcc, v11, v13, vcc
	v_addc_co_u32_e64 v19, s[0:1], 0, v5, s[0:1]
	v_cmp_le_u32_e32 vcc, s37, v11
	v_add_co_u32_e64 v20, s[0:1], 1, v3
	v_cndmask_b32_e64 v13, 0, -1, vcc
	v_cmp_le_u32_e32 vcc, s36, v9
	v_addc_co_u32_e64 v21, s[0:1], 0, v5, s[0:1]
	v_cndmask_b32_e64 v9, 0, -1, vcc
	v_cmp_eq_u32_e32 vcc, s37, v11
	v_cmp_ne_u32_e64 s[0:1], 0, v15
	v_cndmask_b32_e32 v9, v13, v9, vcc
	v_cmp_ne_u32_e32 vcc, 0, v9
	v_cndmask_b32_e64 v9, v20, v17, s[0:1]
	v_cndmask_b32_e64 v15, v21, v19, s[0:1]
	v_cndmask_b32_e32 v3, v3, v9, vcc
	v_xor_b32_e32 v9, s35, v7
	v_xor_b32_e32 v7, s34, v7
	v_cndmask_b32_e32 v5, v5, v15, vcc
	v_xor_b32_e32 v3, v3, v7
	v_xor_b32_e32 v5, v5, v9
	v_sub_co_u32_e32 v20, vcc, v3, v7
	v_subb_co_u32_e32 v21, vcc, v5, v9, vcc
.LBB64_49:                              ;   in Loop: Header=BB64_23 Depth=2
	s_andn2_saveexec_b64 s[0:1], s[30:31]
	s_cbranch_execz .LBB64_51
; %bb.50:                               ;   in Loop: Header=BB64_23 Depth=2
	v_cvt_f32_u32_e32 v3, s16
	s_sub_i32 s27, 0, s16
	v_mov_b32_e32 v21, v2
	v_rcp_iflag_f32_e32 v3, v3
	v_mul_f32_e32 v3, 0x4f7ffffe, v3
	v_cvt_u32_f32_e32 v3, v3
	v_mul_lo_u32 v5, s27, v3
	v_mul_hi_u32 v5, v3, v5
	v_add_u32_e32 v3, v3, v5
	v_mul_hi_u32 v3, v18, v3
	v_mul_lo_u32 v5, v3, s16
	v_sub_u32_e32 v5, v18, v5
	v_add_u32_e32 v7, 1, v3
	v_subrev_u32_e32 v9, s16, v5
	v_cmp_le_u32_e32 vcc, s16, v5
	v_cndmask_b32_e32 v5, v5, v9, vcc
	v_cndmask_b32_e32 v3, v3, v7, vcc
	v_add_u32_e32 v7, 1, v3
	v_cmp_le_u32_e32 vcc, s16, v5
	v_cndmask_b32_e32 v20, v3, v7, vcc
.LBB64_51:                              ;   in Loop: Header=BB64_23 Depth=2
	s_or_b64 exec, exec, s[0:1]
	s_add_u32 s0, s43, s28
	s_mov_b32 s27, s17
	s_addc_u32 s1, s44, s29
	s_lshl_b64 s[28:29], s[26:27], 2
	s_add_u32 s30, s39, s28
	s_addc_u32 s31, s40, s29
	s_load_dword s27, s[30:31], 0x0
	s_load_dword s62, s[0:1], 0x0
                                        ; implicit-def: $vgpr22_vgpr23
	s_waitcnt lgkmcnt(0)
	s_ashr_i32 s0, s27, 31
	v_or_b32_e32 v3, s0, v21
	v_cmp_ne_u64_e32 vcc, 0, v[2:3]
	s_and_saveexec_b64 s[30:31], vcc
	s_xor_b64 s[30:31], exec, s[30:31]
	s_cbranch_execz .LBB64_53
; %bb.52:                               ;   in Loop: Header=BB64_23 Depth=2
	s_add_u32 s36, s27, s0
	s_mov_b32 s34, s0
	s_mov_b32 s35, s0
	s_addc_u32 s37, s0, s0
	s_xor_b64 s[36:37], s[36:37], s[34:35]
	v_cvt_f32_u32_e32 v3, s36
	v_cvt_f32_u32_e32 v5, s37
	s_sub_u32 s0, 0, s36
	s_subb_u32 s1, 0, s37
	v_mac_f32_e32 v3, 0x4f800000, v5
	v_rcp_f32_e32 v3, v3
	v_mul_f32_e32 v3, 0x5f7ffffc, v3
	v_mul_f32_e32 v5, 0x2f800000, v3
	v_trunc_f32_e32 v5, v5
	v_mac_f32_e32 v3, 0xcf800000, v5
	v_cvt_u32_f32_e32 v5, v5
	v_cvt_u32_f32_e32 v3, v3
	v_mul_lo_u32 v7, s0, v5
	v_mul_hi_u32 v11, s0, v3
	v_mul_lo_u32 v9, s1, v3
	v_add_u32_e32 v7, v11, v7
	v_mul_lo_u32 v13, s0, v3
	v_add_u32_e32 v7, v7, v9
	v_mul_lo_u32 v11, v3, v7
	v_mul_hi_u32 v15, v3, v13
	v_mul_hi_u32 v9, v3, v7
	v_add_co_u32_e32 v11, vcc, v15, v11
	v_addc_co_u32_e32 v9, vcc, 0, v9, vcc
	v_mul_hi_u32 v17, v5, v13
	v_mul_lo_u32 v13, v5, v13
	v_add_co_u32_e32 v11, vcc, v11, v13
	v_mul_hi_u32 v15, v5, v7
	v_addc_co_u32_e32 v9, vcc, v9, v17, vcc
	v_addc_co_u32_e32 v11, vcc, 0, v15, vcc
	v_mul_lo_u32 v7, v5, v7
	v_add_co_u32_e32 v7, vcc, v9, v7
	v_addc_co_u32_e32 v9, vcc, 0, v11, vcc
	v_add_co_u32_e32 v3, vcc, v3, v7
	v_addc_co_u32_e32 v5, vcc, v5, v9, vcc
	v_mul_lo_u32 v7, s0, v5
	v_mul_hi_u32 v9, s0, v3
	v_add_u32_e32 v7, v9, v7
	v_mul_lo_u32 v9, s1, v3
	v_add_u32_e32 v7, v7, v9
	v_mul_lo_u32 v11, s0, v3
	v_mul_hi_u32 v13, v5, v11
	v_mul_lo_u32 v15, v5, v11
	v_mul_lo_u32 v19, v3, v7
	v_mul_hi_u32 v11, v3, v11
	v_mul_hi_u32 v17, v3, v7
	v_add_co_u32_e32 v11, vcc, v11, v19
	v_addc_co_u32_e32 v17, vcc, 0, v17, vcc
	v_add_co_u32_e32 v11, vcc, v11, v15
	v_mul_hi_u32 v9, v5, v7
	v_addc_co_u32_e32 v11, vcc, v17, v13, vcc
	v_addc_co_u32_e32 v9, vcc, 0, v9, vcc
	v_mul_lo_u32 v7, v5, v7
	v_add_co_u32_e32 v7, vcc, v11, v7
	v_addc_co_u32_e32 v9, vcc, 0, v9, vcc
	v_add_co_u32_e32 v3, vcc, v3, v7
	v_addc_co_u32_e32 v5, vcc, v5, v9, vcc
	v_ashrrev_i32_e32 v7, 31, v21
	v_add_co_u32_e32 v9, vcc, v20, v7
	v_xor_b32_e32 v9, v9, v7
	v_addc_co_u32_e32 v11, vcc, v21, v7, vcc
	v_mad_u64_u32 v[22:23], s[0:1], v9, v5, 0
	v_mul_hi_u32 v13, v9, v3
	v_xor_b32_e32 v11, v11, v7
	v_add_co_u32_e32 v13, vcc, v13, v22
	v_addc_co_u32_e32 v15, vcc, 0, v23, vcc
	v_mad_u64_u32 v[28:29], s[0:1], v11, v3, 0
	v_add_co_u32_e32 v3, vcc, v13, v28
	v_mad_u64_u32 v[22:23], s[0:1], v11, v5, 0
	v_addc_co_u32_e32 v3, vcc, v15, v29, vcc
	v_addc_co_u32_e32 v5, vcc, 0, v23, vcc
	v_add_co_u32_e32 v3, vcc, v3, v22
	v_addc_co_u32_e32 v5, vcc, 0, v5, vcc
	v_mul_lo_u32 v13, s37, v3
	v_mul_lo_u32 v15, s36, v5
	v_mad_u64_u32 v[22:23], s[0:1], s36, v3, 0
	v_add3_u32 v13, v23, v15, v13
	v_sub_u32_e32 v15, v11, v13
	v_mov_b32_e32 v17, s37
	v_sub_co_u32_e32 v9, vcc, v9, v22
	v_subb_co_u32_e64 v15, s[0:1], v15, v17, vcc
	v_subrev_co_u32_e64 v17, s[0:1], s36, v9
	v_subbrev_co_u32_e64 v15, s[0:1], 0, v15, s[0:1]
	v_cmp_le_u32_e64 s[0:1], s37, v15
	v_cndmask_b32_e64 v19, 0, -1, s[0:1]
	v_cmp_le_u32_e64 s[0:1], s36, v17
	v_cndmask_b32_e64 v17, 0, -1, s[0:1]
	v_cmp_eq_u32_e64 s[0:1], s37, v15
	v_cndmask_b32_e64 v15, v19, v17, s[0:1]
	v_add_co_u32_e64 v17, s[0:1], 2, v3
	v_subb_co_u32_e32 v11, vcc, v11, v13, vcc
	v_addc_co_u32_e64 v19, s[0:1], 0, v5, s[0:1]
	v_cmp_le_u32_e32 vcc, s37, v11
	v_add_co_u32_e64 v21, s[0:1], 1, v3
	v_cndmask_b32_e64 v13, 0, -1, vcc
	v_cmp_le_u32_e32 vcc, s36, v9
	v_addc_co_u32_e64 v22, s[0:1], 0, v5, s[0:1]
	v_cndmask_b32_e64 v9, 0, -1, vcc
	v_cmp_eq_u32_e32 vcc, s37, v11
	v_cmp_ne_u32_e64 s[0:1], 0, v15
	v_cndmask_b32_e32 v9, v13, v9, vcc
	v_cmp_ne_u32_e32 vcc, 0, v9
	v_cndmask_b32_e64 v9, v21, v17, s[0:1]
	v_cndmask_b32_e64 v15, v22, v19, s[0:1]
	v_cndmask_b32_e32 v3, v3, v9, vcc
	v_xor_b32_e32 v9, s35, v7
	v_xor_b32_e32 v7, s34, v7
	v_cndmask_b32_e32 v5, v5, v15, vcc
	v_xor_b32_e32 v3, v3, v7
	v_xor_b32_e32 v5, v5, v9
	v_sub_co_u32_e32 v22, vcc, v3, v7
	v_subb_co_u32_e32 v23, vcc, v5, v9, vcc
.LBB64_53:                              ;   in Loop: Header=BB64_23 Depth=2
	s_andn2_saveexec_b64 s[0:1], s[30:31]
	s_cbranch_execz .LBB64_55
; %bb.54:                               ;   in Loop: Header=BB64_23 Depth=2
	v_cvt_f32_u32_e32 v3, s27
	s_sub_i32 s30, 0, s27
	v_mov_b32_e32 v23, v2
	v_rcp_iflag_f32_e32 v3, v3
	v_mul_f32_e32 v3, 0x4f7ffffe, v3
	v_cvt_u32_f32_e32 v3, v3
	v_mul_lo_u32 v5, s30, v3
	v_mul_hi_u32 v5, v3, v5
	v_add_u32_e32 v3, v3, v5
	v_mul_hi_u32 v3, v20, v3
	v_mul_lo_u32 v5, v3, s27
	v_sub_u32_e32 v5, v20, v5
	v_add_u32_e32 v7, 1, v3
	v_subrev_u32_e32 v9, s27, v5
	v_cmp_le_u32_e32 vcc, s27, v5
	v_cndmask_b32_e32 v5, v5, v9, vcc
	v_cndmask_b32_e32 v3, v3, v7, vcc
	v_add_u32_e32 v7, 1, v3
	v_cmp_le_u32_e32 vcc, s27, v5
	v_cndmask_b32_e32 v22, v3, v7, vcc
.LBB64_55:                              ;   in Loop: Header=BB64_23 Depth=2
	s_or_b64 exec, exec, s[0:1]
	v_mul_lo_u32 v3, v8, s50
	v_mul_lo_u32 v5, v10, s51
	v_sub_u32_e32 v3, v6, v3
	v_sub_u32_e32 v5, v8, v5
	v_mul_lo_u32 v3, s52, v3
	v_mul_lo_u32 v5, s54, v5
	v_add3_u32 v3, v3, v4, v5
	v_mul_lo_u32 v4, v12, s53
	v_mul_lo_u32 v5, v14, s55
	v_sub_u32_e32 v4, v10, v4
	v_sub_u32_e32 v5, v12, v5
	s_add_u32 s0, s43, s28
	v_mul_lo_u32 v4, s56, v4
	v_mul_lo_u32 v5, s58, v5
	s_addc_u32 s1, s44, s29
	v_add3_u32 v3, v4, v3, v5
	v_mul_lo_u32 v4, v16, s57
	v_mul_lo_u32 v5, v18, s59
	s_load_dword s0, s[0:1], 0x0
	v_sub_u32_e32 v4, v14, v4
	v_sub_u32_e32 v5, v16, v5
	v_mul_lo_u32 v4, s60, v4
	v_mul_lo_u32 v5, s61, v5
	v_add3_u32 v3, v4, v3, v5
	v_mul_lo_u32 v4, v20, s16
	v_mul_lo_u32 v5, v22, s27
	v_sub_u32_e32 v4, v18, v4
	v_sub_u32_e32 v5, v20, v5
	v_mul_lo_u32 v4, s62, v4
	s_waitcnt lgkmcnt(0)
	v_mul_lo_u32 v5, s0, v5
	s_add_i32 s26, s26, -8
	s_cmp_eq_u32 s26, -8
	v_add3_u32 v4, v4, v3, v5
	s_cbranch_scc1 .LBB64_57
; %bb.56:                               ;   in Loop: Header=BB64_23 Depth=2
	v_pk_mov_b32 v[6:7], v[22:23], v[22:23] op_sel:[0,1]
	s_branch .LBB64_23
.LBB64_57:                              ;   in Loop: Header=BB64_3 Depth=1
	s_load_dword s0, s[14:15], 0x0
	s_waitcnt lgkmcnt(0)
	v_cmp_gt_i32_e32 vcc, s0, v26
	s_and_b64 exec, exec, vcc
	s_cbranch_execz .LBB64_2
; %bb.58:                               ;   in Loop: Header=BB64_3 Depth=1
	v_ashrrev_i32_e32 v5, 31, v4
	v_lshlrev_b64 v[6:7], 3, v[4:5]
	v_mov_b32_e32 v3, s3
	v_add_co_u32_e32 v6, vcc, s2, v6
	v_addc_co_u32_e32 v7, vcc, v3, v7, vcc
	v_mov_b32_e32 v3, v2
	global_store_dwordx2 v[6:7], v[2:3], off
	v_add_u32_e32 v3, 1, v26
	v_cmp_gt_i32_e32 vcc, s0, v3
	s_and_b64 exec, exec, vcc
	s_cbranch_execz .LBB64_2
; %bb.59:                               ;   in Loop: Header=BB64_3 Depth=1
	v_sub_u32_e32 v6, v3, v25
	v_ashrrev_i32_e32 v7, 31, v6
	v_cmp_gt_i64_e32 vcc, s[8:9], v[6:7]
	s_and_b64 exec, exec, vcc
	s_cbranch_execz .LBB64_2
; %bb.60:                               ;   in Loop: Header=BB64_3 Depth=1
	v_add_u32_e32 v4, s49, v4
	v_ashrrev_i32_e32 v5, 31, v4
	v_lshlrev_b64 v[4:5], 3, v[4:5]
	v_mov_b32_e32 v3, s3
	v_add_co_u32_e32 v4, vcc, s2, v4
	v_addc_co_u32_e32 v5, vcc, v3, v5, vcc
	v_mov_b32_e32 v3, v2
	global_store_dwordx2 v[4:5], v[2:3], off
	s_branch .LBB64_2
.LBB64_61:
	s_endpgm
	.section	.rodata,"a",@progbits
	.p2align	6, 0x0
	.amdhsa_kernel _ZN2at6native16triu_tril_kernelIliLb1ELi2ELb1EEEvNS_4cuda6detail10TensorInfoIT_T0_EENS4_IKS5_S6_EEllS6_
		.amdhsa_group_segment_fixed_size 0
		.amdhsa_private_segment_fixed_size 0
		.amdhsa_kernarg_size 712
		.amdhsa_user_sgpr_count 6
		.amdhsa_user_sgpr_private_segment_buffer 1
		.amdhsa_user_sgpr_dispatch_ptr 0
		.amdhsa_user_sgpr_queue_ptr 0
		.amdhsa_user_sgpr_kernarg_segment_ptr 1
		.amdhsa_user_sgpr_dispatch_id 0
		.amdhsa_user_sgpr_flat_scratch_init 0
		.amdhsa_user_sgpr_kernarg_preload_length 0
		.amdhsa_user_sgpr_kernarg_preload_offset 0
		.amdhsa_user_sgpr_private_segment_size 0
		.amdhsa_uses_dynamic_stack 0
		.amdhsa_system_sgpr_private_segment_wavefront_offset 0
		.amdhsa_system_sgpr_workgroup_id_x 1
		.amdhsa_system_sgpr_workgroup_id_y 0
		.amdhsa_system_sgpr_workgroup_id_z 0
		.amdhsa_system_sgpr_workgroup_info 0
		.amdhsa_system_vgpr_workitem_id 0
		.amdhsa_next_free_vgpr 30
		.amdhsa_next_free_sgpr 63
		.amdhsa_accum_offset 32
		.amdhsa_reserve_vcc 1
		.amdhsa_reserve_flat_scratch 0
		.amdhsa_float_round_mode_32 0
		.amdhsa_float_round_mode_16_64 0
		.amdhsa_float_denorm_mode_32 3
		.amdhsa_float_denorm_mode_16_64 3
		.amdhsa_dx10_clamp 1
		.amdhsa_ieee_mode 1
		.amdhsa_fp16_overflow 0
		.amdhsa_tg_split 0
		.amdhsa_exception_fp_ieee_invalid_op 0
		.amdhsa_exception_fp_denorm_src 0
		.amdhsa_exception_fp_ieee_div_zero 0
		.amdhsa_exception_fp_ieee_overflow 0
		.amdhsa_exception_fp_ieee_underflow 0
		.amdhsa_exception_fp_ieee_inexact 0
		.amdhsa_exception_int_div_zero 0
	.end_amdhsa_kernel
	.section	.text._ZN2at6native16triu_tril_kernelIliLb1ELi2ELb1EEEvNS_4cuda6detail10TensorInfoIT_T0_EENS4_IKS5_S6_EEllS6_,"axG",@progbits,_ZN2at6native16triu_tril_kernelIliLb1ELi2ELb1EEEvNS_4cuda6detail10TensorInfoIT_T0_EENS4_IKS5_S6_EEllS6_,comdat
.Lfunc_end64:
	.size	_ZN2at6native16triu_tril_kernelIliLb1ELi2ELb1EEEvNS_4cuda6detail10TensorInfoIT_T0_EENS4_IKS5_S6_EEllS6_, .Lfunc_end64-_ZN2at6native16triu_tril_kernelIliLb1ELi2ELb1EEEvNS_4cuda6detail10TensorInfoIT_T0_EENS4_IKS5_S6_EEllS6_
                                        ; -- End function
	.section	.AMDGPU.csdata,"",@progbits
; Kernel info:
; codeLenInByte = 10120
; NumSgprs: 67
; NumVgprs: 30
; NumAgprs: 0
; TotalNumVgprs: 30
; ScratchSize: 0
; MemoryBound: 0
; FloatMode: 240
; IeeeMode: 1
; LDSByteSize: 0 bytes/workgroup (compile time only)
; SGPRBlocks: 8
; VGPRBlocks: 3
; NumSGPRsForWavesPerEU: 67
; NumVGPRsForWavesPerEU: 30
; AccumOffset: 32
; Occupancy: 8
; WaveLimiterHint : 0
; COMPUTE_PGM_RSRC2:SCRATCH_EN: 0
; COMPUTE_PGM_RSRC2:USER_SGPR: 6
; COMPUTE_PGM_RSRC2:TRAP_HANDLER: 0
; COMPUTE_PGM_RSRC2:TGID_X_EN: 1
; COMPUTE_PGM_RSRC2:TGID_Y_EN: 0
; COMPUTE_PGM_RSRC2:TGID_Z_EN: 0
; COMPUTE_PGM_RSRC2:TIDIG_COMP_CNT: 0
; COMPUTE_PGM_RSRC3_GFX90A:ACCUM_OFFSET: 7
; COMPUTE_PGM_RSRC3_GFX90A:TG_SPLIT: 0
	.section	.text._ZN2at6native16triu_tril_kernelIliLb1ELi2ELb0EEEvNS_4cuda6detail10TensorInfoIT_T0_EENS4_IKS5_S6_EEllS6_,"axG",@progbits,_ZN2at6native16triu_tril_kernelIliLb1ELi2ELb0EEEvNS_4cuda6detail10TensorInfoIT_T0_EENS4_IKS5_S6_EEllS6_,comdat
	.protected	_ZN2at6native16triu_tril_kernelIliLb1ELi2ELb0EEEvNS_4cuda6detail10TensorInfoIT_T0_EENS4_IKS5_S6_EEllS6_ ; -- Begin function _ZN2at6native16triu_tril_kernelIliLb1ELi2ELb0EEEvNS_4cuda6detail10TensorInfoIT_T0_EENS4_IKS5_S6_EEllS6_
	.globl	_ZN2at6native16triu_tril_kernelIliLb1ELi2ELb0EEEvNS_4cuda6detail10TensorInfoIT_T0_EENS4_IKS5_S6_EEllS6_
	.p2align	8
	.type	_ZN2at6native16triu_tril_kernelIliLb1ELi2ELb0EEEvNS_4cuda6detail10TensorInfoIT_T0_EENS4_IKS5_S6_EEllS6_,@function
_ZN2at6native16triu_tril_kernelIliLb1ELi2ELb0EEEvNS_4cuda6detail10TensorInfoIT_T0_EENS4_IKS5_S6_EEllS6_: ; @_ZN2at6native16triu_tril_kernelIliLb1ELi2ELb0EEEvNS_4cuda6detail10TensorInfoIT_T0_EENS4_IKS5_S6_EEllS6_
; %bb.0:
	s_load_dword s2, s[4:5], 0x1d4
	s_load_dwordx4 s[8:11], s[4:5], 0x1b0
	s_add_u32 s0, s4, 0x1c8
	v_mov_b32_e32 v2, 0
	s_addc_u32 s1, s5, 0
	s_waitcnt lgkmcnt(0)
	s_and_b32 s2, s2, 0xffff
	v_mov_b32_e32 v1, v2
	v_mov_b32_e32 v3, s6
	v_mad_u64_u32 v[0:1], s[6:7], s2, v3, v[0:1]
	v_lshlrev_b64 v[0:1], 1, v[0:1]
	v_cmp_gt_i64_e32 vcc, s[10:11], v[0:1]
	s_and_saveexec_b64 s[6:7], vcc
	s_cbranch_execz .LBB65_52
; %bb.1:
	s_load_dword s20, s[4:5], 0x1a8
	s_add_u32 s33, s4, 0xd8
	s_addc_u32 s42, s5, 0
	s_load_dword s3, s[0:1], 0x0
	s_load_dwordx2 s[6:7], s[4:5], 0xd8
	s_mov_b64 s[26:27], 0
	s_waitcnt lgkmcnt(0)
	s_ashr_i32 s21, s20, 31
	s_lshl_b64 s[0:1], s[20:21], 2
	s_add_u32 s18, s0, -8
	s_addc_u32 s19, s1, -1
	s_add_u32 s0, s33, s18
	s_addc_u32 s1, s42, s19
	s_load_dwordx2 s[12:13], s[0:1], 0x8
	s_load_dword s43, s[4:5], 0x1c0
	s_load_dwordx2 s[16:17], s[0:1], 0x6c
	s_mul_i32 s3, s3, s2
	v_cmp_gt_i64_e64 s[14:15], s[20:21], 2
	s_waitcnt lgkmcnt(0)
	s_ashr_i32 s44, s12, 31
	v_cvt_f32_u32_e32 v3, s43
	s_ashr_i32 s45, s43, 31
	s_add_u32 s46, s4, 0x6c
	s_addc_u32 s47, s5, 0
	s_add_u32 s0, s46, s18
	v_rcp_iflag_f32_e32 v3, v3
	s_addc_u32 s1, s47, s19
	s_load_dwordx2 s[18:19], s[0:1], 0x0
	s_add_i32 s48, s20, -3
	s_load_dwordx2 s[4:5], s[4:5], 0x0
	s_lshl_b32 s49, s3, 1
	s_and_b32 s51, s20, 3
	v_mul_f32_e32 v3, 0x4f7ffffe, v3
	s_cmp_lg_u32 s51, 2
	v_cvt_u32_f32_e32 v22, v3
	s_cselect_b64 s[22:23], -1, 0
	s_cmp_gt_u32 s48, 2
	s_mov_b32 s21, 0
	s_cselect_b64 s[24:25], -1, 0
	s_ashr_i32 s1, s17, 31
	s_mov_b32 s0, s17
	s_waitcnt lgkmcnt(0)
	s_ashr_i32 s3, s19, 31
	s_mov_b32 s2, s19
	s_mov_b32 s50, s21
	s_lshl_b64 s[28:29], s[0:1], 3
	s_lshl_b64 s[30:31], s[2:3], 3
	s_branch .LBB65_3
.LBB65_2:                               ;   in Loop: Header=BB65_3 Depth=1
	s_or_b64 exec, exec, s[0:1]
	v_mov_b32_e32 v3, s50
	v_add_co_u32_e32 v0, vcc, s49, v0
	v_addc_co_u32_e32 v1, vcc, v1, v3, vcc
	v_cmp_le_i64_e32 vcc, s[10:11], v[0:1]
	s_or_b64 s[26:27], vcc, s[26:27]
	s_andn2_b64 exec, exec, s[26:27]
	s_cbranch_execz .LBB65_52
.LBB65_3:                               ; =>This Loop Header: Depth=1
                                        ;     Child Loop BB65_37 Depth 2
                                        ;     Child Loop BB65_18 Depth 2
	v_or_b32_e32 v3, s45, v1
	v_cmp_ne_u64_e32 vcc, 0, v[2:3]
                                        ; implicit-def: $vgpr4_vgpr5
                                        ; implicit-def: $vgpr14_vgpr15
	s_and_saveexec_b64 s[0:1], vcc
	s_xor_b64 s[34:35], exec, s[0:1]
	s_cbranch_execz .LBB65_5
; %bb.4:                                ;   in Loop: Header=BB65_3 Depth=1
	s_add_u32 s0, s43, s45
	s_mov_b32 s2, s45
	s_mov_b32 s3, s45
	s_addc_u32 s1, s45, s45
	s_xor_b64 s[36:37], s[0:1], s[2:3]
	v_cvt_f32_u32_e32 v3, s36
	v_cvt_f32_u32_e32 v4, s37
	s_sub_u32 s0, 0, s36
	s_subb_u32 s1, 0, s37
	v_mac_f32_e32 v3, 0x4f800000, v4
	v_rcp_f32_e32 v3, v3
	v_mul_f32_e32 v3, 0x5f7ffffc, v3
	v_mul_f32_e32 v4, 0x2f800000, v3
	v_trunc_f32_e32 v4, v4
	v_mac_f32_e32 v3, 0xcf800000, v4
	v_cvt_u32_f32_e32 v4, v4
	v_cvt_u32_f32_e32 v3, v3
	v_mul_lo_u32 v5, s0, v4
	v_mul_hi_u32 v7, s0, v3
	v_mul_lo_u32 v6, s1, v3
	v_add_u32_e32 v5, v7, v5
	v_mul_lo_u32 v8, s0, v3
	v_add_u32_e32 v5, v5, v6
	v_mul_lo_u32 v7, v3, v5
	v_mul_hi_u32 v9, v3, v8
	v_mul_hi_u32 v6, v3, v5
	v_add_co_u32_e32 v7, vcc, v9, v7
	v_addc_co_u32_e32 v6, vcc, 0, v6, vcc
	v_mul_hi_u32 v10, v4, v8
	v_mul_lo_u32 v8, v4, v8
	v_add_co_u32_e32 v7, vcc, v7, v8
	v_mul_hi_u32 v9, v4, v5
	v_addc_co_u32_e32 v6, vcc, v6, v10, vcc
	v_addc_co_u32_e32 v7, vcc, 0, v9, vcc
	v_mul_lo_u32 v5, v4, v5
	v_add_co_u32_e32 v5, vcc, v6, v5
	v_addc_co_u32_e32 v6, vcc, 0, v7, vcc
	v_add_co_u32_e32 v3, vcc, v3, v5
	v_addc_co_u32_e32 v4, vcc, v4, v6, vcc
	v_mul_lo_u32 v5, s0, v4
	v_mul_hi_u32 v6, s0, v3
	v_add_u32_e32 v5, v6, v5
	v_mul_lo_u32 v6, s1, v3
	v_add_u32_e32 v5, v5, v6
	v_mul_lo_u32 v7, s0, v3
	v_mul_hi_u32 v8, v4, v7
	v_mul_lo_u32 v9, v4, v7
	v_mul_lo_u32 v11, v3, v5
	v_mul_hi_u32 v7, v3, v7
	v_mul_hi_u32 v10, v3, v5
	v_add_co_u32_e32 v7, vcc, v7, v11
	v_addc_co_u32_e32 v10, vcc, 0, v10, vcc
	v_add_co_u32_e32 v7, vcc, v7, v9
	v_mul_hi_u32 v6, v4, v5
	v_addc_co_u32_e32 v7, vcc, v10, v8, vcc
	v_addc_co_u32_e32 v6, vcc, 0, v6, vcc
	v_mul_lo_u32 v5, v4, v5
	v_add_co_u32_e32 v5, vcc, v7, v5
	v_addc_co_u32_e32 v6, vcc, 0, v6, vcc
	v_add_co_u32_e32 v3, vcc, v3, v5
	v_addc_co_u32_e32 v6, vcc, v4, v6, vcc
	v_ashrrev_i32_e32 v8, 31, v1
	v_add_co_u32_e32 v4, vcc, v0, v8
	v_addc_co_u32_e32 v5, vcc, v1, v8, vcc
	v_xor_b32_e32 v10, v4, v8
	v_xor_b32_e32 v9, v5, v8
	v_mad_u64_u32 v[4:5], s[0:1], v10, v6, 0
	v_mul_hi_u32 v7, v10, v3
	v_add_co_u32_e32 v11, vcc, v7, v4
	v_addc_co_u32_e32 v12, vcc, 0, v5, vcc
	v_mad_u64_u32 v[4:5], s[0:1], v9, v6, 0
	v_mad_u64_u32 v[6:7], s[0:1], v9, v3, 0
	v_add_co_u32_e32 v3, vcc, v11, v6
	v_addc_co_u32_e32 v3, vcc, v12, v7, vcc
	v_addc_co_u32_e32 v5, vcc, 0, v5, vcc
	v_add_co_u32_e32 v3, vcc, v3, v4
	v_addc_co_u32_e32 v6, vcc, 0, v5, vcc
	v_mul_lo_u32 v7, s37, v3
	v_mul_lo_u32 v11, s36, v6
	v_mad_u64_u32 v[4:5], s[0:1], s36, v3, 0
	v_add3_u32 v5, v5, v11, v7
	v_sub_u32_e32 v7, v9, v5
	v_mov_b32_e32 v11, s37
	v_sub_co_u32_e32 v4, vcc, v10, v4
	v_subb_co_u32_e64 v7, s[0:1], v7, v11, vcc
	v_subrev_co_u32_e64 v10, s[0:1], s36, v4
	v_subbrev_co_u32_e64 v7, s[0:1], 0, v7, s[0:1]
	v_cmp_le_u32_e64 s[0:1], s37, v7
	v_cndmask_b32_e64 v11, 0, -1, s[0:1]
	v_cmp_le_u32_e64 s[0:1], s36, v10
	v_cndmask_b32_e64 v12, 0, -1, s[0:1]
	v_cmp_eq_u32_e64 s[0:1], s37, v7
	v_cndmask_b32_e64 v7, v11, v12, s[0:1]
	v_add_co_u32_e64 v11, s[0:1], 2, v3
	v_addc_co_u32_e64 v12, s[0:1], 0, v6, s[0:1]
	v_add_co_u32_e64 v13, s[0:1], 1, v3
	v_subb_co_u32_e32 v5, vcc, v9, v5, vcc
	v_addc_co_u32_e64 v14, s[0:1], 0, v6, s[0:1]
	v_cmp_le_u32_e32 vcc, s37, v5
	v_cmp_ne_u32_e64 s[0:1], 0, v7
	v_cndmask_b32_e64 v9, 0, -1, vcc
	v_cmp_le_u32_e32 vcc, s36, v4
	v_cndmask_b32_e64 v7, v14, v12, s[0:1]
	v_cndmask_b32_e64 v12, 0, -1, vcc
	v_cmp_eq_u32_e32 vcc, s37, v5
	v_cndmask_b32_e32 v5, v9, v12, vcc
	v_cmp_ne_u32_e32 vcc, 0, v5
	v_cndmask_b32_e32 v5, v6, v7, vcc
	v_cndmask_b32_e64 v6, v13, v11, s[0:1]
	v_cndmask_b32_e32 v3, v3, v6, vcc
	v_xor_b32_e32 v7, s2, v8
	v_xor_b32_e32 v6, s3, v8
	;; [unrolled: 1-line block ×4, first 2 shown]
	v_sub_co_u32_e64 v14, s[2:3], v3, v7
	v_subb_co_u32_e64 v15, s[2:3], v5, v6, s[2:3]
	v_subrev_co_u32_e64 v3, s[2:3], s36, v10
	v_cndmask_b32_e64 v3, v10, v3, s[0:1]
	v_cndmask_b32_e32 v3, v4, v3, vcc
	v_xor_b32_e32 v3, v3, v8
	v_sub_co_u32_e32 v4, vcc, v3, v8
.LBB65_5:                               ;   in Loop: Header=BB65_3 Depth=1
	s_andn2_saveexec_b64 s[2:3], s[34:35]
	s_cbranch_execz .LBB65_7
; %bb.6:                                ;   in Loop: Header=BB65_3 Depth=1
	s_sub_i32 s0, 0, s43
	v_mul_lo_u32 v3, s0, v22
	v_mul_hi_u32 v3, v22, v3
	v_add_u32_e32 v3, v22, v3
	v_mul_hi_u32 v3, v0, v3
	v_mul_lo_u32 v4, v3, s43
	v_sub_u32_e32 v4, v0, v4
	v_subrev_u32_e32 v5, s43, v4
	v_cmp_le_u32_e32 vcc, s43, v4
	v_cndmask_b32_e32 v4, v4, v5, vcc
	v_subrev_u32_e32 v5, s43, v4
	v_cmp_le_u32_e64 s[0:1], s43, v4
	v_cndmask_b32_e64 v4, v4, v5, s[0:1]
	v_add_u32_e32 v5, 1, v3
	v_cndmask_b32_e32 v3, v3, v5, vcc
	v_add_u32_e32 v5, 1, v3
	v_cndmask_b32_e64 v14, v3, v5, s[0:1]
	v_mov_b32_e32 v15, v2
.LBB65_7:                               ;   in Loop: Header=BB65_3 Depth=1
	s_or_b64 exec, exec, s[2:3]
	v_or_b32_e32 v3, s44, v15
	v_cmp_ne_u64_e32 vcc, 0, v[2:3]
                                        ; implicit-def: $vgpr6_vgpr7
	s_and_saveexec_b64 s[0:1], vcc
	s_xor_b64 s[2:3], exec, s[0:1]
	s_cbranch_execz .LBB65_9
; %bb.8:                                ;   in Loop: Header=BB65_3 Depth=1
	s_add_u32 s34, s12, s44
	s_mov_b32 s0, s44
	s_mov_b32 s1, s44
	s_addc_u32 s35, s44, s44
	s_xor_b64 s[34:35], s[34:35], s[0:1]
	v_cvt_f32_u32_e32 v5, s34
	v_cvt_f32_u32_e32 v6, s35
	s_sub_u32 s0, 0, s34
	s_subb_u32 s1, 0, s35
	v_mac_f32_e32 v5, 0x4f800000, v6
	v_rcp_f32_e32 v5, v5
	v_mul_f32_e32 v5, 0x5f7ffffc, v5
	v_mul_f32_e32 v6, 0x2f800000, v5
	v_trunc_f32_e32 v6, v6
	v_mac_f32_e32 v5, 0xcf800000, v6
	v_cvt_u32_f32_e32 v6, v6
	v_cvt_u32_f32_e32 v5, v5
	v_mul_lo_u32 v7, s0, v6
	v_mul_hi_u32 v9, s0, v5
	v_mul_lo_u32 v8, s1, v5
	v_add_u32_e32 v7, v9, v7
	v_mul_lo_u32 v10, s0, v5
	v_add_u32_e32 v7, v7, v8
	v_mul_lo_u32 v9, v5, v7
	v_mul_hi_u32 v11, v5, v10
	v_mul_hi_u32 v8, v5, v7
	v_add_co_u32_e32 v9, vcc, v11, v9
	v_addc_co_u32_e32 v8, vcc, 0, v8, vcc
	v_mul_hi_u32 v12, v6, v10
	v_mul_lo_u32 v10, v6, v10
	v_add_co_u32_e32 v9, vcc, v9, v10
	v_mul_hi_u32 v11, v6, v7
	v_addc_co_u32_e32 v8, vcc, v8, v12, vcc
	v_addc_co_u32_e32 v9, vcc, 0, v11, vcc
	v_mul_lo_u32 v7, v6, v7
	v_add_co_u32_e32 v7, vcc, v8, v7
	v_addc_co_u32_e32 v8, vcc, 0, v9, vcc
	v_add_co_u32_e32 v5, vcc, v5, v7
	v_addc_co_u32_e32 v6, vcc, v6, v8, vcc
	v_mul_lo_u32 v7, s0, v6
	v_mul_hi_u32 v8, s0, v5
	v_add_u32_e32 v7, v8, v7
	v_mul_lo_u32 v8, s1, v5
	v_add_u32_e32 v7, v7, v8
	v_mul_lo_u32 v9, s0, v5
	v_mul_hi_u32 v10, v6, v9
	v_mul_lo_u32 v11, v6, v9
	v_mul_lo_u32 v13, v5, v7
	v_mul_hi_u32 v9, v5, v9
	v_mul_hi_u32 v12, v5, v7
	v_add_co_u32_e32 v9, vcc, v9, v13
	v_addc_co_u32_e32 v12, vcc, 0, v12, vcc
	v_add_co_u32_e32 v9, vcc, v9, v11
	v_mul_hi_u32 v8, v6, v7
	v_addc_co_u32_e32 v9, vcc, v12, v10, vcc
	v_addc_co_u32_e32 v8, vcc, 0, v8, vcc
	v_mul_lo_u32 v7, v6, v7
	v_add_co_u32_e32 v7, vcc, v9, v7
	v_addc_co_u32_e32 v8, vcc, 0, v8, vcc
	v_add_co_u32_e32 v5, vcc, v5, v7
	v_addc_co_u32_e32 v8, vcc, v6, v8, vcc
	v_ashrrev_i32_e32 v10, 31, v15
	v_add_co_u32_e32 v6, vcc, v14, v10
	v_addc_co_u32_e32 v7, vcc, v15, v10, vcc
	v_xor_b32_e32 v12, v6, v10
	v_xor_b32_e32 v11, v7, v10
	v_mad_u64_u32 v[6:7], s[0:1], v12, v8, 0
	v_mul_hi_u32 v9, v12, v5
	v_add_co_u32_e32 v13, vcc, v9, v6
	v_addc_co_u32_e32 v16, vcc, 0, v7, vcc
	v_mad_u64_u32 v[6:7], s[0:1], v11, v8, 0
	v_mad_u64_u32 v[8:9], s[0:1], v11, v5, 0
	v_add_co_u32_e32 v5, vcc, v13, v8
	v_addc_co_u32_e32 v5, vcc, v16, v9, vcc
	v_addc_co_u32_e32 v7, vcc, 0, v7, vcc
	v_add_co_u32_e32 v5, vcc, v5, v6
	v_addc_co_u32_e32 v6, vcc, 0, v7, vcc
	v_mul_lo_u32 v8, s35, v5
	v_mul_lo_u32 v9, s34, v6
	v_mad_u64_u32 v[6:7], s[0:1], s34, v5, 0
	v_add3_u32 v5, v7, v9, v8
	v_sub_u32_e32 v7, v11, v5
	v_mov_b32_e32 v8, s35
	v_sub_co_u32_e32 v6, vcc, v12, v6
	v_subb_co_u32_e64 v7, s[0:1], v7, v8, vcc
	v_subrev_co_u32_e64 v8, s[0:1], s34, v6
	v_subbrev_co_u32_e64 v7, s[0:1], 0, v7, s[0:1]
	v_cmp_le_u32_e64 s[0:1], s35, v7
	v_subb_co_u32_e32 v5, vcc, v11, v5, vcc
	v_cndmask_b32_e64 v9, 0, -1, s[0:1]
	v_cmp_le_u32_e64 s[0:1], s34, v8
	v_cmp_le_u32_e32 vcc, s35, v5
	v_cndmask_b32_e64 v12, 0, -1, s[0:1]
	v_cmp_eq_u32_e64 s[0:1], s35, v7
	v_cndmask_b32_e64 v11, 0, -1, vcc
	v_cmp_le_u32_e32 vcc, s34, v6
	v_cndmask_b32_e64 v7, v9, v12, s[0:1]
	v_cndmask_b32_e64 v12, 0, -1, vcc
	v_cmp_eq_u32_e32 vcc, s35, v5
	v_subrev_co_u32_e64 v9, s[0:1], s34, v8
	v_cndmask_b32_e32 v5, v11, v12, vcc
	v_cmp_ne_u32_e32 vcc, 0, v7
	v_cndmask_b32_e32 v7, v8, v9, vcc
	v_cmp_ne_u32_e32 vcc, 0, v5
	v_cndmask_b32_e32 v5, v6, v7, vcc
	v_xor_b32_e32 v5, v5, v10
	v_sub_co_u32_e32 v6, vcc, v5, v10
.LBB65_9:                               ;   in Loop: Header=BB65_3 Depth=1
	s_andn2_saveexec_b64 s[0:1], s[2:3]
	s_cbranch_execz .LBB65_11
; %bb.10:                               ;   in Loop: Header=BB65_3 Depth=1
	v_cvt_f32_u32_e32 v5, s12
	s_sub_i32 s2, 0, s12
	v_rcp_iflag_f32_e32 v5, v5
	v_mul_f32_e32 v5, 0x4f7ffffe, v5
	v_cvt_u32_f32_e32 v5, v5
	v_mul_lo_u32 v6, s2, v5
	v_mul_hi_u32 v6, v5, v6
	v_add_u32_e32 v5, v5, v6
	v_mul_hi_u32 v5, v14, v5
	v_mul_lo_u32 v5, v5, s12
	v_sub_u32_e32 v5, v14, v5
	v_subrev_u32_e32 v6, s12, v5
	v_cmp_le_u32_e32 vcc, s12, v5
	v_cndmask_b32_e32 v5, v5, v6, vcc
	v_subrev_u32_e32 v6, s12, v5
	v_cmp_le_u32_e32 vcc, s12, v5
	v_cndmask_b32_e32 v6, v5, v6, vcc
.LBB65_11:                              ;   in Loop: Header=BB65_3 Depth=1
	s_or_b64 exec, exec, s[0:1]
	v_mul_lo_u32 v8, s17, v4
	v_mad_u64_u32 v[10:11], s[0:1], s16, v6, v[8:9]
	v_mul_lo_u32 v8, s19, v4
	s_andn2_b64 vcc, exec, s[14:15]
	v_mad_u64_u32 v[8:9], s[0:1], s18, v6, v[8:9]
	s_cbranch_vccnz .LBB65_41
; %bb.12:                               ;   in Loop: Header=BB65_3 Depth=1
	v_cmp_ne_u64_e32 vcc, 0, v[2:3]
                                        ; implicit-def: $vgpr12_vgpr13
	s_and_saveexec_b64 s[0:1], vcc
	s_xor_b64 s[2:3], exec, s[0:1]
	s_cbranch_execz .LBB65_14
; %bb.13:                               ;   in Loop: Header=BB65_3 Depth=1
	s_add_u32 s0, s12, s44
	s_mov_b32 s34, s44
	s_mov_b32 s35, s44
	s_addc_u32 s1, s44, s44
	s_xor_b64 s[36:37], s[0:1], s[34:35]
	v_cvt_f32_u32_e32 v3, s36
	v_cvt_f32_u32_e32 v5, s37
	s_sub_u32 s0, 0, s36
	s_subb_u32 s1, 0, s37
	v_mac_f32_e32 v3, 0x4f800000, v5
	v_rcp_f32_e32 v3, v3
	v_mul_f32_e32 v3, 0x5f7ffffc, v3
	v_mul_f32_e32 v5, 0x2f800000, v3
	v_trunc_f32_e32 v5, v5
	v_mac_f32_e32 v3, 0xcf800000, v5
	v_cvt_u32_f32_e32 v5, v5
	v_cvt_u32_f32_e32 v3, v3
	v_mul_lo_u32 v7, s0, v5
	v_mul_hi_u32 v11, s0, v3
	v_mul_lo_u32 v9, s1, v3
	v_add_u32_e32 v7, v11, v7
	v_mul_lo_u32 v12, s0, v3
	v_add_u32_e32 v7, v7, v9
	v_mul_lo_u32 v11, v3, v7
	v_mul_hi_u32 v13, v3, v12
	v_mul_hi_u32 v9, v3, v7
	v_add_co_u32_e32 v11, vcc, v13, v11
	v_addc_co_u32_e32 v9, vcc, 0, v9, vcc
	v_mul_hi_u32 v16, v5, v12
	v_mul_lo_u32 v12, v5, v12
	v_add_co_u32_e32 v11, vcc, v11, v12
	v_mul_hi_u32 v13, v5, v7
	v_addc_co_u32_e32 v9, vcc, v9, v16, vcc
	v_addc_co_u32_e32 v11, vcc, 0, v13, vcc
	v_mul_lo_u32 v7, v5, v7
	v_add_co_u32_e32 v7, vcc, v9, v7
	v_addc_co_u32_e32 v9, vcc, 0, v11, vcc
	v_add_co_u32_e32 v3, vcc, v3, v7
	v_addc_co_u32_e32 v5, vcc, v5, v9, vcc
	v_mul_lo_u32 v7, s0, v5
	v_mul_hi_u32 v9, s0, v3
	v_add_u32_e32 v7, v9, v7
	v_mul_lo_u32 v9, s1, v3
	v_add_u32_e32 v7, v7, v9
	v_mul_lo_u32 v11, s0, v3
	v_mul_hi_u32 v12, v5, v11
	v_mul_lo_u32 v13, v5, v11
	v_mul_lo_u32 v17, v3, v7
	v_mul_hi_u32 v11, v3, v11
	v_mul_hi_u32 v16, v3, v7
	v_add_co_u32_e32 v11, vcc, v11, v17
	v_addc_co_u32_e32 v16, vcc, 0, v16, vcc
	v_add_co_u32_e32 v11, vcc, v11, v13
	v_mul_hi_u32 v9, v5, v7
	v_addc_co_u32_e32 v11, vcc, v16, v12, vcc
	v_addc_co_u32_e32 v9, vcc, 0, v9, vcc
	v_mul_lo_u32 v7, v5, v7
	v_add_co_u32_e32 v7, vcc, v11, v7
	v_addc_co_u32_e32 v9, vcc, 0, v9, vcc
	v_add_co_u32_e32 v3, vcc, v3, v7
	v_addc_co_u32_e32 v5, vcc, v5, v9, vcc
	v_ashrrev_i32_e32 v7, 31, v15
	v_add_co_u32_e32 v9, vcc, v14, v7
	v_xor_b32_e32 v9, v9, v7
	v_addc_co_u32_e32 v11, vcc, v15, v7, vcc
	v_mad_u64_u32 v[12:13], s[0:1], v9, v5, 0
	v_mul_hi_u32 v14, v9, v3
	v_xor_b32_e32 v11, v11, v7
	v_add_co_u32_e32 v16, vcc, v14, v12
	v_addc_co_u32_e32 v17, vcc, 0, v13, vcc
	v_mad_u64_u32 v[14:15], s[0:1], v11, v3, 0
	v_add_co_u32_e32 v3, vcc, v16, v14
	v_mad_u64_u32 v[12:13], s[0:1], v11, v5, 0
	v_addc_co_u32_e32 v3, vcc, v17, v15, vcc
	v_addc_co_u32_e32 v5, vcc, 0, v13, vcc
	v_add_co_u32_e32 v3, vcc, v3, v12
	v_addc_co_u32_e32 v5, vcc, 0, v5, vcc
	v_mul_lo_u32 v14, s37, v3
	v_mul_lo_u32 v15, s36, v5
	v_mad_u64_u32 v[12:13], s[0:1], s36, v3, 0
	v_add3_u32 v13, v13, v15, v14
	v_sub_u32_e32 v14, v11, v13
	v_mov_b32_e32 v15, s37
	v_sub_co_u32_e32 v9, vcc, v9, v12
	v_subb_co_u32_e64 v12, s[0:1], v14, v15, vcc
	v_subrev_co_u32_e64 v14, s[0:1], s36, v9
	v_subbrev_co_u32_e64 v12, s[0:1], 0, v12, s[0:1]
	v_cmp_le_u32_e64 s[0:1], s37, v12
	v_cndmask_b32_e64 v15, 0, -1, s[0:1]
	v_cmp_le_u32_e64 s[0:1], s36, v14
	v_cndmask_b32_e64 v14, 0, -1, s[0:1]
	v_cmp_eq_u32_e64 s[0:1], s37, v12
	v_cndmask_b32_e64 v12, v15, v14, s[0:1]
	v_add_co_u32_e64 v14, s[0:1], 2, v3
	v_subb_co_u32_e32 v11, vcc, v11, v13, vcc
	v_addc_co_u32_e64 v15, s[0:1], 0, v5, s[0:1]
	v_cmp_le_u32_e32 vcc, s37, v11
	v_add_co_u32_e64 v16, s[0:1], 1, v3
	v_cndmask_b32_e64 v13, 0, -1, vcc
	v_cmp_le_u32_e32 vcc, s36, v9
	v_addc_co_u32_e64 v17, s[0:1], 0, v5, s[0:1]
	v_cndmask_b32_e64 v9, 0, -1, vcc
	v_cmp_eq_u32_e32 vcc, s37, v11
	v_cmp_ne_u32_e64 s[0:1], 0, v12
	v_cndmask_b32_e32 v9, v13, v9, vcc
	v_cmp_ne_u32_e32 vcc, 0, v9
	v_cndmask_b32_e64 v9, v16, v14, s[0:1]
	v_cndmask_b32_e64 v12, v17, v15, s[0:1]
	v_cndmask_b32_e32 v3, v3, v9, vcc
	v_xor_b32_e32 v9, s35, v7
	v_xor_b32_e32 v7, s34, v7
	v_cndmask_b32_e32 v5, v5, v12, vcc
	v_xor_b32_e32 v3, v3, v7
	v_xor_b32_e32 v5, v5, v9
	v_sub_co_u32_e32 v12, vcc, v3, v7
	v_subb_co_u32_e32 v13, vcc, v5, v9, vcc
                                        ; implicit-def: $vgpr14_vgpr15
.LBB65_14:                              ;   in Loop: Header=BB65_3 Depth=1
	s_andn2_saveexec_b64 s[0:1], s[2:3]
	s_cbranch_execz .LBB65_16
; %bb.15:                               ;   in Loop: Header=BB65_3 Depth=1
	v_cvt_f32_u32_e32 v3, s12
	s_sub_i32 s2, 0, s12
	v_mov_b32_e32 v13, v2
	v_rcp_iflag_f32_e32 v3, v3
	v_mul_f32_e32 v3, 0x4f7ffffe, v3
	v_cvt_u32_f32_e32 v3, v3
	v_mul_lo_u32 v5, s2, v3
	v_mul_hi_u32 v5, v3, v5
	v_add_u32_e32 v3, v3, v5
	v_mul_hi_u32 v3, v14, v3
	v_mul_lo_u32 v5, v3, s12
	v_sub_u32_e32 v5, v14, v5
	v_add_u32_e32 v7, 1, v3
	v_subrev_u32_e32 v9, s12, v5
	v_cmp_le_u32_e32 vcc, s12, v5
	v_cndmask_b32_e32 v5, v5, v9, vcc
	v_cndmask_b32_e32 v3, v3, v7, vcc
	v_add_u32_e32 v7, 1, v3
	v_cmp_le_u32_e32 vcc, s12, v5
	v_cndmask_b32_e32 v12, v3, v7, vcc
.LBB65_16:                              ;   in Loop: Header=BB65_3 Depth=1
	s_or_b64 exec, exec, s[0:1]
	s_andn2_b64 vcc, exec, s[22:23]
	s_mov_b32 s52, 1
	s_mov_b32 s20, s48
	s_cbranch_vccz .LBB65_37
.LBB65_17:                              ;   in Loop: Header=BB65_3 Depth=1
	s_and_b64 vcc, exec, s[24:25]
	s_cbranch_vccz .LBB65_41
.LBB65_18:                              ;   Parent Loop BB65_3 Depth=1
                                        ; =>  This Inner Loop Header: Depth=2
	s_lshl_b64 s[2:3], s[20:21], 2
	s_add_u32 s34, s33, s2
	s_addc_u32 s35, s42, s3
	s_load_dword s52, s[34:35], 0x8
                                        ; implicit-def: $vgpr14_vgpr15
	s_waitcnt lgkmcnt(0)
	s_ashr_i32 s0, s52, 31
	v_or_b32_e32 v3, s0, v13
	v_cmp_ne_u64_e32 vcc, 0, v[2:3]
	s_and_saveexec_b64 s[36:37], vcc
	s_xor_b64 s[36:37], exec, s[36:37]
	s_cbranch_execz .LBB65_20
; %bb.19:                               ;   in Loop: Header=BB65_18 Depth=2
	s_add_u32 s40, s52, s0
	s_mov_b32 s38, s0
	s_mov_b32 s39, s0
	s_addc_u32 s41, s0, s0
	s_xor_b64 s[40:41], s[40:41], s[38:39]
	v_cvt_f32_u32_e32 v3, s40
	v_cvt_f32_u32_e32 v5, s41
	s_sub_u32 s0, 0, s40
	s_subb_u32 s1, 0, s41
	v_mac_f32_e32 v3, 0x4f800000, v5
	v_rcp_f32_e32 v3, v3
	v_mul_f32_e32 v3, 0x5f7ffffc, v3
	v_mul_f32_e32 v5, 0x2f800000, v3
	v_trunc_f32_e32 v5, v5
	v_mac_f32_e32 v3, 0xcf800000, v5
	v_cvt_u32_f32_e32 v5, v5
	v_cvt_u32_f32_e32 v3, v3
	v_mul_lo_u32 v7, s0, v5
	v_mul_hi_u32 v11, s0, v3
	v_mul_lo_u32 v9, s1, v3
	v_add_u32_e32 v7, v11, v7
	v_mul_lo_u32 v14, s0, v3
	v_add_u32_e32 v7, v7, v9
	v_mul_lo_u32 v11, v3, v7
	v_mul_hi_u32 v15, v3, v14
	v_mul_hi_u32 v9, v3, v7
	v_add_co_u32_e32 v11, vcc, v15, v11
	v_addc_co_u32_e32 v9, vcc, 0, v9, vcc
	v_mul_hi_u32 v16, v5, v14
	v_mul_lo_u32 v14, v5, v14
	v_add_co_u32_e32 v11, vcc, v11, v14
	v_mul_hi_u32 v15, v5, v7
	v_addc_co_u32_e32 v9, vcc, v9, v16, vcc
	v_addc_co_u32_e32 v11, vcc, 0, v15, vcc
	v_mul_lo_u32 v7, v5, v7
	v_add_co_u32_e32 v7, vcc, v9, v7
	v_addc_co_u32_e32 v9, vcc, 0, v11, vcc
	v_add_co_u32_e32 v3, vcc, v3, v7
	v_addc_co_u32_e32 v5, vcc, v5, v9, vcc
	v_mul_lo_u32 v7, s0, v5
	v_mul_hi_u32 v9, s0, v3
	v_add_u32_e32 v7, v9, v7
	v_mul_lo_u32 v9, s1, v3
	v_add_u32_e32 v7, v7, v9
	v_mul_lo_u32 v11, s0, v3
	v_mul_hi_u32 v14, v5, v11
	v_mul_lo_u32 v15, v5, v11
	v_mul_lo_u32 v17, v3, v7
	v_mul_hi_u32 v11, v3, v11
	v_mul_hi_u32 v16, v3, v7
	v_add_co_u32_e32 v11, vcc, v11, v17
	v_addc_co_u32_e32 v16, vcc, 0, v16, vcc
	v_add_co_u32_e32 v11, vcc, v11, v15
	v_mul_hi_u32 v9, v5, v7
	v_addc_co_u32_e32 v11, vcc, v16, v14, vcc
	v_addc_co_u32_e32 v9, vcc, 0, v9, vcc
	v_mul_lo_u32 v7, v5, v7
	v_add_co_u32_e32 v7, vcc, v11, v7
	v_addc_co_u32_e32 v9, vcc, 0, v9, vcc
	v_add_co_u32_e32 v3, vcc, v3, v7
	v_addc_co_u32_e32 v5, vcc, v5, v9, vcc
	v_ashrrev_i32_e32 v7, 31, v13
	v_add_co_u32_e32 v9, vcc, v12, v7
	v_xor_b32_e32 v9, v9, v7
	v_addc_co_u32_e32 v11, vcc, v13, v7, vcc
	v_mad_u64_u32 v[14:15], s[0:1], v9, v5, 0
	v_mul_hi_u32 v13, v9, v3
	v_xor_b32_e32 v11, v11, v7
	v_add_co_u32_e32 v13, vcc, v13, v14
	v_addc_co_u32_e32 v18, vcc, 0, v15, vcc
	v_mad_u64_u32 v[16:17], s[0:1], v11, v3, 0
	v_add_co_u32_e32 v3, vcc, v13, v16
	v_mad_u64_u32 v[14:15], s[0:1], v11, v5, 0
	v_addc_co_u32_e32 v3, vcc, v18, v17, vcc
	v_addc_co_u32_e32 v5, vcc, 0, v15, vcc
	v_add_co_u32_e32 v3, vcc, v3, v14
	v_addc_co_u32_e32 v5, vcc, 0, v5, vcc
	v_mul_lo_u32 v13, s41, v3
	v_mul_lo_u32 v16, s40, v5
	v_mad_u64_u32 v[14:15], s[0:1], s40, v3, 0
	v_add3_u32 v13, v15, v16, v13
	v_sub_u32_e32 v15, v11, v13
	v_mov_b32_e32 v16, s41
	v_sub_co_u32_e32 v9, vcc, v9, v14
	v_subb_co_u32_e64 v14, s[0:1], v15, v16, vcc
	v_subrev_co_u32_e64 v15, s[0:1], s40, v9
	v_subbrev_co_u32_e64 v14, s[0:1], 0, v14, s[0:1]
	v_cmp_le_u32_e64 s[0:1], s41, v14
	v_cndmask_b32_e64 v16, 0, -1, s[0:1]
	v_cmp_le_u32_e64 s[0:1], s40, v15
	v_cndmask_b32_e64 v15, 0, -1, s[0:1]
	v_cmp_eq_u32_e64 s[0:1], s41, v14
	v_cndmask_b32_e64 v14, v16, v15, s[0:1]
	v_add_co_u32_e64 v15, s[0:1], 2, v3
	v_subb_co_u32_e32 v11, vcc, v11, v13, vcc
	v_addc_co_u32_e64 v16, s[0:1], 0, v5, s[0:1]
	v_cmp_le_u32_e32 vcc, s41, v11
	v_add_co_u32_e64 v17, s[0:1], 1, v3
	v_cndmask_b32_e64 v13, 0, -1, vcc
	v_cmp_le_u32_e32 vcc, s40, v9
	v_addc_co_u32_e64 v18, s[0:1], 0, v5, s[0:1]
	v_cndmask_b32_e64 v9, 0, -1, vcc
	v_cmp_eq_u32_e32 vcc, s41, v11
	v_cmp_ne_u32_e64 s[0:1], 0, v14
	v_cndmask_b32_e32 v9, v13, v9, vcc
	v_cmp_ne_u32_e32 vcc, 0, v9
	v_cndmask_b32_e64 v9, v17, v15, s[0:1]
	v_cndmask_b32_e64 v14, v18, v16, s[0:1]
	v_cndmask_b32_e32 v3, v3, v9, vcc
	v_xor_b32_e32 v9, s39, v7
	v_xor_b32_e32 v7, s38, v7
	v_cndmask_b32_e32 v5, v5, v14, vcc
	v_xor_b32_e32 v3, v3, v7
	v_xor_b32_e32 v5, v5, v9
	v_sub_co_u32_e32 v14, vcc, v3, v7
	v_subb_co_u32_e32 v15, vcc, v5, v9, vcc
.LBB65_20:                              ;   in Loop: Header=BB65_18 Depth=2
	s_andn2_saveexec_b64 s[0:1], s[36:37]
	s_cbranch_execz .LBB65_22
; %bb.21:                               ;   in Loop: Header=BB65_18 Depth=2
	v_cvt_f32_u32_e32 v3, s52
	s_sub_i32 s36, 0, s52
	v_mov_b32_e32 v15, v2
	v_rcp_iflag_f32_e32 v3, v3
	v_mul_f32_e32 v3, 0x4f7ffffe, v3
	v_cvt_u32_f32_e32 v3, v3
	v_mul_lo_u32 v5, s36, v3
	v_mul_hi_u32 v5, v3, v5
	v_add_u32_e32 v3, v3, v5
	v_mul_hi_u32 v3, v12, v3
	v_mul_lo_u32 v5, v3, s52
	v_sub_u32_e32 v5, v12, v5
	v_add_u32_e32 v7, 1, v3
	v_subrev_u32_e32 v9, s52, v5
	v_cmp_le_u32_e32 vcc, s52, v5
	v_cndmask_b32_e32 v5, v5, v9, vcc
	v_cndmask_b32_e32 v3, v3, v7, vcc
	v_add_u32_e32 v7, 1, v3
	v_cmp_le_u32_e32 vcc, s52, v5
	v_cndmask_b32_e32 v14, v3, v7, vcc
.LBB65_22:                              ;   in Loop: Header=BB65_18 Depth=2
	s_or_b64 exec, exec, s[0:1]
	s_add_u32 s0, s46, s2
	s_addc_u32 s1, s47, s3
	s_add_i32 s2, s20, -1
	s_mov_b32 s3, s21
	s_lshl_b64 s[36:37], s[2:3], 2
	s_add_u32 s2, s33, s36
	s_addc_u32 s3, s42, s37
	s_load_dword s53, s[2:3], 0x8
	s_load_dword s54, s[34:35], 0x6c
	;; [unrolled: 1-line block ×3, first 2 shown]
                                        ; implicit-def: $vgpr16_vgpr17
	s_waitcnt lgkmcnt(0)
	s_ashr_i32 s0, s53, 31
	v_or_b32_e32 v3, s0, v15
	v_cmp_ne_u64_e32 vcc, 0, v[2:3]
	s_and_saveexec_b64 s[34:35], vcc
	s_xor_b64 s[34:35], exec, s[34:35]
	s_cbranch_execz .LBB65_24
; %bb.23:                               ;   in Loop: Header=BB65_18 Depth=2
	s_add_u32 s40, s53, s0
	s_mov_b32 s38, s0
	s_mov_b32 s39, s0
	s_addc_u32 s41, s0, s0
	s_xor_b64 s[40:41], s[40:41], s[38:39]
	v_cvt_f32_u32_e32 v3, s40
	v_cvt_f32_u32_e32 v5, s41
	s_sub_u32 s0, 0, s40
	s_subb_u32 s1, 0, s41
	v_mac_f32_e32 v3, 0x4f800000, v5
	v_rcp_f32_e32 v3, v3
	v_mul_f32_e32 v3, 0x5f7ffffc, v3
	v_mul_f32_e32 v5, 0x2f800000, v3
	v_trunc_f32_e32 v5, v5
	v_mac_f32_e32 v3, 0xcf800000, v5
	v_cvt_u32_f32_e32 v5, v5
	v_cvt_u32_f32_e32 v3, v3
	v_mul_lo_u32 v7, s0, v5
	v_mul_hi_u32 v11, s0, v3
	v_mul_lo_u32 v9, s1, v3
	v_add_u32_e32 v7, v11, v7
	v_mul_lo_u32 v13, s0, v3
	v_add_u32_e32 v7, v7, v9
	v_mul_lo_u32 v11, v3, v7
	v_mul_hi_u32 v16, v3, v13
	v_mul_hi_u32 v9, v3, v7
	v_add_co_u32_e32 v11, vcc, v16, v11
	v_addc_co_u32_e32 v9, vcc, 0, v9, vcc
	v_mul_hi_u32 v17, v5, v13
	v_mul_lo_u32 v13, v5, v13
	v_add_co_u32_e32 v11, vcc, v11, v13
	v_mul_hi_u32 v16, v5, v7
	v_addc_co_u32_e32 v9, vcc, v9, v17, vcc
	v_addc_co_u32_e32 v11, vcc, 0, v16, vcc
	v_mul_lo_u32 v7, v5, v7
	v_add_co_u32_e32 v7, vcc, v9, v7
	v_addc_co_u32_e32 v9, vcc, 0, v11, vcc
	v_add_co_u32_e32 v3, vcc, v3, v7
	v_addc_co_u32_e32 v5, vcc, v5, v9, vcc
	v_mul_lo_u32 v7, s0, v5
	v_mul_hi_u32 v9, s0, v3
	v_add_u32_e32 v7, v9, v7
	v_mul_lo_u32 v9, s1, v3
	v_add_u32_e32 v7, v7, v9
	v_mul_lo_u32 v11, s0, v3
	v_mul_hi_u32 v13, v5, v11
	v_mul_lo_u32 v16, v5, v11
	v_mul_lo_u32 v18, v3, v7
	v_mul_hi_u32 v11, v3, v11
	v_mul_hi_u32 v17, v3, v7
	v_add_co_u32_e32 v11, vcc, v11, v18
	v_addc_co_u32_e32 v17, vcc, 0, v17, vcc
	v_add_co_u32_e32 v11, vcc, v11, v16
	v_mul_hi_u32 v9, v5, v7
	v_addc_co_u32_e32 v11, vcc, v17, v13, vcc
	v_addc_co_u32_e32 v9, vcc, 0, v9, vcc
	v_mul_lo_u32 v7, v5, v7
	v_add_co_u32_e32 v7, vcc, v11, v7
	v_addc_co_u32_e32 v9, vcc, 0, v9, vcc
	v_add_co_u32_e32 v3, vcc, v3, v7
	v_addc_co_u32_e32 v5, vcc, v5, v9, vcc
	v_ashrrev_i32_e32 v7, 31, v15
	v_add_co_u32_e32 v9, vcc, v14, v7
	v_xor_b32_e32 v9, v9, v7
	v_addc_co_u32_e32 v11, vcc, v15, v7, vcc
	v_mad_u64_u32 v[16:17], s[0:1], v9, v5, 0
	v_mul_hi_u32 v13, v9, v3
	v_xor_b32_e32 v11, v11, v7
	v_add_co_u32_e32 v13, vcc, v13, v16
	v_addc_co_u32_e32 v15, vcc, 0, v17, vcc
	v_mad_u64_u32 v[18:19], s[0:1], v11, v3, 0
	v_add_co_u32_e32 v3, vcc, v13, v18
	v_mad_u64_u32 v[16:17], s[0:1], v11, v5, 0
	v_addc_co_u32_e32 v3, vcc, v15, v19, vcc
	v_addc_co_u32_e32 v5, vcc, 0, v17, vcc
	v_add_co_u32_e32 v3, vcc, v3, v16
	v_addc_co_u32_e32 v5, vcc, 0, v5, vcc
	v_mul_lo_u32 v13, s41, v3
	v_mul_lo_u32 v15, s40, v5
	v_mad_u64_u32 v[16:17], s[0:1], s40, v3, 0
	v_add3_u32 v13, v17, v15, v13
	v_sub_u32_e32 v15, v11, v13
	v_mov_b32_e32 v17, s41
	v_sub_co_u32_e32 v9, vcc, v9, v16
	v_subb_co_u32_e64 v15, s[0:1], v15, v17, vcc
	v_subrev_co_u32_e64 v16, s[0:1], s40, v9
	v_subbrev_co_u32_e64 v15, s[0:1], 0, v15, s[0:1]
	v_cmp_le_u32_e64 s[0:1], s41, v15
	v_cndmask_b32_e64 v17, 0, -1, s[0:1]
	v_cmp_le_u32_e64 s[0:1], s40, v16
	v_cndmask_b32_e64 v16, 0, -1, s[0:1]
	v_cmp_eq_u32_e64 s[0:1], s41, v15
	v_cndmask_b32_e64 v15, v17, v16, s[0:1]
	v_add_co_u32_e64 v16, s[0:1], 2, v3
	v_subb_co_u32_e32 v11, vcc, v11, v13, vcc
	v_addc_co_u32_e64 v17, s[0:1], 0, v5, s[0:1]
	v_cmp_le_u32_e32 vcc, s41, v11
	v_add_co_u32_e64 v18, s[0:1], 1, v3
	v_cndmask_b32_e64 v13, 0, -1, vcc
	v_cmp_le_u32_e32 vcc, s40, v9
	v_addc_co_u32_e64 v19, s[0:1], 0, v5, s[0:1]
	v_cndmask_b32_e64 v9, 0, -1, vcc
	v_cmp_eq_u32_e32 vcc, s41, v11
	v_cmp_ne_u32_e64 s[0:1], 0, v15
	v_cndmask_b32_e32 v9, v13, v9, vcc
	v_cmp_ne_u32_e32 vcc, 0, v9
	v_cndmask_b32_e64 v9, v18, v16, s[0:1]
	v_cndmask_b32_e64 v15, v19, v17, s[0:1]
	v_cndmask_b32_e32 v3, v3, v9, vcc
	v_xor_b32_e32 v9, s39, v7
	v_xor_b32_e32 v7, s38, v7
	v_cndmask_b32_e32 v5, v5, v15, vcc
	v_xor_b32_e32 v3, v3, v7
	v_xor_b32_e32 v5, v5, v9
	v_sub_co_u32_e32 v16, vcc, v3, v7
	v_subb_co_u32_e32 v17, vcc, v5, v9, vcc
.LBB65_24:                              ;   in Loop: Header=BB65_18 Depth=2
	s_andn2_saveexec_b64 s[0:1], s[34:35]
	s_cbranch_execz .LBB65_26
; %bb.25:                               ;   in Loop: Header=BB65_18 Depth=2
	v_cvt_f32_u32_e32 v3, s53
	s_sub_i32 s34, 0, s53
	v_mov_b32_e32 v17, v2
	v_rcp_iflag_f32_e32 v3, v3
	v_mul_f32_e32 v3, 0x4f7ffffe, v3
	v_cvt_u32_f32_e32 v3, v3
	v_mul_lo_u32 v5, s34, v3
	v_mul_hi_u32 v5, v3, v5
	v_add_u32_e32 v3, v3, v5
	v_mul_hi_u32 v3, v14, v3
	v_mul_lo_u32 v5, v3, s53
	v_sub_u32_e32 v5, v14, v5
	v_add_u32_e32 v7, 1, v3
	v_subrev_u32_e32 v9, s53, v5
	v_cmp_le_u32_e32 vcc, s53, v5
	v_cndmask_b32_e32 v5, v5, v9, vcc
	v_cndmask_b32_e32 v3, v3, v7, vcc
	v_add_u32_e32 v7, 1, v3
	v_cmp_le_u32_e32 vcc, s53, v5
	v_cndmask_b32_e32 v16, v3, v7, vcc
.LBB65_26:                              ;   in Loop: Header=BB65_18 Depth=2
	s_or_b64 exec, exec, s[0:1]
	s_add_u32 s0, s46, s36
	s_addc_u32 s1, s47, s37
	s_add_i32 s34, s20, -2
	s_mov_b32 s35, s21
	s_lshl_b64 s[34:35], s[34:35], 2
	s_add_u32 s36, s33, s34
	s_addc_u32 s37, s42, s35
	s_load_dword s56, s[36:37], 0x8
	s_load_dword s58, s[2:3], 0x6c
	;; [unrolled: 1-line block ×3, first 2 shown]
                                        ; implicit-def: $vgpr18_vgpr19
	s_waitcnt lgkmcnt(0)
	s_ashr_i32 s0, s56, 31
	v_or_b32_e32 v3, s0, v17
	v_cmp_ne_u64_e32 vcc, 0, v[2:3]
	s_and_saveexec_b64 s[2:3], vcc
	s_xor_b64 s[2:3], exec, s[2:3]
	s_cbranch_execz .LBB65_28
; %bb.27:                               ;   in Loop: Header=BB65_18 Depth=2
	s_add_u32 s40, s56, s0
	s_mov_b32 s38, s0
	s_mov_b32 s39, s0
	s_addc_u32 s41, s0, s0
	s_xor_b64 s[40:41], s[40:41], s[38:39]
	v_cvt_f32_u32_e32 v3, s40
	v_cvt_f32_u32_e32 v5, s41
	s_sub_u32 s0, 0, s40
	s_subb_u32 s1, 0, s41
	v_mac_f32_e32 v3, 0x4f800000, v5
	v_rcp_f32_e32 v3, v3
	v_mul_f32_e32 v3, 0x5f7ffffc, v3
	v_mul_f32_e32 v5, 0x2f800000, v3
	v_trunc_f32_e32 v5, v5
	v_mac_f32_e32 v3, 0xcf800000, v5
	v_cvt_u32_f32_e32 v5, v5
	v_cvt_u32_f32_e32 v3, v3
	v_mul_lo_u32 v7, s0, v5
	v_mul_hi_u32 v11, s0, v3
	v_mul_lo_u32 v9, s1, v3
	v_add_u32_e32 v7, v11, v7
	v_mul_lo_u32 v13, s0, v3
	v_add_u32_e32 v7, v7, v9
	v_mul_lo_u32 v11, v3, v7
	v_mul_hi_u32 v15, v3, v13
	v_mul_hi_u32 v9, v3, v7
	v_add_co_u32_e32 v11, vcc, v15, v11
	v_addc_co_u32_e32 v9, vcc, 0, v9, vcc
	v_mul_hi_u32 v18, v5, v13
	v_mul_lo_u32 v13, v5, v13
	v_add_co_u32_e32 v11, vcc, v11, v13
	v_mul_hi_u32 v15, v5, v7
	v_addc_co_u32_e32 v9, vcc, v9, v18, vcc
	v_addc_co_u32_e32 v11, vcc, 0, v15, vcc
	v_mul_lo_u32 v7, v5, v7
	v_add_co_u32_e32 v7, vcc, v9, v7
	v_addc_co_u32_e32 v9, vcc, 0, v11, vcc
	v_add_co_u32_e32 v3, vcc, v3, v7
	v_addc_co_u32_e32 v5, vcc, v5, v9, vcc
	v_mul_lo_u32 v7, s0, v5
	v_mul_hi_u32 v9, s0, v3
	v_add_u32_e32 v7, v9, v7
	v_mul_lo_u32 v9, s1, v3
	v_add_u32_e32 v7, v7, v9
	v_mul_lo_u32 v11, s0, v3
	v_mul_hi_u32 v13, v5, v11
	v_mul_lo_u32 v15, v5, v11
	v_mul_lo_u32 v19, v3, v7
	v_mul_hi_u32 v11, v3, v11
	v_mul_hi_u32 v18, v3, v7
	v_add_co_u32_e32 v11, vcc, v11, v19
	v_addc_co_u32_e32 v18, vcc, 0, v18, vcc
	v_add_co_u32_e32 v11, vcc, v11, v15
	v_mul_hi_u32 v9, v5, v7
	v_addc_co_u32_e32 v11, vcc, v18, v13, vcc
	v_addc_co_u32_e32 v9, vcc, 0, v9, vcc
	v_mul_lo_u32 v7, v5, v7
	v_add_co_u32_e32 v7, vcc, v11, v7
	v_addc_co_u32_e32 v9, vcc, 0, v9, vcc
	v_add_co_u32_e32 v3, vcc, v3, v7
	v_addc_co_u32_e32 v5, vcc, v5, v9, vcc
	v_ashrrev_i32_e32 v7, 31, v17
	v_add_co_u32_e32 v9, vcc, v16, v7
	v_xor_b32_e32 v9, v9, v7
	v_addc_co_u32_e32 v11, vcc, v17, v7, vcc
	v_mad_u64_u32 v[18:19], s[0:1], v9, v5, 0
	v_mul_hi_u32 v13, v9, v3
	v_xor_b32_e32 v11, v11, v7
	v_add_co_u32_e32 v13, vcc, v13, v18
	v_addc_co_u32_e32 v15, vcc, 0, v19, vcc
	v_mad_u64_u32 v[20:21], s[0:1], v11, v3, 0
	v_add_co_u32_e32 v3, vcc, v13, v20
	v_mad_u64_u32 v[18:19], s[0:1], v11, v5, 0
	v_addc_co_u32_e32 v3, vcc, v15, v21, vcc
	v_addc_co_u32_e32 v5, vcc, 0, v19, vcc
	v_add_co_u32_e32 v3, vcc, v3, v18
	v_addc_co_u32_e32 v5, vcc, 0, v5, vcc
	v_mul_lo_u32 v13, s41, v3
	v_mul_lo_u32 v15, s40, v5
	v_mad_u64_u32 v[18:19], s[0:1], s40, v3, 0
	v_add3_u32 v13, v19, v15, v13
	v_sub_u32_e32 v15, v11, v13
	v_mov_b32_e32 v17, s41
	v_sub_co_u32_e32 v9, vcc, v9, v18
	v_subb_co_u32_e64 v15, s[0:1], v15, v17, vcc
	v_subrev_co_u32_e64 v17, s[0:1], s40, v9
	v_subbrev_co_u32_e64 v15, s[0:1], 0, v15, s[0:1]
	v_cmp_le_u32_e64 s[0:1], s41, v15
	v_cndmask_b32_e64 v18, 0, -1, s[0:1]
	v_cmp_le_u32_e64 s[0:1], s40, v17
	v_cndmask_b32_e64 v17, 0, -1, s[0:1]
	v_cmp_eq_u32_e64 s[0:1], s41, v15
	v_cndmask_b32_e64 v15, v18, v17, s[0:1]
	v_add_co_u32_e64 v17, s[0:1], 2, v3
	v_subb_co_u32_e32 v11, vcc, v11, v13, vcc
	v_addc_co_u32_e64 v18, s[0:1], 0, v5, s[0:1]
	v_cmp_le_u32_e32 vcc, s41, v11
	v_add_co_u32_e64 v19, s[0:1], 1, v3
	v_cndmask_b32_e64 v13, 0, -1, vcc
	v_cmp_le_u32_e32 vcc, s40, v9
	v_addc_co_u32_e64 v20, s[0:1], 0, v5, s[0:1]
	v_cndmask_b32_e64 v9, 0, -1, vcc
	v_cmp_eq_u32_e32 vcc, s41, v11
	v_cmp_ne_u32_e64 s[0:1], 0, v15
	v_cndmask_b32_e32 v9, v13, v9, vcc
	v_cmp_ne_u32_e32 vcc, 0, v9
	v_cndmask_b32_e64 v9, v19, v17, s[0:1]
	v_cndmask_b32_e64 v15, v20, v18, s[0:1]
	v_cndmask_b32_e32 v3, v3, v9, vcc
	v_xor_b32_e32 v9, s39, v7
	v_xor_b32_e32 v7, s38, v7
	v_cndmask_b32_e32 v5, v5, v15, vcc
	v_xor_b32_e32 v3, v3, v7
	v_xor_b32_e32 v5, v5, v9
	v_sub_co_u32_e32 v18, vcc, v3, v7
	v_subb_co_u32_e32 v19, vcc, v5, v9, vcc
.LBB65_28:                              ;   in Loop: Header=BB65_18 Depth=2
	s_andn2_saveexec_b64 s[0:1], s[2:3]
	s_cbranch_execz .LBB65_30
; %bb.29:                               ;   in Loop: Header=BB65_18 Depth=2
	v_cvt_f32_u32_e32 v3, s56
	s_sub_i32 s2, 0, s56
	v_mov_b32_e32 v19, v2
	v_rcp_iflag_f32_e32 v3, v3
	v_mul_f32_e32 v3, 0x4f7ffffe, v3
	v_cvt_u32_f32_e32 v3, v3
	v_mul_lo_u32 v5, s2, v3
	v_mul_hi_u32 v5, v3, v5
	v_add_u32_e32 v3, v3, v5
	v_mul_hi_u32 v3, v16, v3
	v_mul_lo_u32 v5, v3, s56
	v_sub_u32_e32 v5, v16, v5
	v_add_u32_e32 v7, 1, v3
	v_subrev_u32_e32 v9, s56, v5
	v_cmp_le_u32_e32 vcc, s56, v5
	v_cndmask_b32_e32 v5, v5, v9, vcc
	v_cndmask_b32_e32 v3, v3, v7, vcc
	v_add_u32_e32 v7, 1, v3
	v_cmp_le_u32_e32 vcc, s56, v5
	v_cndmask_b32_e32 v18, v3, v7, vcc
.LBB65_30:                              ;   in Loop: Header=BB65_18 Depth=2
	s_or_b64 exec, exec, s[0:1]
	s_add_u32 s0, s46, s34
	s_addc_u32 s1, s47, s35
	s_add_i32 s2, s20, -3
	s_mov_b32 s3, s21
	s_lshl_b64 s[2:3], s[2:3], 2
	s_add_u32 s34, s33, s2
	s_addc_u32 s35, s42, s3
	s_load_dword s59, s[34:35], 0x8
	s_load_dword s60, s[36:37], 0x6c
	;; [unrolled: 1-line block ×3, first 2 shown]
                                        ; implicit-def: $vgpr20_vgpr21
	s_waitcnt lgkmcnt(0)
	s_ashr_i32 s0, s59, 31
	v_or_b32_e32 v3, s0, v19
	v_cmp_ne_u64_e32 vcc, 0, v[2:3]
	s_and_saveexec_b64 s[36:37], vcc
	s_xor_b64 s[36:37], exec, s[36:37]
	s_cbranch_execz .LBB65_32
; %bb.31:                               ;   in Loop: Header=BB65_18 Depth=2
	s_add_u32 s40, s59, s0
	s_mov_b32 s38, s0
	s_mov_b32 s39, s0
	s_addc_u32 s41, s0, s0
	s_xor_b64 s[40:41], s[40:41], s[38:39]
	v_cvt_f32_u32_e32 v3, s40
	v_cvt_f32_u32_e32 v5, s41
	s_sub_u32 s0, 0, s40
	s_subb_u32 s1, 0, s41
	v_mac_f32_e32 v3, 0x4f800000, v5
	v_rcp_f32_e32 v3, v3
	v_mul_f32_e32 v3, 0x5f7ffffc, v3
	v_mul_f32_e32 v5, 0x2f800000, v3
	v_trunc_f32_e32 v5, v5
	v_mac_f32_e32 v3, 0xcf800000, v5
	v_cvt_u32_f32_e32 v5, v5
	v_cvt_u32_f32_e32 v3, v3
	v_mul_lo_u32 v7, s0, v5
	v_mul_hi_u32 v11, s0, v3
	v_mul_lo_u32 v9, s1, v3
	v_add_u32_e32 v7, v11, v7
	v_mul_lo_u32 v13, s0, v3
	v_add_u32_e32 v7, v7, v9
	v_mul_lo_u32 v11, v3, v7
	v_mul_hi_u32 v15, v3, v13
	v_mul_hi_u32 v9, v3, v7
	v_add_co_u32_e32 v11, vcc, v15, v11
	v_addc_co_u32_e32 v9, vcc, 0, v9, vcc
	v_mul_hi_u32 v17, v5, v13
	v_mul_lo_u32 v13, v5, v13
	v_add_co_u32_e32 v11, vcc, v11, v13
	v_mul_hi_u32 v15, v5, v7
	v_addc_co_u32_e32 v9, vcc, v9, v17, vcc
	v_addc_co_u32_e32 v11, vcc, 0, v15, vcc
	v_mul_lo_u32 v7, v5, v7
	v_add_co_u32_e32 v7, vcc, v9, v7
	v_addc_co_u32_e32 v9, vcc, 0, v11, vcc
	v_add_co_u32_e32 v3, vcc, v3, v7
	v_addc_co_u32_e32 v5, vcc, v5, v9, vcc
	v_mul_lo_u32 v7, s0, v5
	v_mul_hi_u32 v9, s0, v3
	v_add_u32_e32 v7, v9, v7
	v_mul_lo_u32 v9, s1, v3
	v_add_u32_e32 v7, v7, v9
	v_mul_lo_u32 v11, s0, v3
	v_mul_hi_u32 v13, v5, v11
	v_mul_lo_u32 v15, v5, v11
	v_mul_lo_u32 v20, v3, v7
	v_mul_hi_u32 v11, v3, v11
	v_mul_hi_u32 v17, v3, v7
	v_add_co_u32_e32 v11, vcc, v11, v20
	v_addc_co_u32_e32 v17, vcc, 0, v17, vcc
	v_add_co_u32_e32 v11, vcc, v11, v15
	v_mul_hi_u32 v9, v5, v7
	v_addc_co_u32_e32 v11, vcc, v17, v13, vcc
	v_addc_co_u32_e32 v9, vcc, 0, v9, vcc
	v_mul_lo_u32 v7, v5, v7
	v_add_co_u32_e32 v7, vcc, v11, v7
	v_addc_co_u32_e32 v9, vcc, 0, v9, vcc
	v_add_co_u32_e32 v3, vcc, v3, v7
	v_addc_co_u32_e32 v5, vcc, v5, v9, vcc
	v_ashrrev_i32_e32 v7, 31, v19
	v_add_co_u32_e32 v9, vcc, v18, v7
	v_xor_b32_e32 v9, v9, v7
	v_addc_co_u32_e32 v11, vcc, v19, v7, vcc
	v_mad_u64_u32 v[20:21], s[0:1], v9, v5, 0
	v_mul_hi_u32 v13, v9, v3
	v_xor_b32_e32 v11, v11, v7
	v_add_co_u32_e32 v13, vcc, v13, v20
	v_addc_co_u32_e32 v15, vcc, 0, v21, vcc
	v_mad_u64_u32 v[24:25], s[0:1], v11, v3, 0
	v_add_co_u32_e32 v3, vcc, v13, v24
	v_mad_u64_u32 v[20:21], s[0:1], v11, v5, 0
	v_addc_co_u32_e32 v3, vcc, v15, v25, vcc
	v_addc_co_u32_e32 v5, vcc, 0, v21, vcc
	v_add_co_u32_e32 v3, vcc, v3, v20
	v_addc_co_u32_e32 v5, vcc, 0, v5, vcc
	v_mul_lo_u32 v13, s41, v3
	v_mul_lo_u32 v15, s40, v5
	v_mad_u64_u32 v[20:21], s[0:1], s40, v3, 0
	v_add3_u32 v13, v21, v15, v13
	v_sub_u32_e32 v15, v11, v13
	v_mov_b32_e32 v17, s41
	v_sub_co_u32_e32 v9, vcc, v9, v20
	v_subb_co_u32_e64 v15, s[0:1], v15, v17, vcc
	v_subrev_co_u32_e64 v17, s[0:1], s40, v9
	v_subbrev_co_u32_e64 v15, s[0:1], 0, v15, s[0:1]
	v_cmp_le_u32_e64 s[0:1], s41, v15
	v_cndmask_b32_e64 v19, 0, -1, s[0:1]
	v_cmp_le_u32_e64 s[0:1], s40, v17
	v_cndmask_b32_e64 v17, 0, -1, s[0:1]
	v_cmp_eq_u32_e64 s[0:1], s41, v15
	v_cndmask_b32_e64 v15, v19, v17, s[0:1]
	v_add_co_u32_e64 v17, s[0:1], 2, v3
	v_subb_co_u32_e32 v11, vcc, v11, v13, vcc
	v_addc_co_u32_e64 v19, s[0:1], 0, v5, s[0:1]
	v_cmp_le_u32_e32 vcc, s41, v11
	v_add_co_u32_e64 v20, s[0:1], 1, v3
	v_cndmask_b32_e64 v13, 0, -1, vcc
	v_cmp_le_u32_e32 vcc, s40, v9
	v_addc_co_u32_e64 v21, s[0:1], 0, v5, s[0:1]
	v_cndmask_b32_e64 v9, 0, -1, vcc
	v_cmp_eq_u32_e32 vcc, s41, v11
	v_cmp_ne_u32_e64 s[0:1], 0, v15
	v_cndmask_b32_e32 v9, v13, v9, vcc
	v_cmp_ne_u32_e32 vcc, 0, v9
	v_cndmask_b32_e64 v9, v20, v17, s[0:1]
	v_cndmask_b32_e64 v15, v21, v19, s[0:1]
	v_cndmask_b32_e32 v3, v3, v9, vcc
	v_xor_b32_e32 v9, s39, v7
	v_xor_b32_e32 v7, s38, v7
	v_cndmask_b32_e32 v5, v5, v15, vcc
	v_xor_b32_e32 v3, v3, v7
	v_xor_b32_e32 v5, v5, v9
	v_sub_co_u32_e32 v20, vcc, v3, v7
	v_subb_co_u32_e32 v21, vcc, v5, v9, vcc
.LBB65_32:                              ;   in Loop: Header=BB65_18 Depth=2
	s_andn2_saveexec_b64 s[0:1], s[36:37]
	s_cbranch_execz .LBB65_34
; %bb.33:                               ;   in Loop: Header=BB65_18 Depth=2
	v_cvt_f32_u32_e32 v3, s59
	s_sub_i32 s36, 0, s59
	v_mov_b32_e32 v21, v2
	v_rcp_iflag_f32_e32 v3, v3
	v_mul_f32_e32 v3, 0x4f7ffffe, v3
	v_cvt_u32_f32_e32 v3, v3
	v_mul_lo_u32 v5, s36, v3
	v_mul_hi_u32 v5, v3, v5
	v_add_u32_e32 v3, v3, v5
	v_mul_hi_u32 v3, v18, v3
	v_mul_lo_u32 v5, v3, s59
	v_sub_u32_e32 v5, v18, v5
	v_add_u32_e32 v7, 1, v3
	v_subrev_u32_e32 v9, s59, v5
	v_cmp_le_u32_e32 vcc, s59, v5
	v_cndmask_b32_e32 v5, v5, v9, vcc
	v_cndmask_b32_e32 v3, v3, v7, vcc
	v_add_u32_e32 v7, 1, v3
	v_cmp_le_u32_e32 vcc, s59, v5
	v_cndmask_b32_e32 v20, v3, v7, vcc
.LBB65_34:                              ;   in Loop: Header=BB65_18 Depth=2
	s_or_b64 exec, exec, s[0:1]
	s_add_u32 s0, s46, s2
	v_mul_lo_u32 v3, v14, s52
	v_mul_lo_u32 v7, v16, s53
	s_load_dword s2, s[34:35], 0x6c
	s_addc_u32 s1, s47, s3
	s_load_dword s0, s[0:1], 0x0
	v_sub_u32_e32 v3, v12, v3
	v_sub_u32_e32 v7, v14, v7
	v_mul_lo_u32 v5, s54, v3
	v_mul_lo_u32 v3, s55, v3
	v_mul_lo_u32 v9, s58, v7
	v_mul_lo_u32 v7, s57, v7
	v_add3_u32 v5, v5, v10, v9
	v_add3_u32 v3, v3, v8, v7
	v_mul_lo_u32 v7, v18, s56
	v_mul_lo_u32 v9, v20, s59
	v_sub_u32_e32 v7, v16, v7
	v_sub_u32_e32 v9, v18, v9
	v_mul_lo_u32 v8, s60, v7
	s_waitcnt lgkmcnt(0)
	v_mul_lo_u32 v10, s2, v9
	v_mul_lo_u32 v7, s61, v7
	v_add3_u32 v10, v8, v5, v10
	v_mul_lo_u32 v5, s0, v9
	s_add_i32 s20, s20, -4
	s_cmp_eq_u32 s20, -1
	v_add3_u32 v8, v7, v3, v5
	s_cbranch_scc1 .LBB65_41
; %bb.35:                               ;   in Loop: Header=BB65_18 Depth=2
	v_pk_mov_b32 v[12:13], v[20:21], v[20:21] op_sel:[0,1]
	s_branch .LBB65_18
.LBB65_36:                              ;   in Loop: Header=BB65_37 Depth=2
	s_or_b64 exec, exec, s[0:1]
	s_load_dword s34, s[34:35], 0x6c
	s_add_u32 s0, s46, s2
	s_addc_u32 s1, s47, s3
	s_load_dword s2, s[0:1], 0x0
	v_mul_lo_u32 v3, v12, s53
	v_sub_u32_e32 v3, v14, v3
	s_waitcnt lgkmcnt(0)
	v_mad_u64_u32 v[10:11], s[0:1], s34, v3, v[10:11]
	s_add_i32 s20, s20, -1
	s_xor_b32 s0, s51, s52
	s_add_i32 s52, s52, 1
	s_cmp_lg_u32 s0, 2
	v_mad_u64_u32 v[8:9], s[0:1], s2, v3, v[8:9]
	s_cbranch_scc0 .LBB65_17
.LBB65_37:                              ;   Parent Loop BB65_3 Depth=1
                                        ; =>  This Inner Loop Header: Depth=2
	s_lshl_b64 s[2:3], s[20:21], 2
	s_add_u32 s34, s33, s2
	s_addc_u32 s35, s42, s3
	s_load_dword s53, s[34:35], 0x8
	v_pk_mov_b32 v[14:15], v[12:13], v[12:13] op_sel:[0,1]
                                        ; implicit-def: $vgpr12_vgpr13
	s_waitcnt lgkmcnt(0)
	s_ashr_i32 s0, s53, 31
	v_or_b32_e32 v3, s0, v15
	v_cmp_ne_u64_e32 vcc, 0, v[2:3]
	s_and_saveexec_b64 s[36:37], vcc
	s_xor_b64 s[36:37], exec, s[36:37]
	s_cbranch_execz .LBB65_39
; %bb.38:                               ;   in Loop: Header=BB65_37 Depth=2
	s_add_u32 s40, s53, s0
	s_mov_b32 s38, s0
	s_mov_b32 s39, s0
	s_addc_u32 s41, s0, s0
	s_xor_b64 s[40:41], s[40:41], s[38:39]
	v_cvt_f32_u32_e32 v3, s40
	v_cvt_f32_u32_e32 v5, s41
	s_sub_u32 s0, 0, s40
	s_subb_u32 s1, 0, s41
	v_mac_f32_e32 v3, 0x4f800000, v5
	v_rcp_f32_e32 v3, v3
	v_mul_f32_e32 v3, 0x5f7ffffc, v3
	v_mul_f32_e32 v5, 0x2f800000, v3
	v_trunc_f32_e32 v5, v5
	v_mac_f32_e32 v3, 0xcf800000, v5
	v_cvt_u32_f32_e32 v5, v5
	v_cvt_u32_f32_e32 v3, v3
	v_mul_lo_u32 v7, s0, v5
	v_mul_hi_u32 v11, s0, v3
	v_mul_lo_u32 v9, s1, v3
	v_add_u32_e32 v7, v11, v7
	v_mul_lo_u32 v12, s0, v3
	v_add_u32_e32 v7, v7, v9
	v_mul_lo_u32 v11, v3, v7
	v_mul_hi_u32 v13, v3, v12
	v_mul_hi_u32 v9, v3, v7
	v_add_co_u32_e32 v11, vcc, v13, v11
	v_addc_co_u32_e32 v9, vcc, 0, v9, vcc
	v_mul_hi_u32 v16, v5, v12
	v_mul_lo_u32 v12, v5, v12
	v_add_co_u32_e32 v11, vcc, v11, v12
	v_mul_hi_u32 v13, v5, v7
	v_addc_co_u32_e32 v9, vcc, v9, v16, vcc
	v_addc_co_u32_e32 v11, vcc, 0, v13, vcc
	v_mul_lo_u32 v7, v5, v7
	v_add_co_u32_e32 v7, vcc, v9, v7
	v_addc_co_u32_e32 v9, vcc, 0, v11, vcc
	v_add_co_u32_e32 v3, vcc, v3, v7
	v_addc_co_u32_e32 v5, vcc, v5, v9, vcc
	v_mul_lo_u32 v7, s0, v5
	v_mul_hi_u32 v9, s0, v3
	v_add_u32_e32 v7, v9, v7
	v_mul_lo_u32 v9, s1, v3
	v_add_u32_e32 v7, v7, v9
	v_mul_lo_u32 v11, s0, v3
	v_mul_hi_u32 v12, v5, v11
	v_mul_lo_u32 v13, v5, v11
	v_mul_lo_u32 v17, v3, v7
	v_mul_hi_u32 v11, v3, v11
	v_mul_hi_u32 v16, v3, v7
	v_add_co_u32_e32 v11, vcc, v11, v17
	v_addc_co_u32_e32 v16, vcc, 0, v16, vcc
	v_add_co_u32_e32 v11, vcc, v11, v13
	v_mul_hi_u32 v9, v5, v7
	v_addc_co_u32_e32 v11, vcc, v16, v12, vcc
	v_addc_co_u32_e32 v9, vcc, 0, v9, vcc
	v_mul_lo_u32 v7, v5, v7
	v_add_co_u32_e32 v7, vcc, v11, v7
	v_addc_co_u32_e32 v9, vcc, 0, v9, vcc
	v_add_co_u32_e32 v3, vcc, v3, v7
	v_addc_co_u32_e32 v5, vcc, v5, v9, vcc
	v_ashrrev_i32_e32 v7, 31, v15
	v_add_co_u32_e32 v9, vcc, v14, v7
	v_xor_b32_e32 v9, v9, v7
	v_addc_co_u32_e32 v11, vcc, v15, v7, vcc
	v_mad_u64_u32 v[12:13], s[0:1], v9, v5, 0
	v_mul_hi_u32 v15, v9, v3
	v_xor_b32_e32 v11, v11, v7
	v_add_co_u32_e32 v15, vcc, v15, v12
	v_addc_co_u32_e32 v18, vcc, 0, v13, vcc
	v_mad_u64_u32 v[16:17], s[0:1], v11, v3, 0
	v_add_co_u32_e32 v3, vcc, v15, v16
	v_mad_u64_u32 v[12:13], s[0:1], v11, v5, 0
	v_addc_co_u32_e32 v3, vcc, v18, v17, vcc
	v_addc_co_u32_e32 v5, vcc, 0, v13, vcc
	v_add_co_u32_e32 v3, vcc, v3, v12
	v_addc_co_u32_e32 v5, vcc, 0, v5, vcc
	v_mul_lo_u32 v15, s41, v3
	v_mul_lo_u32 v16, s40, v5
	v_mad_u64_u32 v[12:13], s[0:1], s40, v3, 0
	v_add3_u32 v13, v13, v16, v15
	v_sub_u32_e32 v15, v11, v13
	v_mov_b32_e32 v16, s41
	v_sub_co_u32_e32 v9, vcc, v9, v12
	v_subb_co_u32_e64 v12, s[0:1], v15, v16, vcc
	v_subrev_co_u32_e64 v15, s[0:1], s40, v9
	v_subbrev_co_u32_e64 v12, s[0:1], 0, v12, s[0:1]
	v_cmp_le_u32_e64 s[0:1], s41, v12
	v_cndmask_b32_e64 v16, 0, -1, s[0:1]
	v_cmp_le_u32_e64 s[0:1], s40, v15
	v_cndmask_b32_e64 v15, 0, -1, s[0:1]
	v_cmp_eq_u32_e64 s[0:1], s41, v12
	v_cndmask_b32_e64 v12, v16, v15, s[0:1]
	v_add_co_u32_e64 v15, s[0:1], 2, v3
	v_subb_co_u32_e32 v11, vcc, v11, v13, vcc
	v_addc_co_u32_e64 v16, s[0:1], 0, v5, s[0:1]
	v_cmp_le_u32_e32 vcc, s41, v11
	v_add_co_u32_e64 v17, s[0:1], 1, v3
	v_cndmask_b32_e64 v13, 0, -1, vcc
	v_cmp_le_u32_e32 vcc, s40, v9
	v_addc_co_u32_e64 v18, s[0:1], 0, v5, s[0:1]
	v_cndmask_b32_e64 v9, 0, -1, vcc
	v_cmp_eq_u32_e32 vcc, s41, v11
	v_cmp_ne_u32_e64 s[0:1], 0, v12
	v_cndmask_b32_e32 v9, v13, v9, vcc
	v_cmp_ne_u32_e32 vcc, 0, v9
	v_cndmask_b32_e64 v9, v17, v15, s[0:1]
	v_cndmask_b32_e64 v12, v18, v16, s[0:1]
	v_cndmask_b32_e32 v3, v3, v9, vcc
	v_xor_b32_e32 v9, s39, v7
	v_xor_b32_e32 v7, s38, v7
	v_cndmask_b32_e32 v5, v5, v12, vcc
	v_xor_b32_e32 v3, v3, v7
	v_xor_b32_e32 v5, v5, v9
	v_sub_co_u32_e32 v12, vcc, v3, v7
	v_subb_co_u32_e32 v13, vcc, v5, v9, vcc
.LBB65_39:                              ;   in Loop: Header=BB65_37 Depth=2
	s_andn2_saveexec_b64 s[0:1], s[36:37]
	s_cbranch_execz .LBB65_36
; %bb.40:                               ;   in Loop: Header=BB65_37 Depth=2
	v_cvt_f32_u32_e32 v3, s53
	s_sub_i32 s36, 0, s53
	v_mov_b32_e32 v13, v2
	v_rcp_iflag_f32_e32 v3, v3
	v_mul_f32_e32 v3, 0x4f7ffffe, v3
	v_cvt_u32_f32_e32 v3, v3
	v_mul_lo_u32 v5, s36, v3
	v_mul_hi_u32 v5, v3, v5
	v_add_u32_e32 v3, v3, v5
	v_mul_hi_u32 v3, v14, v3
	v_mul_lo_u32 v5, v3, s53
	v_sub_u32_e32 v5, v14, v5
	v_add_u32_e32 v7, 1, v3
	v_subrev_u32_e32 v9, s53, v5
	v_cmp_le_u32_e32 vcc, s53, v5
	v_cndmask_b32_e32 v5, v5, v9, vcc
	v_cndmask_b32_e32 v3, v3, v7, vcc
	v_add_u32_e32 v7, 1, v3
	v_cmp_le_u32_e32 vcc, s53, v5
	v_cndmask_b32_e32 v12, v3, v7, vcc
	s_branch .LBB65_36
.LBB65_41:                              ;   in Loop: Header=BB65_3 Depth=1
	v_mov_b32_e32 v3, v4
	v_sub_u32_e32 v4, v4, v6
	v_add_u32_e32 v4, 2, v4
	v_ashrrev_i32_e32 v5, 31, v4
	v_cmp_le_i64_e32 vcc, s[8:9], v[4:5]
                                        ; implicit-def: $vgpr4_vgpr5
                                        ; implicit-def: $vgpr12_vgpr13
	s_and_saveexec_b64 s[0:1], vcc
	s_xor_b64 s[0:1], exec, s[0:1]
	s_cbranch_execnz .LBB65_44
; %bb.42:                               ;   in Loop: Header=BB65_3 Depth=1
	s_andn2_saveexec_b64 s[0:1], s[0:1]
	s_cbranch_execnz .LBB65_49
.LBB65_43:                              ;   in Loop: Header=BB65_3 Depth=1
	s_or_b64 exec, exec, s[0:1]
	v_cmp_gt_i32_e32 vcc, s13, v3
	s_and_saveexec_b64 s[0:1], vcc
	s_cbranch_execz .LBB65_2
	s_branch .LBB65_50
.LBB65_44:                              ;   in Loop: Header=BB65_3 Depth=1
	v_pk_mov_b32 v[4:5], 0, 0
	v_cmp_gt_i32_e32 vcc, s13, v3
	v_pk_mov_b32 v[14:15], v[4:5], v[4:5] op_sel:[0,1]
	s_and_saveexec_b64 s[2:3], vcc
	s_cbranch_execz .LBB65_48
; %bb.45:                               ;   in Loop: Header=BB65_3 Depth=1
	v_ashrrev_i32_e32 v11, 31, v10
	v_lshlrev_b64 v[4:5], 3, v[10:11]
	v_mov_b32_e32 v7, s7
	v_add_co_u32_e32 v10, vcc, s6, v4
	v_addc_co_u32_e32 v11, vcc, v7, v5, vcc
	global_load_dwordx2 v[4:5], v[10:11], off
	v_add_u32_e32 v7, 1, v3
	v_cmp_gt_i32_e32 vcc, s13, v7
	v_pk_mov_b32 v[14:15], 0, 0
	s_and_saveexec_b64 s[34:35], vcc
	s_xor_b64 s[34:35], exec, s[34:35]
	s_cbranch_execz .LBB65_47
; %bb.46:                               ;   in Loop: Header=BB65_3 Depth=1
	v_mov_b32_e32 v7, s29
	v_add_co_u32_e32 v10, vcc, s28, v10
	v_addc_co_u32_e32 v11, vcc, v11, v7, vcc
	global_load_dwordx2 v[14:15], v[10:11], off
.LBB65_47:                              ;   in Loop: Header=BB65_3 Depth=1
	s_or_b64 exec, exec, s[34:35]
.LBB65_48:                              ;   in Loop: Header=BB65_3 Depth=1
	s_or_b64 exec, exec, s[2:3]
	v_sub_u32_e32 v6, v3, v6
	v_ashrrev_i32_e32 v7, 31, v6
	v_cmp_le_i64_e32 vcc, s[8:9], v[6:7]
	s_waitcnt vmcnt(0)
	v_cndmask_b32_e32 v12, 0, v4, vcc
	v_add_u32_e32 v4, 1, v6
	v_cndmask_b32_e32 v13, 0, v5, vcc
	v_ashrrev_i32_e32 v5, 31, v4
	v_cmp_le_i64_e32 vcc, s[8:9], v[4:5]
	v_cndmask_b32_e32 v5, 0, v15, vcc
	v_cndmask_b32_e32 v4, 0, v14, vcc
	s_andn2_saveexec_b64 s[0:1], s[0:1]
	s_cbranch_execz .LBB65_43
.LBB65_49:                              ;   in Loop: Header=BB65_3 Depth=1
	v_pk_mov_b32 v[12:13], 0, 0
	v_pk_mov_b32 v[4:5], v[12:13], v[12:13] op_sel:[0,1]
	s_or_b64 exec, exec, s[0:1]
	v_cmp_gt_i32_e32 vcc, s13, v3
	s_and_saveexec_b64 s[0:1], vcc
	s_cbranch_execz .LBB65_2
.LBB65_50:                              ;   in Loop: Header=BB65_3 Depth=1
	v_ashrrev_i32_e32 v9, 31, v8
	v_lshlrev_b64 v[6:7], 3, v[8:9]
	v_mov_b32_e32 v8, s5
	v_add_co_u32_e32 v6, vcc, s4, v6
	v_addc_co_u32_e32 v7, vcc, v8, v7, vcc
	v_add_u32_e32 v3, 1, v3
	v_cmp_gt_i32_e32 vcc, s13, v3
	global_store_dwordx2 v[6:7], v[12:13], off
	s_and_saveexec_b64 s[2:3], vcc
	s_xor_b64 s[2:3], exec, s[2:3]
	s_cbranch_execz .LBB65_2
; %bb.51:                               ;   in Loop: Header=BB65_3 Depth=1
	v_mov_b32_e32 v3, s31
	v_add_co_u32_e32 v6, vcc, s30, v6
	v_addc_co_u32_e32 v7, vcc, v7, v3, vcc
	global_store_dwordx2 v[6:7], v[4:5], off
	s_branch .LBB65_2
.LBB65_52:
	s_endpgm
	.section	.rodata,"a",@progbits
	.p2align	6, 0x0
	.amdhsa_kernel _ZN2at6native16triu_tril_kernelIliLb1ELi2ELb0EEEvNS_4cuda6detail10TensorInfoIT_T0_EENS4_IKS5_S6_EEllS6_
		.amdhsa_group_segment_fixed_size 0
		.amdhsa_private_segment_fixed_size 0
		.amdhsa_kernarg_size 712
		.amdhsa_user_sgpr_count 6
		.amdhsa_user_sgpr_private_segment_buffer 1
		.amdhsa_user_sgpr_dispatch_ptr 0
		.amdhsa_user_sgpr_queue_ptr 0
		.amdhsa_user_sgpr_kernarg_segment_ptr 1
		.amdhsa_user_sgpr_dispatch_id 0
		.amdhsa_user_sgpr_flat_scratch_init 0
		.amdhsa_user_sgpr_kernarg_preload_length 0
		.amdhsa_user_sgpr_kernarg_preload_offset 0
		.amdhsa_user_sgpr_private_segment_size 0
		.amdhsa_uses_dynamic_stack 0
		.amdhsa_system_sgpr_private_segment_wavefront_offset 0
		.amdhsa_system_sgpr_workgroup_id_x 1
		.amdhsa_system_sgpr_workgroup_id_y 0
		.amdhsa_system_sgpr_workgroup_id_z 0
		.amdhsa_system_sgpr_workgroup_info 0
		.amdhsa_system_vgpr_workitem_id 0
		.amdhsa_next_free_vgpr 26
		.amdhsa_next_free_sgpr 62
		.amdhsa_accum_offset 28
		.amdhsa_reserve_vcc 1
		.amdhsa_reserve_flat_scratch 0
		.amdhsa_float_round_mode_32 0
		.amdhsa_float_round_mode_16_64 0
		.amdhsa_float_denorm_mode_32 3
		.amdhsa_float_denorm_mode_16_64 3
		.amdhsa_dx10_clamp 1
		.amdhsa_ieee_mode 1
		.amdhsa_fp16_overflow 0
		.amdhsa_tg_split 0
		.amdhsa_exception_fp_ieee_invalid_op 0
		.amdhsa_exception_fp_denorm_src 0
		.amdhsa_exception_fp_ieee_div_zero 0
		.amdhsa_exception_fp_ieee_overflow 0
		.amdhsa_exception_fp_ieee_underflow 0
		.amdhsa_exception_fp_ieee_inexact 0
		.amdhsa_exception_int_div_zero 0
	.end_amdhsa_kernel
	.section	.text._ZN2at6native16triu_tril_kernelIliLb1ELi2ELb0EEEvNS_4cuda6detail10TensorInfoIT_T0_EENS4_IKS5_S6_EEllS6_,"axG",@progbits,_ZN2at6native16triu_tril_kernelIliLb1ELi2ELb0EEEvNS_4cuda6detail10TensorInfoIT_T0_EENS4_IKS5_S6_EEllS6_,comdat
.Lfunc_end65:
	.size	_ZN2at6native16triu_tril_kernelIliLb1ELi2ELb0EEEvNS_4cuda6detail10TensorInfoIT_T0_EENS4_IKS5_S6_EEllS6_, .Lfunc_end65-_ZN2at6native16triu_tril_kernelIliLb1ELi2ELb0EEEvNS_4cuda6detail10TensorInfoIT_T0_EENS4_IKS5_S6_EEllS6_
                                        ; -- End function
	.section	.AMDGPU.csdata,"",@progbits
; Kernel info:
; codeLenInByte = 7668
; NumSgprs: 66
; NumVgprs: 26
; NumAgprs: 0
; TotalNumVgprs: 26
; ScratchSize: 0
; MemoryBound: 0
; FloatMode: 240
; IeeeMode: 1
; LDSByteSize: 0 bytes/workgroup (compile time only)
; SGPRBlocks: 8
; VGPRBlocks: 3
; NumSGPRsForWavesPerEU: 66
; NumVGPRsForWavesPerEU: 26
; AccumOffset: 28
; Occupancy: 8
; WaveLimiterHint : 0
; COMPUTE_PGM_RSRC2:SCRATCH_EN: 0
; COMPUTE_PGM_RSRC2:USER_SGPR: 6
; COMPUTE_PGM_RSRC2:TRAP_HANDLER: 0
; COMPUTE_PGM_RSRC2:TGID_X_EN: 1
; COMPUTE_PGM_RSRC2:TGID_Y_EN: 0
; COMPUTE_PGM_RSRC2:TGID_Z_EN: 0
; COMPUTE_PGM_RSRC2:TIDIG_COMP_CNT: 0
; COMPUTE_PGM_RSRC3_GFX90A:ACCUM_OFFSET: 6
; COMPUTE_PGM_RSRC3_GFX90A:TG_SPLIT: 0
	.section	.text._ZN2at6native16triu_tril_kernelIllLb1ELi2ELb1EEEvNS_4cuda6detail10TensorInfoIT_T0_EENS4_IKS5_S6_EEllS6_,"axG",@progbits,_ZN2at6native16triu_tril_kernelIllLb1ELi2ELb1EEEvNS_4cuda6detail10TensorInfoIT_T0_EENS4_IKS5_S6_EEllS6_,comdat
	.protected	_ZN2at6native16triu_tril_kernelIllLb1ELi2ELb1EEEvNS_4cuda6detail10TensorInfoIT_T0_EENS4_IKS5_S6_EEllS6_ ; -- Begin function _ZN2at6native16triu_tril_kernelIllLb1ELi2ELb1EEEvNS_4cuda6detail10TensorInfoIT_T0_EENS4_IKS5_S6_EEllS6_
	.globl	_ZN2at6native16triu_tril_kernelIllLb1ELi2ELb1EEEvNS_4cuda6detail10TensorInfoIT_T0_EENS4_IKS5_S6_EEllS6_
	.p2align	8
	.type	_ZN2at6native16triu_tril_kernelIllLb1ELi2ELb1EEEvNS_4cuda6detail10TensorInfoIT_T0_EENS4_IKS5_S6_EEllS6_,@function
_ZN2at6native16triu_tril_kernelIllLb1ELi2ELb1EEEvNS_4cuda6detail10TensorInfoIT_T0_EENS4_IKS5_S6_EEllS6_: ; @_ZN2at6native16triu_tril_kernelIllLb1ELi2ELb1EEEvNS_4cuda6detail10TensorInfoIT_T0_EENS4_IKS5_S6_EEllS6_
; %bb.0:
	s_load_dword s2, s[4:5], 0x364
	s_load_dwordx4 s[8:11], s[4:5], 0x340
	s_add_u32 s0, s4, 0x358
	v_mov_b32_e32 v2, 0
	s_addc_u32 s1, s5, 0
	s_waitcnt lgkmcnt(0)
	s_and_b32 s12, s2, 0xffff
	v_mov_b32_e32 v1, v2
	v_mov_b32_e32 v3, s6
	v_mad_u64_u32 v[0:1], s[2:3], s12, v3, v[0:1]
	v_lshlrev_b64 v[0:1], 1, v[0:1]
	v_cmp_gt_i64_e32 vcc, s[10:11], v[0:1]
	s_and_saveexec_b64 s[2:3], vcc
	s_cbranch_execz .LBB66_21
; %bb.1:
	s_load_dword s13, s[0:1], 0x0
	s_load_dword s18, s[4:5], 0x338
	s_load_dwordx2 s[2:3], s[4:5], 0x350
	s_load_dwordx2 s[6:7], s[4:5], 0x0
	s_mov_b32 s48, 0
	s_waitcnt lgkmcnt(0)
	s_mul_i32 s20, s13, s12
	s_ashr_i32 s19, s18, 31
	s_add_u32 s24, s4, 0x1a8
	s_addc_u32 s25, s5, 0
	s_lshl_b64 s[0:1], s[18:19], 3
	s_add_u32 s16, s0, -16
	s_addc_u32 s17, s1, -1
	s_add_u32 s14, s24, s16
	s_addc_u32 s15, s25, s17
	v_cmp_gt_i64_e64 s[12:13], s[18:19], 2
	s_add_u32 s19, s0, -8
	s_addc_u32 s21, s1, -1
	s_add_u32 s26, s4, 0xd0
	s_addc_u32 s27, s5, 0
	s_add_u32 s4, s26, s19
	v_cvt_f32_u32_e32 v3, s2
	s_addc_u32 s5, s27, s21
	s_add_u32 s16, s26, s16
	s_addc_u32 s17, s27, s17
	s_add_i32 s0, s18, -3
	s_ashr_i32 s1, s0, 31
	v_rcp_iflag_f32_e32 v3, v3
	s_add_u32 s18, s24, s19
	s_addc_u32 s19, s25, s21
	s_lshl_b32 s33, s20, 1
	s_lshl_b64 s[22:23], s[0:1], 3
	s_add_u32 s20, s26, s22
	s_load_dwordx2 s[14:15], s[14:15], 0x0
	s_addc_u32 s21, s27, s23
	v_mul_f32_e32 v3, 0x4f7ffffe, v3
	s_add_u32 s22, s24, s22
	v_cvt_u32_f32_e32 v12, v3
	s_addc_u32 s23, s25, s23
	s_add_u32 s24, s0, 1
	s_addc_u32 s25, s1, 0
	s_mov_b64 s[26:27], 0
	s_branch .LBB66_3
.LBB66_2:                               ;   in Loop: Header=BB66_3 Depth=1
	s_or_b64 exec, exec, s[28:29]
	v_mov_b32_e32 v3, s48
	v_add_co_u32_e32 v0, vcc, s33, v0
	v_addc_co_u32_e32 v1, vcc, v1, v3, vcc
	v_cmp_le_i64_e32 vcc, s[10:11], v[0:1]
	s_or_b64 s[26:27], vcc, s[26:27]
	s_andn2_b64 exec, exec, s[26:27]
	s_cbranch_execz .LBB66_21
.LBB66_3:                               ; =>This Loop Header: Depth=1
                                        ;     Child Loop BB66_17 Depth 2
	v_or_b32_e32 v3, s3, v1
	v_cmp_ne_u64_e32 vcc, 0, v[2:3]
                                        ; implicit-def: $vgpr8_vgpr9
	s_and_saveexec_b64 s[0:1], vcc
	s_xor_b64 s[28:29], exec, s[0:1]
	s_cbranch_execz .LBB66_5
; %bb.4:                                ;   in Loop: Header=BB66_3 Depth=1
	s_ashr_i32 s30, s3, 31
	s_add_u32 s0, s2, s30
	s_mov_b32 s31, s30
	s_addc_u32 s1, s3, s30
	s_xor_b64 s[34:35], s[0:1], s[30:31]
	v_cvt_f32_u32_e32 v3, s34
	v_cvt_f32_u32_e32 v4, s35
	s_sub_u32 s0, 0, s34
	s_subb_u32 s1, 0, s35
	v_mac_f32_e32 v3, 0x4f800000, v4
	v_rcp_f32_e32 v3, v3
	v_mul_f32_e32 v3, 0x5f7ffffc, v3
	v_mul_f32_e32 v4, 0x2f800000, v3
	v_trunc_f32_e32 v4, v4
	v_mac_f32_e32 v3, 0xcf800000, v4
	v_cvt_u32_f32_e32 v4, v4
	v_cvt_u32_f32_e32 v3, v3
	v_mul_lo_u32 v5, s0, v4
	v_mul_hi_u32 v7, s0, v3
	v_mul_lo_u32 v6, s1, v3
	v_add_u32_e32 v5, v7, v5
	v_mul_lo_u32 v8, s0, v3
	v_add_u32_e32 v5, v5, v6
	v_mul_lo_u32 v7, v3, v5
	v_mul_hi_u32 v9, v3, v8
	v_mul_hi_u32 v6, v3, v5
	v_add_co_u32_e32 v7, vcc, v9, v7
	v_addc_co_u32_e32 v6, vcc, 0, v6, vcc
	v_mul_hi_u32 v10, v4, v8
	v_mul_lo_u32 v8, v4, v8
	v_add_co_u32_e32 v7, vcc, v7, v8
	v_mul_hi_u32 v9, v4, v5
	v_addc_co_u32_e32 v6, vcc, v6, v10, vcc
	v_addc_co_u32_e32 v7, vcc, 0, v9, vcc
	v_mul_lo_u32 v5, v4, v5
	v_add_co_u32_e32 v5, vcc, v6, v5
	v_addc_co_u32_e32 v6, vcc, 0, v7, vcc
	v_add_co_u32_e32 v3, vcc, v3, v5
	v_addc_co_u32_e32 v4, vcc, v4, v6, vcc
	v_mul_lo_u32 v5, s0, v4
	v_mul_hi_u32 v6, s0, v3
	v_add_u32_e32 v5, v6, v5
	v_mul_lo_u32 v6, s1, v3
	v_add_u32_e32 v5, v5, v6
	v_mul_lo_u32 v7, s0, v3
	v_mul_hi_u32 v8, v4, v7
	v_mul_lo_u32 v9, v4, v7
	v_mul_lo_u32 v11, v3, v5
	v_mul_hi_u32 v7, v3, v7
	v_mul_hi_u32 v10, v3, v5
	v_add_co_u32_e32 v7, vcc, v7, v11
	v_addc_co_u32_e32 v10, vcc, 0, v10, vcc
	v_add_co_u32_e32 v7, vcc, v7, v9
	v_mul_hi_u32 v6, v4, v5
	v_addc_co_u32_e32 v7, vcc, v10, v8, vcc
	v_addc_co_u32_e32 v6, vcc, 0, v6, vcc
	v_mul_lo_u32 v5, v4, v5
	v_add_co_u32_e32 v5, vcc, v7, v5
	v_addc_co_u32_e32 v6, vcc, 0, v6, vcc
	v_add_co_u32_e32 v3, vcc, v3, v5
	v_addc_co_u32_e32 v6, vcc, v4, v6, vcc
	v_ashrrev_i32_e32 v8, 31, v1
	v_add_co_u32_e32 v4, vcc, v0, v8
	v_addc_co_u32_e32 v5, vcc, v1, v8, vcc
	v_xor_b32_e32 v10, v4, v8
	v_xor_b32_e32 v9, v5, v8
	v_mad_u64_u32 v[4:5], s[0:1], v10, v6, 0
	v_mul_hi_u32 v7, v10, v3
	v_add_co_u32_e32 v11, vcc, v7, v4
	v_addc_co_u32_e32 v13, vcc, 0, v5, vcc
	v_mad_u64_u32 v[4:5], s[0:1], v9, v6, 0
	v_mad_u64_u32 v[6:7], s[0:1], v9, v3, 0
	v_add_co_u32_e32 v3, vcc, v11, v6
	v_addc_co_u32_e32 v3, vcc, v13, v7, vcc
	v_addc_co_u32_e32 v5, vcc, 0, v5, vcc
	v_add_co_u32_e32 v3, vcc, v3, v4
	v_addc_co_u32_e32 v6, vcc, 0, v5, vcc
	v_mul_lo_u32 v7, s35, v3
	v_mul_lo_u32 v11, s34, v6
	v_mad_u64_u32 v[4:5], s[0:1], s34, v3, 0
	v_add3_u32 v5, v5, v11, v7
	v_sub_u32_e32 v7, v9, v5
	v_mov_b32_e32 v11, s35
	v_sub_co_u32_e32 v4, vcc, v10, v4
	v_subb_co_u32_e64 v7, s[0:1], v7, v11, vcc
	v_subrev_co_u32_e64 v10, s[0:1], s34, v4
	v_subbrev_co_u32_e64 v7, s[0:1], 0, v7, s[0:1]
	v_cmp_le_u32_e64 s[0:1], s35, v7
	v_cndmask_b32_e64 v11, 0, -1, s[0:1]
	v_cmp_le_u32_e64 s[0:1], s34, v10
	v_cndmask_b32_e64 v10, 0, -1, s[0:1]
	v_cmp_eq_u32_e64 s[0:1], s35, v7
	v_cndmask_b32_e64 v7, v11, v10, s[0:1]
	v_add_co_u32_e64 v10, s[0:1], 2, v3
	v_subb_co_u32_e32 v5, vcc, v9, v5, vcc
	v_addc_co_u32_e64 v11, s[0:1], 0, v6, s[0:1]
	v_cmp_le_u32_e32 vcc, s35, v5
	v_add_co_u32_e64 v13, s[0:1], 1, v3
	v_cndmask_b32_e64 v9, 0, -1, vcc
	v_cmp_le_u32_e32 vcc, s34, v4
	v_addc_co_u32_e64 v14, s[0:1], 0, v6, s[0:1]
	v_cndmask_b32_e64 v4, 0, -1, vcc
	v_cmp_eq_u32_e32 vcc, s35, v5
	v_cmp_ne_u32_e64 s[0:1], 0, v7
	v_cndmask_b32_e32 v4, v9, v4, vcc
	v_cmp_ne_u32_e32 vcc, 0, v4
	v_cndmask_b32_e64 v5, v13, v10, s[0:1]
	v_cndmask_b32_e64 v7, v14, v11, s[0:1]
	v_cndmask_b32_e32 v3, v3, v5, vcc
	v_xor_b32_e32 v5, s30, v8
	v_cndmask_b32_e32 v4, v6, v7, vcc
	v_xor_b32_e32 v3, v3, v5
	v_xor_b32_e32 v4, v4, v5
	v_sub_co_u32_e32 v8, vcc, v3, v5
	v_subb_co_u32_e32 v9, vcc, v4, v5, vcc
.LBB66_5:                               ;   in Loop: Header=BB66_3 Depth=1
	s_andn2_saveexec_b64 s[0:1], s[28:29]
	s_cbranch_execz .LBB66_7
; %bb.6:                                ;   in Loop: Header=BB66_3 Depth=1
	s_sub_i32 s28, 0, s2
	v_mul_lo_u32 v3, s28, v12
	v_mul_hi_u32 v3, v12, v3
	v_add_u32_e32 v3, v12, v3
	v_mul_hi_u32 v3, v0, v3
	v_mul_lo_u32 v4, v3, s2
	v_sub_u32_e32 v4, v0, v4
	v_subrev_u32_e32 v5, s2, v4
	v_cmp_le_u32_e32 vcc, s2, v4
	v_cndmask_b32_e32 v4, v4, v5, vcc
	v_add_u32_e32 v5, 1, v3
	v_cndmask_b32_e32 v3, v3, v5, vcc
	v_add_u32_e32 v5, 1, v3
	v_cmp_le_u32_e32 vcc, s2, v4
	v_cndmask_b32_e32 v8, v3, v5, vcc
	v_mov_b32_e32 v9, v2
.LBB66_7:                               ;   in Loop: Header=BB66_3 Depth=1
	s_or_b64 exec, exec, s[0:1]
	s_waitcnt lgkmcnt(0)
	v_or_b32_e32 v3, s15, v9
	v_cmp_ne_u64_e32 vcc, 0, v[2:3]
                                        ; implicit-def: $vgpr6_vgpr7
	s_and_saveexec_b64 s[0:1], vcc
	s_xor_b64 s[28:29], exec, s[0:1]
	s_cbranch_execz .LBB66_9
; %bb.8:                                ;   in Loop: Header=BB66_3 Depth=1
	s_ashr_i32 s30, s15, 31
	s_add_u32 s0, s14, s30
	s_mov_b32 s31, s30
	s_addc_u32 s1, s15, s30
	s_xor_b64 s[34:35], s[0:1], s[30:31]
	v_cvt_f32_u32_e32 v3, s34
	v_cvt_f32_u32_e32 v4, s35
	s_sub_u32 s0, 0, s34
	s_subb_u32 s1, 0, s35
	v_mac_f32_e32 v3, 0x4f800000, v4
	v_rcp_f32_e32 v3, v3
	v_mul_f32_e32 v3, 0x5f7ffffc, v3
	v_mul_f32_e32 v4, 0x2f800000, v3
	v_trunc_f32_e32 v4, v4
	v_mac_f32_e32 v3, 0xcf800000, v4
	v_cvt_u32_f32_e32 v4, v4
	v_cvt_u32_f32_e32 v3, v3
	v_mul_lo_u32 v5, s0, v4
	v_mul_hi_u32 v7, s0, v3
	v_mul_lo_u32 v6, s1, v3
	v_add_u32_e32 v5, v7, v5
	v_mul_lo_u32 v10, s0, v3
	v_add_u32_e32 v5, v5, v6
	v_mul_lo_u32 v7, v3, v5
	v_mul_hi_u32 v11, v3, v10
	v_mul_hi_u32 v6, v3, v5
	v_add_co_u32_e32 v7, vcc, v11, v7
	v_addc_co_u32_e32 v6, vcc, 0, v6, vcc
	v_mul_hi_u32 v13, v4, v10
	v_mul_lo_u32 v10, v4, v10
	v_add_co_u32_e32 v7, vcc, v7, v10
	v_mul_hi_u32 v11, v4, v5
	v_addc_co_u32_e32 v6, vcc, v6, v13, vcc
	v_addc_co_u32_e32 v7, vcc, 0, v11, vcc
	v_mul_lo_u32 v5, v4, v5
	v_add_co_u32_e32 v5, vcc, v6, v5
	v_addc_co_u32_e32 v6, vcc, 0, v7, vcc
	v_add_co_u32_e32 v3, vcc, v3, v5
	v_addc_co_u32_e32 v4, vcc, v4, v6, vcc
	v_mul_lo_u32 v5, s0, v4
	v_mul_hi_u32 v6, s0, v3
	v_add_u32_e32 v5, v6, v5
	v_mul_lo_u32 v6, s1, v3
	v_add_u32_e32 v5, v5, v6
	v_mul_lo_u32 v7, s0, v3
	v_mul_hi_u32 v10, v4, v7
	v_mul_lo_u32 v11, v4, v7
	v_mul_lo_u32 v14, v3, v5
	v_mul_hi_u32 v7, v3, v7
	v_mul_hi_u32 v13, v3, v5
	v_add_co_u32_e32 v7, vcc, v7, v14
	v_addc_co_u32_e32 v13, vcc, 0, v13, vcc
	v_add_co_u32_e32 v7, vcc, v7, v11
	v_mul_hi_u32 v6, v4, v5
	v_addc_co_u32_e32 v7, vcc, v13, v10, vcc
	v_addc_co_u32_e32 v6, vcc, 0, v6, vcc
	v_mul_lo_u32 v5, v4, v5
	v_add_co_u32_e32 v5, vcc, v7, v5
	v_addc_co_u32_e32 v6, vcc, 0, v6, vcc
	v_add_co_u32_e32 v3, vcc, v3, v5
	v_addc_co_u32_e32 v6, vcc, v4, v6, vcc
	v_ashrrev_i32_e32 v10, 31, v9
	v_add_co_u32_e32 v4, vcc, v8, v10
	v_addc_co_u32_e32 v5, vcc, v9, v10, vcc
	v_xor_b32_e32 v13, v4, v10
	v_xor_b32_e32 v11, v5, v10
	v_mad_u64_u32 v[4:5], s[0:1], v13, v6, 0
	v_mul_hi_u32 v7, v13, v3
	v_add_co_u32_e32 v14, vcc, v7, v4
	v_addc_co_u32_e32 v15, vcc, 0, v5, vcc
	v_mad_u64_u32 v[4:5], s[0:1], v11, v6, 0
	v_mad_u64_u32 v[6:7], s[0:1], v11, v3, 0
	v_add_co_u32_e32 v3, vcc, v14, v6
	v_addc_co_u32_e32 v3, vcc, v15, v7, vcc
	v_addc_co_u32_e32 v5, vcc, 0, v5, vcc
	v_add_co_u32_e32 v3, vcc, v3, v4
	v_addc_co_u32_e32 v6, vcc, 0, v5, vcc
	v_mul_lo_u32 v7, s35, v3
	v_mul_lo_u32 v14, s34, v6
	v_mad_u64_u32 v[4:5], s[0:1], s34, v3, 0
	v_add3_u32 v5, v5, v14, v7
	v_sub_u32_e32 v7, v11, v5
	v_mov_b32_e32 v14, s35
	v_sub_co_u32_e32 v4, vcc, v13, v4
	v_subb_co_u32_e64 v7, s[0:1], v7, v14, vcc
	v_subrev_co_u32_e64 v13, s[0:1], s34, v4
	v_subbrev_co_u32_e64 v7, s[0:1], 0, v7, s[0:1]
	v_cmp_le_u32_e64 s[0:1], s35, v7
	v_cndmask_b32_e64 v14, 0, -1, s[0:1]
	v_cmp_le_u32_e64 s[0:1], s34, v13
	v_cndmask_b32_e64 v13, 0, -1, s[0:1]
	v_cmp_eq_u32_e64 s[0:1], s35, v7
	v_cndmask_b32_e64 v7, v14, v13, s[0:1]
	v_add_co_u32_e64 v13, s[0:1], 2, v3
	v_subb_co_u32_e32 v5, vcc, v11, v5, vcc
	v_addc_co_u32_e64 v14, s[0:1], 0, v6, s[0:1]
	v_cmp_le_u32_e32 vcc, s35, v5
	v_add_co_u32_e64 v15, s[0:1], 1, v3
	v_cndmask_b32_e64 v11, 0, -1, vcc
	v_cmp_le_u32_e32 vcc, s34, v4
	v_addc_co_u32_e64 v16, s[0:1], 0, v6, s[0:1]
	v_cndmask_b32_e64 v4, 0, -1, vcc
	v_cmp_eq_u32_e32 vcc, s35, v5
	v_cmp_ne_u32_e64 s[0:1], 0, v7
	v_cndmask_b32_e32 v4, v11, v4, vcc
	v_cmp_ne_u32_e32 vcc, 0, v4
	v_cndmask_b32_e64 v5, v15, v13, s[0:1]
	v_cndmask_b32_e64 v7, v16, v14, s[0:1]
	v_cndmask_b32_e32 v3, v3, v5, vcc
	v_xor_b32_e32 v5, s30, v10
	v_cndmask_b32_e32 v4, v6, v7, vcc
	v_xor_b32_e32 v3, v3, v5
	v_xor_b32_e32 v4, v4, v5
	v_sub_co_u32_e32 v6, vcc, v3, v5
	v_subb_co_u32_e32 v7, vcc, v4, v5, vcc
.LBB66_9:                               ;   in Loop: Header=BB66_3 Depth=1
	s_andn2_saveexec_b64 s[0:1], s[28:29]
	s_cbranch_execz .LBB66_11
; %bb.10:                               ;   in Loop: Header=BB66_3 Depth=1
	v_cvt_f32_u32_e32 v3, s14
	s_sub_i32 s28, 0, s14
	v_mov_b32_e32 v7, v2
	v_rcp_iflag_f32_e32 v3, v3
	v_mul_f32_e32 v3, 0x4f7ffffe, v3
	v_cvt_u32_f32_e32 v3, v3
	v_mul_lo_u32 v4, s28, v3
	v_mul_hi_u32 v4, v3, v4
	v_add_u32_e32 v3, v3, v4
	v_mul_hi_u32 v3, v8, v3
	v_mul_lo_u32 v4, v3, s14
	v_sub_u32_e32 v4, v8, v4
	v_add_u32_e32 v5, 1, v3
	v_subrev_u32_e32 v6, s14, v4
	v_cmp_le_u32_e32 vcc, s14, v4
	v_cndmask_b32_e32 v4, v4, v6, vcc
	v_cndmask_b32_e32 v3, v3, v5, vcc
	v_add_u32_e32 v5, 1, v3
	v_cmp_le_u32_e32 vcc, s14, v4
	v_cndmask_b32_e32 v6, v3, v5, vcc
.LBB66_11:                              ;   in Loop: Header=BB66_3 Depth=1
	s_or_b64 exec, exec, s[0:1]
	v_mul_lo_u32 v3, v9, s2
	v_mul_lo_u32 v10, v8, s3
	v_mad_u64_u32 v[4:5], s[0:1], v8, s2, 0
	v_add3_u32 v3, v5, v10, v3
	v_sub_co_u32_e32 v4, vcc, v0, v4
	v_subb_co_u32_e32 v5, vcc, v1, v3, vcc
	v_mul_lo_u32 v3, v7, s14
	v_mul_lo_u32 v13, v6, s15
	v_mad_u64_u32 v[10:11], s[0:1], v6, s14, 0
	v_add3_u32 v3, v11, v13, v3
	v_sub_co_u32_e32 v13, vcc, v8, v10
	v_subb_co_u32_e32 v14, vcc, v9, v3, vcc
	v_sub_co_u32_e32 v8, vcc, v4, v13
	v_subb_co_u32_e32 v9, vcc, v5, v14, vcc
	v_cmp_gt_i64_e32 vcc, s[8:9], v[8:9]
	s_and_saveexec_b64 s[28:29], vcc
	s_cbranch_execz .LBB66_2
; %bb.12:                               ;   in Loop: Header=BB66_3 Depth=1
	s_load_dwordx2 s[30:31], s[4:5], 0x0
	s_load_dwordx2 s[0:1], s[16:17], 0x0
	s_and_b64 vcc, exec, s[12:13]
	s_mov_b64 s[36:37], s[22:23]
	s_mov_b64 s[38:39], s[20:21]
	s_waitcnt lgkmcnt(0)
	v_mul_lo_u32 v3, s31, v4
	v_mul_lo_u32 v10, s30, v5
	v_mad_u64_u32 v[8:9], s[34:35], s30, v4, 0
	v_add3_u32 v9, v9, v10, v3
	v_mad_u64_u32 v[8:9], s[34:35], s0, v13, v[8:9]
	v_mul_lo_u32 v3, s0, v14
	v_mul_lo_u32 v10, s1, v13
	v_add3_u32 v9, v10, v9, v3
	s_mov_b64 s[34:35], s[24:25]
	s_cbranch_vccnz .LBB66_17
.LBB66_13:                              ;   in Loop: Header=BB66_3 Depth=1
	s_load_dwordx2 s[0:1], s[18:19], 0x0
	s_waitcnt lgkmcnt(0)
	v_cmp_gt_i64_e32 vcc, s[0:1], v[4:5]
	s_and_b64 exec, exec, vcc
	s_cbranch_execz .LBB66_2
; %bb.14:                               ;   in Loop: Header=BB66_3 Depth=1
	v_lshlrev_b64 v[6:7], 3, v[8:9]
	v_mov_b32_e32 v3, s7
	v_add_co_u32_e32 v6, vcc, s6, v6
	v_addc_co_u32_e32 v7, vcc, v3, v7, vcc
	v_add_co_u32_e32 v4, vcc, 1, v4
	v_addc_co_u32_e32 v5, vcc, 0, v5, vcc
	v_cmp_gt_i64_e32 vcc, s[0:1], v[4:5]
	v_sub_co_u32_e64 v4, s[0:1], v4, v13
	v_subb_co_u32_e64 v5, s[0:1], v5, v14, s[0:1]
	v_cmp_gt_i64_e64 s[0:1], s[8:9], v[4:5]
	v_mov_b32_e32 v3, v2
	s_and_b64 s[0:1], vcc, s[0:1]
	global_store_dwordx2 v[6:7], v[2:3], off
	s_and_b64 exec, exec, s[0:1]
	s_cbranch_execz .LBB66_2
; %bb.15:                               ;   in Loop: Header=BB66_3 Depth=1
	s_lshl_b64 s[0:1], s[30:31], 3
	v_mov_b32_e32 v5, s1
	v_add_co_u32_e32 v4, vcc, s0, v6
	v_addc_co_u32_e32 v5, vcc, v7, v5, vcc
	global_store_dwordx2 v[4:5], v[2:3], off
	s_branch .LBB66_2
.LBB66_16:                              ;   in Loop: Header=BB66_17 Depth=2
	s_or_b64 exec, exec, s[0:1]
	v_mad_u64_u32 v[16:17], s[0:1], v10, s40, 0
	s_load_dwordx2 s[0:1], s[38:39], 0x0
	s_add_u32 s38, s38, -8
	s_addc_u32 s39, s39, -1
	v_mul_lo_u32 v3, v11, s40
	v_mul_lo_u32 v15, v10, s41
	s_add_u32 s36, s36, -8
	v_add3_u32 v3, v17, v15, v3
	v_sub_co_u32_e32 v6, vcc, v6, v16
	s_addc_u32 s37, s37, -1
	v_subb_co_u32_e32 v3, vcc, v7, v3, vcc
	s_add_u32 s34, s34, -1
	s_waitcnt lgkmcnt(0)
	v_mul_lo_u32 v3, s0, v3
	v_mul_lo_u32 v7, s1, v6
	v_mad_u64_u32 v[8:9], s[0:1], s0, v6, v[8:9]
	s_addc_u32 s35, s35, -1
	v_cmp_lt_i64_e64 s[0:1], s[34:35], 1
	v_add3_u32 v9, v7, v9, v3
	s_and_b64 vcc, exec, s[0:1]
	v_pk_mov_b32 v[6:7], v[10:11], v[10:11] op_sel:[0,1]
	s_cbranch_vccnz .LBB66_13
.LBB66_17:                              ;   Parent Loop BB66_3 Depth=1
                                        ; =>  This Inner Loop Header: Depth=2
	s_load_dwordx2 s[40:41], s[36:37], 0x0
                                        ; implicit-def: $vgpr10_vgpr11
	s_waitcnt lgkmcnt(0)
	v_or_b32_e32 v3, s41, v7
	v_cmp_ne_u64_e32 vcc, 0, v[2:3]
	s_and_saveexec_b64 s[0:1], vcc
	s_xor_b64 s[42:43], exec, s[0:1]
	s_cbranch_execz .LBB66_19
; %bb.18:                               ;   in Loop: Header=BB66_17 Depth=2
	s_ashr_i32 s44, s41, 31
	s_add_u32 s0, s40, s44
	s_mov_b32 s45, s44
	s_addc_u32 s1, s41, s44
	s_xor_b64 s[46:47], s[0:1], s[44:45]
	v_cvt_f32_u32_e32 v3, s46
	v_cvt_f32_u32_e32 v10, s47
	s_sub_u32 s0, 0, s46
	s_subb_u32 s1, 0, s47
	v_mac_f32_e32 v3, 0x4f800000, v10
	v_rcp_f32_e32 v3, v3
	v_mul_f32_e32 v3, 0x5f7ffffc, v3
	v_mul_f32_e32 v10, 0x2f800000, v3
	v_trunc_f32_e32 v10, v10
	v_mac_f32_e32 v3, 0xcf800000, v10
	v_cvt_u32_f32_e32 v10, v10
	v_cvt_u32_f32_e32 v3, v3
	v_mul_lo_u32 v11, s0, v10
	v_mul_hi_u32 v16, s0, v3
	v_mul_lo_u32 v15, s1, v3
	v_add_u32_e32 v11, v16, v11
	v_mul_lo_u32 v17, s0, v3
	v_add_u32_e32 v11, v11, v15
	v_mul_lo_u32 v16, v3, v11
	v_mul_hi_u32 v18, v3, v17
	v_mul_hi_u32 v15, v3, v11
	v_add_co_u32_e32 v16, vcc, v18, v16
	v_addc_co_u32_e32 v15, vcc, 0, v15, vcc
	v_mul_hi_u32 v19, v10, v17
	v_mul_lo_u32 v17, v10, v17
	v_add_co_u32_e32 v16, vcc, v16, v17
	v_mul_hi_u32 v18, v10, v11
	v_addc_co_u32_e32 v15, vcc, v15, v19, vcc
	v_addc_co_u32_e32 v16, vcc, 0, v18, vcc
	v_mul_lo_u32 v11, v10, v11
	v_add_co_u32_e32 v11, vcc, v15, v11
	v_addc_co_u32_e32 v15, vcc, 0, v16, vcc
	v_add_co_u32_e32 v3, vcc, v3, v11
	v_addc_co_u32_e32 v10, vcc, v10, v15, vcc
	v_mul_lo_u32 v11, s0, v10
	v_mul_hi_u32 v15, s0, v3
	v_add_u32_e32 v11, v15, v11
	v_mul_lo_u32 v15, s1, v3
	v_add_u32_e32 v11, v11, v15
	v_mul_lo_u32 v16, s0, v3
	v_mul_hi_u32 v17, v10, v16
	v_mul_lo_u32 v18, v10, v16
	v_mul_lo_u32 v20, v3, v11
	v_mul_hi_u32 v16, v3, v16
	v_mul_hi_u32 v19, v3, v11
	v_add_co_u32_e32 v16, vcc, v16, v20
	v_addc_co_u32_e32 v19, vcc, 0, v19, vcc
	v_add_co_u32_e32 v16, vcc, v16, v18
	v_mul_hi_u32 v15, v10, v11
	v_addc_co_u32_e32 v16, vcc, v19, v17, vcc
	v_addc_co_u32_e32 v15, vcc, 0, v15, vcc
	v_mul_lo_u32 v11, v10, v11
	v_add_co_u32_e32 v11, vcc, v16, v11
	v_addc_co_u32_e32 v15, vcc, 0, v15, vcc
	v_add_co_u32_e32 v3, vcc, v3, v11
	v_addc_co_u32_e32 v15, vcc, v10, v15, vcc
	v_ashrrev_i32_e32 v18, 31, v7
	v_add_co_u32_e32 v10, vcc, v6, v18
	v_addc_co_u32_e32 v11, vcc, v7, v18, vcc
	v_xor_b32_e32 v20, v10, v18
	v_xor_b32_e32 v19, v11, v18
	v_mad_u64_u32 v[10:11], s[0:1], v20, v15, 0
	v_mul_hi_u32 v16, v20, v3
	v_add_co_u32_e32 v21, vcc, v16, v10
	v_addc_co_u32_e32 v22, vcc, 0, v11, vcc
	v_mad_u64_u32 v[16:17], s[0:1], v19, v3, 0
	v_add_co_u32_e32 v3, vcc, v21, v16
	v_mad_u64_u32 v[10:11], s[0:1], v19, v15, 0
	v_addc_co_u32_e32 v3, vcc, v22, v17, vcc
	v_addc_co_u32_e32 v11, vcc, 0, v11, vcc
	v_add_co_u32_e32 v3, vcc, v3, v10
	v_addc_co_u32_e32 v15, vcc, 0, v11, vcc
	v_mul_lo_u32 v16, s47, v3
	v_mul_lo_u32 v17, s46, v15
	v_mad_u64_u32 v[10:11], s[0:1], s46, v3, 0
	v_add3_u32 v11, v11, v17, v16
	v_sub_u32_e32 v16, v19, v11
	v_mov_b32_e32 v17, s47
	v_sub_co_u32_e32 v10, vcc, v20, v10
	v_subb_co_u32_e64 v16, s[0:1], v16, v17, vcc
	v_subrev_co_u32_e64 v17, s[0:1], s46, v10
	v_subbrev_co_u32_e64 v16, s[0:1], 0, v16, s[0:1]
	v_cmp_le_u32_e64 s[0:1], s47, v16
	v_cndmask_b32_e64 v20, 0, -1, s[0:1]
	v_cmp_le_u32_e64 s[0:1], s46, v17
	v_cndmask_b32_e64 v17, 0, -1, s[0:1]
	v_cmp_eq_u32_e64 s[0:1], s47, v16
	v_cndmask_b32_e64 v16, v20, v17, s[0:1]
	v_add_co_u32_e64 v17, s[0:1], 2, v3
	v_subb_co_u32_e32 v11, vcc, v19, v11, vcc
	v_addc_co_u32_e64 v20, s[0:1], 0, v15, s[0:1]
	v_cmp_le_u32_e32 vcc, s47, v11
	v_add_co_u32_e64 v21, s[0:1], 1, v3
	v_cndmask_b32_e64 v19, 0, -1, vcc
	v_cmp_le_u32_e32 vcc, s46, v10
	v_addc_co_u32_e64 v22, s[0:1], 0, v15, s[0:1]
	v_cndmask_b32_e64 v10, 0, -1, vcc
	v_cmp_eq_u32_e32 vcc, s47, v11
	v_cmp_ne_u32_e64 s[0:1], 0, v16
	v_cndmask_b32_e32 v10, v19, v10, vcc
	v_cmp_ne_u32_e32 vcc, 0, v10
	v_cndmask_b32_e64 v11, v21, v17, s[0:1]
	v_cndmask_b32_e64 v16, v22, v20, s[0:1]
	v_cndmask_b32_e32 v3, v3, v11, vcc
	v_xor_b32_e32 v11, s44, v18
	v_cndmask_b32_e32 v10, v15, v16, vcc
	v_xor_b32_e32 v3, v3, v11
	v_xor_b32_e32 v15, v10, v11
	v_sub_co_u32_e32 v10, vcc, v3, v11
	v_subb_co_u32_e32 v11, vcc, v15, v11, vcc
.LBB66_19:                              ;   in Loop: Header=BB66_17 Depth=2
	s_andn2_saveexec_b64 s[0:1], s[42:43]
	s_cbranch_execz .LBB66_16
; %bb.20:                               ;   in Loop: Header=BB66_17 Depth=2
	v_cvt_f32_u32_e32 v3, s40
	s_sub_i32 s42, 0, s40
	v_rcp_iflag_f32_e32 v3, v3
	v_mul_f32_e32 v3, 0x4f7ffffe, v3
	v_cvt_u32_f32_e32 v3, v3
	v_mul_lo_u32 v10, s42, v3
	v_mul_hi_u32 v10, v3, v10
	v_add_u32_e32 v3, v3, v10
	v_mul_hi_u32 v3, v6, v3
	v_mul_lo_u32 v10, v3, s40
	v_sub_u32_e32 v10, v6, v10
	v_add_u32_e32 v11, 1, v3
	v_subrev_u32_e32 v15, s40, v10
	v_cmp_le_u32_e32 vcc, s40, v10
	v_cndmask_b32_e32 v10, v10, v15, vcc
	v_cndmask_b32_e32 v3, v3, v11, vcc
	v_add_u32_e32 v11, 1, v3
	v_cmp_le_u32_e32 vcc, s40, v10
	v_cndmask_b32_e32 v10, v3, v11, vcc
	v_mov_b32_e32 v11, v2
	s_branch .LBB66_16
.LBB66_21:
	s_endpgm
	.section	.rodata,"a",@progbits
	.p2align	6, 0x0
	.amdhsa_kernel _ZN2at6native16triu_tril_kernelIllLb1ELi2ELb1EEEvNS_4cuda6detail10TensorInfoIT_T0_EENS4_IKS5_S6_EEllS6_
		.amdhsa_group_segment_fixed_size 0
		.amdhsa_private_segment_fixed_size 0
		.amdhsa_kernarg_size 1112
		.amdhsa_user_sgpr_count 6
		.amdhsa_user_sgpr_private_segment_buffer 1
		.amdhsa_user_sgpr_dispatch_ptr 0
		.amdhsa_user_sgpr_queue_ptr 0
		.amdhsa_user_sgpr_kernarg_segment_ptr 1
		.amdhsa_user_sgpr_dispatch_id 0
		.amdhsa_user_sgpr_flat_scratch_init 0
		.amdhsa_user_sgpr_kernarg_preload_length 0
		.amdhsa_user_sgpr_kernarg_preload_offset 0
		.amdhsa_user_sgpr_private_segment_size 0
		.amdhsa_uses_dynamic_stack 0
		.amdhsa_system_sgpr_private_segment_wavefront_offset 0
		.amdhsa_system_sgpr_workgroup_id_x 1
		.amdhsa_system_sgpr_workgroup_id_y 0
		.amdhsa_system_sgpr_workgroup_id_z 0
		.amdhsa_system_sgpr_workgroup_info 0
		.amdhsa_system_vgpr_workitem_id 0
		.amdhsa_next_free_vgpr 23
		.amdhsa_next_free_sgpr 49
		.amdhsa_accum_offset 24
		.amdhsa_reserve_vcc 1
		.amdhsa_reserve_flat_scratch 0
		.amdhsa_float_round_mode_32 0
		.amdhsa_float_round_mode_16_64 0
		.amdhsa_float_denorm_mode_32 3
		.amdhsa_float_denorm_mode_16_64 3
		.amdhsa_dx10_clamp 1
		.amdhsa_ieee_mode 1
		.amdhsa_fp16_overflow 0
		.amdhsa_tg_split 0
		.amdhsa_exception_fp_ieee_invalid_op 0
		.amdhsa_exception_fp_denorm_src 0
		.amdhsa_exception_fp_ieee_div_zero 0
		.amdhsa_exception_fp_ieee_overflow 0
		.amdhsa_exception_fp_ieee_underflow 0
		.amdhsa_exception_fp_ieee_inexact 0
		.amdhsa_exception_int_div_zero 0
	.end_amdhsa_kernel
	.section	.text._ZN2at6native16triu_tril_kernelIllLb1ELi2ELb1EEEvNS_4cuda6detail10TensorInfoIT_T0_EENS4_IKS5_S6_EEllS6_,"axG",@progbits,_ZN2at6native16triu_tril_kernelIllLb1ELi2ELb1EEEvNS_4cuda6detail10TensorInfoIT_T0_EENS4_IKS5_S6_EEllS6_,comdat
.Lfunc_end66:
	.size	_ZN2at6native16triu_tril_kernelIllLb1ELi2ELb1EEEvNS_4cuda6detail10TensorInfoIT_T0_EENS4_IKS5_S6_EEllS6_, .Lfunc_end66-_ZN2at6native16triu_tril_kernelIllLb1ELi2ELb1EEEvNS_4cuda6detail10TensorInfoIT_T0_EENS4_IKS5_S6_EEllS6_
                                        ; -- End function
	.section	.AMDGPU.csdata,"",@progbits
; Kernel info:
; codeLenInByte = 3192
; NumSgprs: 53
; NumVgprs: 23
; NumAgprs: 0
; TotalNumVgprs: 23
; ScratchSize: 0
; MemoryBound: 0
; FloatMode: 240
; IeeeMode: 1
; LDSByteSize: 0 bytes/workgroup (compile time only)
; SGPRBlocks: 6
; VGPRBlocks: 2
; NumSGPRsForWavesPerEU: 53
; NumVGPRsForWavesPerEU: 23
; AccumOffset: 24
; Occupancy: 8
; WaveLimiterHint : 0
; COMPUTE_PGM_RSRC2:SCRATCH_EN: 0
; COMPUTE_PGM_RSRC2:USER_SGPR: 6
; COMPUTE_PGM_RSRC2:TRAP_HANDLER: 0
; COMPUTE_PGM_RSRC2:TGID_X_EN: 1
; COMPUTE_PGM_RSRC2:TGID_Y_EN: 0
; COMPUTE_PGM_RSRC2:TGID_Z_EN: 0
; COMPUTE_PGM_RSRC2:TIDIG_COMP_CNT: 0
; COMPUTE_PGM_RSRC3_GFX90A:ACCUM_OFFSET: 5
; COMPUTE_PGM_RSRC3_GFX90A:TG_SPLIT: 0
	.section	.text._ZN2at6native16triu_tril_kernelIllLb1ELi2ELb0EEEvNS_4cuda6detail10TensorInfoIT_T0_EENS4_IKS5_S6_EEllS6_,"axG",@progbits,_ZN2at6native16triu_tril_kernelIllLb1ELi2ELb0EEEvNS_4cuda6detail10TensorInfoIT_T0_EENS4_IKS5_S6_EEllS6_,comdat
	.protected	_ZN2at6native16triu_tril_kernelIllLb1ELi2ELb0EEEvNS_4cuda6detail10TensorInfoIT_T0_EENS4_IKS5_S6_EEllS6_ ; -- Begin function _ZN2at6native16triu_tril_kernelIllLb1ELi2ELb0EEEvNS_4cuda6detail10TensorInfoIT_T0_EENS4_IKS5_S6_EEllS6_
	.globl	_ZN2at6native16triu_tril_kernelIllLb1ELi2ELb0EEEvNS_4cuda6detail10TensorInfoIT_T0_EENS4_IKS5_S6_EEllS6_
	.p2align	8
	.type	_ZN2at6native16triu_tril_kernelIllLb1ELi2ELb0EEEvNS_4cuda6detail10TensorInfoIT_T0_EENS4_IKS5_S6_EEllS6_,@function
_ZN2at6native16triu_tril_kernelIllLb1ELi2ELb0EEEvNS_4cuda6detail10TensorInfoIT_T0_EENS4_IKS5_S6_EEllS6_: ; @_ZN2at6native16triu_tril_kernelIllLb1ELi2ELb0EEEvNS_4cuda6detail10TensorInfoIT_T0_EENS4_IKS5_S6_EEllS6_
; %bb.0:
	s_load_dword s2, s[4:5], 0x364
	s_load_dwordx4 s[8:11], s[4:5], 0x340
	s_add_u32 s0, s4, 0x358
	v_mov_b32_e32 v2, 0
	s_addc_u32 s1, s5, 0
	s_waitcnt lgkmcnt(0)
	s_and_b32 s7, s2, 0xffff
	v_mov_b32_e32 v1, v2
	v_mov_b32_e32 v3, s6
	v_mad_u64_u32 v[0:1], s[2:3], s7, v3, v[0:1]
	v_lshlrev_b64 v[0:1], 1, v[0:1]
	v_cmp_gt_i64_e32 vcc, s[10:11], v[0:1]
	s_and_saveexec_b64 s[2:3], vcc
	s_cbranch_execz .LBB67_26
; %bb.1:
	s_load_dword s6, s[0:1], 0x0
	s_load_dwordx2 s[2:3], s[4:5], 0x350
	s_load_dword s26, s[4:5], 0x338
	s_add_u32 s12, s4, 0x1a0
	s_addc_u32 s13, s5, 0
	s_waitcnt lgkmcnt(0)
	s_mul_i32 s28, s6, s7
	v_cvt_f32_u32_e32 v3, s2
	s_ashr_i32 s27, s26, 31
	s_add_u32 s30, s4, 0x1a8
	s_addc_u32 s31, s5, 0
	s_lshl_b64 s[0:1], s[26:27], 3
	s_add_u32 s22, s0, -16
	s_addc_u32 s23, s1, -1
	s_add_u32 s0, s30, s22
	s_addc_u32 s1, s31, s23
	s_add_u32 s20, s12, s22
	s_addc_u32 s21, s13, s23
	v_cmp_gt_i64_e64 s[24:25], s[26:27], 2
	s_add_u32 s27, s4, 0xd0
	s_addc_u32 s34, s5, 0
	s_load_dwordx4 s[12:15], s[0:1], 0x0
	s_load_dwordx4 s[16:19], s[20:21], 0xd0
	s_add_u32 s0, s27, s22
	s_addc_u32 s1, s34, s23
	s_load_dwordx2 s[6:7], s[4:5], 0x1a0
	s_load_dwordx4 s[20:23], s[0:1], 0x0
	v_rcp_iflag_f32_e32 v3, v3
	s_load_dwordx2 s[4:5], s[4:5], 0x0
	s_add_i32 s0, s26, -3
	s_ashr_i32 s1, s0, 31
	s_lshl_b32 s33, s28, 1
	s_lshl_b64 s[28:29], s[0:1], 3
	s_add_u32 s26, s27, s28
	s_addc_u32 s27, s34, s29
	v_mul_f32_e32 v3, 0x4f7ffffe, v3
	s_add_u32 s28, s30, s28
	v_cvt_u32_f32_e32 v18, v3
	s_addc_u32 s29, s31, s29
	s_add_u32 s30, s0, 1
	s_mov_b32 s50, 0
	s_addc_u32 s31, s1, 0
	s_mov_b64 s[34:35], 0
	s_branch .LBB67_3
.LBB67_2:                               ;   in Loop: Header=BB67_3 Depth=1
	s_or_b64 exec, exec, s[0:1]
	v_mov_b32_e32 v3, s50
	v_add_co_u32_e32 v0, vcc, s33, v0
	v_addc_co_u32_e32 v1, vcc, v1, v3, vcc
	v_cmp_le_i64_e32 vcc, s[10:11], v[0:1]
	s_or_b64 s[34:35], vcc, s[34:35]
	s_andn2_b64 exec, exec, s[34:35]
	s_cbranch_execz .LBB67_26
.LBB67_3:                               ; =>This Loop Header: Depth=1
                                        ;     Child Loop BB67_22 Depth 2
	v_or_b32_e32 v3, s3, v1
	v_cmp_ne_u64_e32 vcc, 0, v[2:3]
                                        ; implicit-def: $vgpr6_vgpr7
	s_and_saveexec_b64 s[0:1], vcc
	s_xor_b64 s[36:37], exec, s[0:1]
	s_cbranch_execz .LBB67_5
; %bb.4:                                ;   in Loop: Header=BB67_3 Depth=1
	s_ashr_i32 s38, s3, 31
	s_add_u32 s0, s2, s38
	s_mov_b32 s39, s38
	s_addc_u32 s1, s3, s38
	s_xor_b64 s[40:41], s[0:1], s[38:39]
	v_cvt_f32_u32_e32 v3, s40
	v_cvt_f32_u32_e32 v4, s41
	s_sub_u32 s0, 0, s40
	s_subb_u32 s1, 0, s41
	v_mac_f32_e32 v3, 0x4f800000, v4
	v_rcp_f32_e32 v3, v3
	v_mul_f32_e32 v3, 0x5f7ffffc, v3
	v_mul_f32_e32 v4, 0x2f800000, v3
	v_trunc_f32_e32 v4, v4
	v_mac_f32_e32 v3, 0xcf800000, v4
	v_cvt_u32_f32_e32 v4, v4
	v_cvt_u32_f32_e32 v3, v3
	v_mul_lo_u32 v5, s0, v4
	v_mul_hi_u32 v7, s0, v3
	v_mul_lo_u32 v6, s1, v3
	v_add_u32_e32 v5, v7, v5
	v_mul_lo_u32 v8, s0, v3
	v_add_u32_e32 v5, v5, v6
	v_mul_lo_u32 v7, v3, v5
	v_mul_hi_u32 v9, v3, v8
	v_mul_hi_u32 v6, v3, v5
	v_add_co_u32_e32 v7, vcc, v9, v7
	v_addc_co_u32_e32 v6, vcc, 0, v6, vcc
	v_mul_hi_u32 v10, v4, v8
	v_mul_lo_u32 v8, v4, v8
	v_add_co_u32_e32 v7, vcc, v7, v8
	v_mul_hi_u32 v9, v4, v5
	v_addc_co_u32_e32 v6, vcc, v6, v10, vcc
	v_addc_co_u32_e32 v7, vcc, 0, v9, vcc
	v_mul_lo_u32 v5, v4, v5
	v_add_co_u32_e32 v5, vcc, v6, v5
	v_addc_co_u32_e32 v6, vcc, 0, v7, vcc
	v_add_co_u32_e32 v3, vcc, v3, v5
	v_addc_co_u32_e32 v4, vcc, v4, v6, vcc
	v_mul_lo_u32 v5, s0, v4
	v_mul_hi_u32 v6, s0, v3
	v_add_u32_e32 v5, v6, v5
	v_mul_lo_u32 v6, s1, v3
	v_add_u32_e32 v5, v5, v6
	v_mul_lo_u32 v7, s0, v3
	v_mul_hi_u32 v8, v4, v7
	v_mul_lo_u32 v9, v4, v7
	v_mul_lo_u32 v11, v3, v5
	v_mul_hi_u32 v7, v3, v7
	v_mul_hi_u32 v10, v3, v5
	v_add_co_u32_e32 v7, vcc, v7, v11
	v_addc_co_u32_e32 v10, vcc, 0, v10, vcc
	v_add_co_u32_e32 v7, vcc, v7, v9
	v_mul_hi_u32 v6, v4, v5
	v_addc_co_u32_e32 v7, vcc, v10, v8, vcc
	v_addc_co_u32_e32 v6, vcc, 0, v6, vcc
	v_mul_lo_u32 v5, v4, v5
	v_add_co_u32_e32 v5, vcc, v7, v5
	v_addc_co_u32_e32 v6, vcc, 0, v6, vcc
	v_add_co_u32_e32 v3, vcc, v3, v5
	v_addc_co_u32_e32 v6, vcc, v4, v6, vcc
	v_ashrrev_i32_e32 v8, 31, v1
	v_add_co_u32_e32 v4, vcc, v0, v8
	v_addc_co_u32_e32 v5, vcc, v1, v8, vcc
	v_xor_b32_e32 v10, v4, v8
	v_xor_b32_e32 v9, v5, v8
	v_mad_u64_u32 v[4:5], s[0:1], v10, v6, 0
	v_mul_hi_u32 v7, v10, v3
	v_add_co_u32_e32 v11, vcc, v7, v4
	v_addc_co_u32_e32 v12, vcc, 0, v5, vcc
	v_mad_u64_u32 v[4:5], s[0:1], v9, v6, 0
	v_mad_u64_u32 v[6:7], s[0:1], v9, v3, 0
	v_add_co_u32_e32 v3, vcc, v11, v6
	v_addc_co_u32_e32 v3, vcc, v12, v7, vcc
	v_addc_co_u32_e32 v5, vcc, 0, v5, vcc
	v_add_co_u32_e32 v3, vcc, v3, v4
	v_addc_co_u32_e32 v6, vcc, 0, v5, vcc
	v_mul_lo_u32 v7, s41, v3
	v_mul_lo_u32 v11, s40, v6
	v_mad_u64_u32 v[4:5], s[0:1], s40, v3, 0
	v_add3_u32 v5, v5, v11, v7
	v_sub_u32_e32 v7, v9, v5
	v_mov_b32_e32 v11, s41
	v_sub_co_u32_e32 v4, vcc, v10, v4
	v_subb_co_u32_e64 v7, s[0:1], v7, v11, vcc
	v_subrev_co_u32_e64 v10, s[0:1], s40, v4
	v_subbrev_co_u32_e64 v7, s[0:1], 0, v7, s[0:1]
	v_cmp_le_u32_e64 s[0:1], s41, v7
	v_cndmask_b32_e64 v11, 0, -1, s[0:1]
	v_cmp_le_u32_e64 s[0:1], s40, v10
	v_cndmask_b32_e64 v10, 0, -1, s[0:1]
	v_cmp_eq_u32_e64 s[0:1], s41, v7
	v_cndmask_b32_e64 v7, v11, v10, s[0:1]
	v_add_co_u32_e64 v10, s[0:1], 2, v3
	v_subb_co_u32_e32 v5, vcc, v9, v5, vcc
	v_addc_co_u32_e64 v11, s[0:1], 0, v6, s[0:1]
	v_cmp_le_u32_e32 vcc, s41, v5
	v_add_co_u32_e64 v12, s[0:1], 1, v3
	v_cndmask_b32_e64 v9, 0, -1, vcc
	v_cmp_le_u32_e32 vcc, s40, v4
	v_addc_co_u32_e64 v13, s[0:1], 0, v6, s[0:1]
	v_cndmask_b32_e64 v4, 0, -1, vcc
	v_cmp_eq_u32_e32 vcc, s41, v5
	v_cmp_ne_u32_e64 s[0:1], 0, v7
	v_cndmask_b32_e32 v4, v9, v4, vcc
	v_cmp_ne_u32_e32 vcc, 0, v4
	v_cndmask_b32_e64 v5, v12, v10, s[0:1]
	v_cndmask_b32_e64 v7, v13, v11, s[0:1]
	v_cndmask_b32_e32 v3, v3, v5, vcc
	v_xor_b32_e32 v5, s38, v8
	v_cndmask_b32_e32 v4, v6, v7, vcc
	v_xor_b32_e32 v3, v3, v5
	v_xor_b32_e32 v4, v4, v5
	v_sub_co_u32_e32 v6, vcc, v3, v5
	v_subb_co_u32_e32 v7, vcc, v4, v5, vcc
.LBB67_5:                               ;   in Loop: Header=BB67_3 Depth=1
	s_andn2_saveexec_b64 s[0:1], s[36:37]
	s_cbranch_execz .LBB67_7
; %bb.6:                                ;   in Loop: Header=BB67_3 Depth=1
	s_sub_i32 s36, 0, s2
	v_mul_lo_u32 v3, s36, v18
	v_mul_hi_u32 v3, v18, v3
	v_add_u32_e32 v3, v18, v3
	v_mul_hi_u32 v3, v0, v3
	v_mul_lo_u32 v4, v3, s2
	v_sub_u32_e32 v4, v0, v4
	v_subrev_u32_e32 v5, s2, v4
	v_cmp_le_u32_e32 vcc, s2, v4
	v_cndmask_b32_e32 v4, v4, v5, vcc
	v_add_u32_e32 v5, 1, v3
	v_cndmask_b32_e32 v3, v3, v5, vcc
	v_add_u32_e32 v5, 1, v3
	v_cmp_le_u32_e32 vcc, s2, v4
	v_cndmask_b32_e32 v6, v3, v5, vcc
	v_mov_b32_e32 v7, v2
.LBB67_7:                               ;   in Loop: Header=BB67_3 Depth=1
	s_or_b64 exec, exec, s[0:1]
	s_waitcnt lgkmcnt(0)
	v_or_b32_e32 v3, s13, v7
	v_cmp_ne_u64_e32 vcc, 0, v[2:3]
                                        ; implicit-def: $vgpr10_vgpr11
	s_and_saveexec_b64 s[0:1], vcc
	s_xor_b64 s[36:37], exec, s[0:1]
	s_cbranch_execz .LBB67_9
; %bb.8:                                ;   in Loop: Header=BB67_3 Depth=1
	s_ashr_i32 s38, s13, 31
	s_add_u32 s0, s12, s38
	s_mov_b32 s39, s38
	s_addc_u32 s1, s13, s38
	s_xor_b64 s[40:41], s[0:1], s[38:39]
	v_cvt_f32_u32_e32 v3, s40
	v_cvt_f32_u32_e32 v4, s41
	s_sub_u32 s0, 0, s40
	s_subb_u32 s1, 0, s41
	v_mac_f32_e32 v3, 0x4f800000, v4
	v_rcp_f32_e32 v3, v3
	v_mul_f32_e32 v3, 0x5f7ffffc, v3
	v_mul_f32_e32 v4, 0x2f800000, v3
	v_trunc_f32_e32 v4, v4
	v_mac_f32_e32 v3, 0xcf800000, v4
	v_cvt_u32_f32_e32 v4, v4
	v_cvt_u32_f32_e32 v3, v3
	v_mul_lo_u32 v5, s0, v4
	v_mul_hi_u32 v9, s0, v3
	v_mul_lo_u32 v8, s1, v3
	v_add_u32_e32 v5, v9, v5
	v_mul_lo_u32 v10, s0, v3
	v_add_u32_e32 v5, v5, v8
	v_mul_lo_u32 v9, v3, v5
	v_mul_hi_u32 v11, v3, v10
	v_mul_hi_u32 v8, v3, v5
	v_add_co_u32_e32 v9, vcc, v11, v9
	v_addc_co_u32_e32 v8, vcc, 0, v8, vcc
	v_mul_hi_u32 v12, v4, v10
	v_mul_lo_u32 v10, v4, v10
	v_add_co_u32_e32 v9, vcc, v9, v10
	v_mul_hi_u32 v11, v4, v5
	v_addc_co_u32_e32 v8, vcc, v8, v12, vcc
	v_addc_co_u32_e32 v9, vcc, 0, v11, vcc
	v_mul_lo_u32 v5, v4, v5
	v_add_co_u32_e32 v5, vcc, v8, v5
	v_addc_co_u32_e32 v8, vcc, 0, v9, vcc
	v_add_co_u32_e32 v3, vcc, v3, v5
	v_addc_co_u32_e32 v4, vcc, v4, v8, vcc
	v_mul_lo_u32 v5, s0, v4
	v_mul_hi_u32 v8, s0, v3
	v_add_u32_e32 v5, v8, v5
	v_mul_lo_u32 v8, s1, v3
	v_add_u32_e32 v5, v5, v8
	v_mul_lo_u32 v9, s0, v3
	v_mul_hi_u32 v10, v4, v9
	v_mul_lo_u32 v11, v4, v9
	v_mul_lo_u32 v13, v3, v5
	v_mul_hi_u32 v9, v3, v9
	v_mul_hi_u32 v12, v3, v5
	v_add_co_u32_e32 v9, vcc, v9, v13
	v_addc_co_u32_e32 v12, vcc, 0, v12, vcc
	v_add_co_u32_e32 v9, vcc, v9, v11
	v_mul_hi_u32 v8, v4, v5
	v_addc_co_u32_e32 v9, vcc, v12, v10, vcc
	v_addc_co_u32_e32 v8, vcc, 0, v8, vcc
	v_mul_lo_u32 v5, v4, v5
	v_add_co_u32_e32 v5, vcc, v9, v5
	v_addc_co_u32_e32 v8, vcc, 0, v8, vcc
	v_add_co_u32_e32 v3, vcc, v3, v5
	v_addc_co_u32_e32 v8, vcc, v4, v8, vcc
	v_ashrrev_i32_e32 v10, 31, v7
	v_add_co_u32_e32 v4, vcc, v6, v10
	v_addc_co_u32_e32 v5, vcc, v7, v10, vcc
	v_xor_b32_e32 v12, v4, v10
	v_xor_b32_e32 v11, v5, v10
	v_mad_u64_u32 v[4:5], s[0:1], v12, v8, 0
	v_mul_hi_u32 v9, v12, v3
	v_add_co_u32_e32 v13, vcc, v9, v4
	v_addc_co_u32_e32 v14, vcc, 0, v5, vcc
	v_mad_u64_u32 v[4:5], s[0:1], v11, v8, 0
	v_mad_u64_u32 v[8:9], s[0:1], v11, v3, 0
	v_add_co_u32_e32 v3, vcc, v13, v8
	v_addc_co_u32_e32 v3, vcc, v14, v9, vcc
	v_addc_co_u32_e32 v5, vcc, 0, v5, vcc
	v_add_co_u32_e32 v3, vcc, v3, v4
	v_addc_co_u32_e32 v8, vcc, 0, v5, vcc
	v_mul_lo_u32 v9, s41, v3
	v_mul_lo_u32 v13, s40, v8
	v_mad_u64_u32 v[4:5], s[0:1], s40, v3, 0
	v_add3_u32 v5, v5, v13, v9
	v_sub_u32_e32 v9, v11, v5
	v_mov_b32_e32 v13, s41
	v_sub_co_u32_e32 v4, vcc, v12, v4
	v_subb_co_u32_e64 v9, s[0:1], v9, v13, vcc
	v_subrev_co_u32_e64 v12, s[0:1], s40, v4
	v_subbrev_co_u32_e64 v9, s[0:1], 0, v9, s[0:1]
	v_cmp_le_u32_e64 s[0:1], s41, v9
	v_cndmask_b32_e64 v13, 0, -1, s[0:1]
	v_cmp_le_u32_e64 s[0:1], s40, v12
	v_cndmask_b32_e64 v12, 0, -1, s[0:1]
	v_cmp_eq_u32_e64 s[0:1], s41, v9
	v_cndmask_b32_e64 v9, v13, v12, s[0:1]
	v_add_co_u32_e64 v12, s[0:1], 2, v3
	v_subb_co_u32_e32 v5, vcc, v11, v5, vcc
	v_addc_co_u32_e64 v13, s[0:1], 0, v8, s[0:1]
	v_cmp_le_u32_e32 vcc, s41, v5
	v_add_co_u32_e64 v14, s[0:1], 1, v3
	v_cndmask_b32_e64 v11, 0, -1, vcc
	v_cmp_le_u32_e32 vcc, s40, v4
	v_addc_co_u32_e64 v15, s[0:1], 0, v8, s[0:1]
	v_cndmask_b32_e64 v4, 0, -1, vcc
	v_cmp_eq_u32_e32 vcc, s41, v5
	v_cmp_ne_u32_e64 s[0:1], 0, v9
	v_cndmask_b32_e32 v4, v11, v4, vcc
	v_cmp_ne_u32_e32 vcc, 0, v4
	v_cndmask_b32_e64 v5, v14, v12, s[0:1]
	v_cndmask_b32_e64 v9, v15, v13, s[0:1]
	v_cndmask_b32_e32 v3, v3, v5, vcc
	v_xor_b32_e32 v5, s38, v10
	v_cndmask_b32_e32 v4, v8, v9, vcc
	v_xor_b32_e32 v3, v3, v5
	v_xor_b32_e32 v4, v4, v5
	v_sub_co_u32_e32 v10, vcc, v3, v5
	v_subb_co_u32_e32 v11, vcc, v4, v5, vcc
.LBB67_9:                               ;   in Loop: Header=BB67_3 Depth=1
	s_andn2_saveexec_b64 s[0:1], s[36:37]
	s_cbranch_execz .LBB67_11
; %bb.10:                               ;   in Loop: Header=BB67_3 Depth=1
	v_cvt_f32_u32_e32 v3, s12
	s_sub_i32 s36, 0, s12
	v_mov_b32_e32 v11, v2
	v_rcp_iflag_f32_e32 v3, v3
	v_mul_f32_e32 v3, 0x4f7ffffe, v3
	v_cvt_u32_f32_e32 v3, v3
	v_mul_lo_u32 v4, s36, v3
	v_mul_hi_u32 v4, v3, v4
	v_add_u32_e32 v3, v3, v4
	v_mul_hi_u32 v3, v6, v3
	v_mul_lo_u32 v4, v3, s12
	v_sub_u32_e32 v4, v6, v4
	v_add_u32_e32 v5, 1, v3
	v_subrev_u32_e32 v8, s12, v4
	v_cmp_le_u32_e32 vcc, s12, v4
	v_cndmask_b32_e32 v4, v4, v8, vcc
	v_cndmask_b32_e32 v3, v3, v5, vcc
	v_add_u32_e32 v5, 1, v3
	v_cmp_le_u32_e32 vcc, s12, v4
	v_cndmask_b32_e32 v10, v3, v5, vcc
.LBB67_11:                              ;   in Loop: Header=BB67_3 Depth=1
	s_or_b64 exec, exec, s[0:1]
	v_mul_lo_u32 v3, v7, s2
	v_mul_lo_u32 v8, v6, s3
	v_mad_u64_u32 v[4:5], s[0:1], v6, s2, 0
	v_add3_u32 v3, v5, v8, v3
	v_sub_co_u32_e32 v4, vcc, v0, v4
	v_subb_co_u32_e32 v5, vcc, v1, v3, vcc
	v_mul_lo_u32 v3, v11, s12
	v_mul_lo_u32 v12, v10, s13
	v_mad_u64_u32 v[8:9], s[0:1], v10, s12, 0
	v_add3_u32 v3, v9, v12, v3
	v_sub_co_u32_e32 v14, vcc, v6, v8
	v_subb_co_u32_e32 v15, vcc, v7, v3, vcc
	v_mul_lo_u32 v3, s19, v4
	v_mul_lo_u32 v8, s18, v5
	v_mad_u64_u32 v[6:7], s[0:1], s18, v4, 0
	v_add3_u32 v7, v7, v8, v3
	v_mul_lo_u32 v3, s23, v4
	v_mul_lo_u32 v8, s22, v5
	v_mad_u64_u32 v[12:13], s[0:1], s22, v4, 0
	v_add3_u32 v13, v13, v8, v3
	v_mad_u64_u32 v[8:9], s[0:1], s16, v14, v[6:7]
	v_mul_lo_u32 v3, s16, v15
	v_mul_lo_u32 v6, s17, v14
	v_add3_u32 v9, v6, v9, v3
	v_mad_u64_u32 v[6:7], s[0:1], s20, v14, v[12:13]
	v_mul_lo_u32 v3, s20, v15
	v_mul_lo_u32 v12, s21, v14
	v_add3_u32 v7, v12, v7, v3
	s_and_b64 vcc, exec, s[24:25]
	s_mov_b64 s[36:37], s[30:31]
	s_mov_b64 s[38:39], s[28:29]
	;; [unrolled: 1-line block ×3, first 2 shown]
	s_cbranch_vccnz .LBB67_22
.LBB67_12:                              ;   in Loop: Header=BB67_3 Depth=1
	v_sub_co_u32_e32 v10, vcc, v4, v14
	v_subb_co_u32_e32 v11, vcc, v5, v15, vcc
	v_add_co_u32_e32 v12, vcc, 2, v10
	v_addc_co_u32_e32 v13, vcc, 0, v11, vcc
	v_cmp_le_i64_e32 vcc, s[8:9], v[12:13]
	v_pk_mov_b32 v[12:13], 0, 0
	v_pk_mov_b32 v[14:15], v[12:13], v[12:13] op_sel:[0,1]
	s_and_saveexec_b64 s[0:1], vcc
	s_cbranch_execz .LBB67_18
; %bb.13:                               ;   in Loop: Header=BB67_3 Depth=1
	v_pk_mov_b32 v[12:13], 0, 0
	v_cmp_gt_i64_e32 vcc, s[14:15], v[4:5]
	v_pk_mov_b32 v[16:17], v[12:13], v[12:13] op_sel:[0,1]
	s_and_saveexec_b64 s[36:37], vcc
	s_cbranch_execz .LBB67_17
; %bb.14:                               ;   in Loop: Header=BB67_3 Depth=1
	v_lshlrev_b64 v[8:9], 3, v[8:9]
	v_mov_b32_e32 v3, s7
	v_add_co_u32_e32 v8, vcc, s6, v8
	v_addc_co_u32_e32 v9, vcc, v3, v9, vcc
	global_load_dwordx2 v[12:13], v[8:9], off
	v_add_co_u32_e32 v14, vcc, 1, v4
	v_addc_co_u32_e32 v15, vcc, 0, v5, vcc
	v_cmp_gt_i64_e32 vcc, s[14:15], v[14:15]
	v_pk_mov_b32 v[16:17], 0, 0
	s_and_saveexec_b64 s[38:39], vcc
	s_xor_b64 s[38:39], exec, s[38:39]
	s_cbranch_execz .LBB67_16
; %bb.15:                               ;   in Loop: Header=BB67_3 Depth=1
	s_lshl_b64 s[40:41], s[18:19], 3
	v_mov_b32_e32 v3, s41
	v_add_co_u32_e32 v8, vcc, s40, v8
	v_addc_co_u32_e32 v9, vcc, v9, v3, vcc
	global_load_dwordx2 v[16:17], v[8:9], off
.LBB67_16:                              ;   in Loop: Header=BB67_3 Depth=1
	s_or_b64 exec, exec, s[38:39]
.LBB67_17:                              ;   in Loop: Header=BB67_3 Depth=1
	s_or_b64 exec, exec, s[36:37]
	v_cmp_le_i64_e32 vcc, s[8:9], v[10:11]
	s_waitcnt vmcnt(0)
	v_cndmask_b32_e32 v15, 0, v13, vcc
	v_cndmask_b32_e32 v14, 0, v12, vcc
	v_add_co_u32_e32 v8, vcc, 1, v10
	v_addc_co_u32_e32 v9, vcc, 0, v11, vcc
	v_cmp_le_i64_e32 vcc, s[8:9], v[8:9]
	v_cndmask_b32_e32 v13, 0, v17, vcc
	v_cndmask_b32_e32 v12, 0, v16, vcc
.LBB67_18:                              ;   in Loop: Header=BB67_3 Depth=1
	s_or_b64 exec, exec, s[0:1]
	v_cmp_gt_i64_e32 vcc, s[14:15], v[4:5]
	s_and_saveexec_b64 s[0:1], vcc
	s_cbranch_execz .LBB67_2
; %bb.19:                               ;   in Loop: Header=BB67_3 Depth=1
	v_lshlrev_b64 v[6:7], 3, v[6:7]
	v_mov_b32_e32 v3, s5
	v_add_co_u32_e32 v6, vcc, s4, v6
	v_addc_co_u32_e32 v7, vcc, v3, v7, vcc
	v_add_co_u32_e32 v4, vcc, 1, v4
	v_addc_co_u32_e32 v5, vcc, 0, v5, vcc
	v_cmp_gt_i64_e32 vcc, s[14:15], v[4:5]
	global_store_dwordx2 v[6:7], v[14:15], off
	s_and_saveexec_b64 s[36:37], vcc
	s_xor_b64 s[36:37], exec, s[36:37]
	s_cbranch_execz .LBB67_2
; %bb.20:                               ;   in Loop: Header=BB67_3 Depth=1
	s_lshl_b64 s[36:37], s[22:23], 3
	v_mov_b32_e32 v3, s37
	v_add_co_u32_e32 v4, vcc, s36, v6
	v_addc_co_u32_e32 v5, vcc, v7, v3, vcc
	global_store_dwordx2 v[4:5], v[12:13], off
	s_branch .LBB67_2
.LBB67_21:                              ;   in Loop: Header=BB67_22 Depth=2
	s_or_b64 exec, exec, s[0:1]
	v_mad_u64_u32 v[16:17], s[0:1], v12, s42, 0
	v_mul_lo_u32 v3, v13, s42
	v_mul_lo_u32 v19, v12, s43
	s_load_dwordx2 s[0:1], s[38:39], 0xc8
	s_load_dwordx2 s[42:43], s[40:41], 0x0
	s_add_u32 s40, s40, -8
	s_addc_u32 s41, s41, -1
	s_add_u32 s38, s38, -8
	v_add3_u32 v3, v17, v19, v3
	v_sub_co_u32_e32 v10, vcc, v10, v16
	s_addc_u32 s39, s39, -1
	v_subb_co_u32_e32 v3, vcc, v11, v3, vcc
	s_add_u32 s36, s36, -1
	s_waitcnt lgkmcnt(0)
	v_mul_lo_u32 v11, s0, v3
	v_mul_lo_u32 v16, s1, v10
	v_mad_u64_u32 v[8:9], s[0:1], s0, v10, v[8:9]
	v_mad_u64_u32 v[6:7], s[0:1], s42, v10, v[6:7]
	s_addc_u32 s37, s37, -1
	v_add3_u32 v9, v16, v9, v11
	v_mul_lo_u32 v3, s42, v3
	v_mul_lo_u32 v11, s43, v10
	v_cmp_lt_i64_e64 s[0:1], s[36:37], 1
	v_add3_u32 v7, v11, v7, v3
	s_and_b64 vcc, exec, s[0:1]
	v_pk_mov_b32 v[10:11], v[12:13], v[12:13] op_sel:[0,1]
	s_cbranch_vccnz .LBB67_12
.LBB67_22:                              ;   Parent Loop BB67_3 Depth=1
                                        ; =>  This Inner Loop Header: Depth=2
	s_load_dwordx2 s[42:43], s[38:39], 0x0
                                        ; implicit-def: $vgpr12_vgpr13
	s_waitcnt lgkmcnt(0)
	v_or_b32_e32 v3, s43, v11
	v_cmp_ne_u64_e32 vcc, 0, v[2:3]
	s_and_saveexec_b64 s[0:1], vcc
	s_xor_b64 s[44:45], exec, s[0:1]
	s_cbranch_execz .LBB67_24
; %bb.23:                               ;   in Loop: Header=BB67_22 Depth=2
	s_ashr_i32 s46, s43, 31
	s_add_u32 s0, s42, s46
	s_mov_b32 s47, s46
	s_addc_u32 s1, s43, s46
	s_xor_b64 s[48:49], s[0:1], s[46:47]
	v_cvt_f32_u32_e32 v3, s48
	v_cvt_f32_u32_e32 v12, s49
	s_sub_u32 s0, 0, s48
	s_subb_u32 s1, 0, s49
	v_mac_f32_e32 v3, 0x4f800000, v12
	v_rcp_f32_e32 v3, v3
	v_mul_f32_e32 v3, 0x5f7ffffc, v3
	v_mul_f32_e32 v12, 0x2f800000, v3
	v_trunc_f32_e32 v12, v12
	v_mac_f32_e32 v3, 0xcf800000, v12
	v_cvt_u32_f32_e32 v12, v12
	v_cvt_u32_f32_e32 v3, v3
	v_mul_lo_u32 v13, s0, v12
	v_mul_hi_u32 v17, s0, v3
	v_mul_lo_u32 v16, s1, v3
	v_add_u32_e32 v13, v17, v13
	v_mul_lo_u32 v19, s0, v3
	v_add_u32_e32 v13, v13, v16
	v_mul_lo_u32 v17, v3, v13
	v_mul_hi_u32 v20, v3, v19
	v_mul_hi_u32 v16, v3, v13
	v_add_co_u32_e32 v17, vcc, v20, v17
	v_addc_co_u32_e32 v16, vcc, 0, v16, vcc
	v_mul_hi_u32 v21, v12, v19
	v_mul_lo_u32 v19, v12, v19
	v_add_co_u32_e32 v17, vcc, v17, v19
	v_mul_hi_u32 v20, v12, v13
	v_addc_co_u32_e32 v16, vcc, v16, v21, vcc
	v_addc_co_u32_e32 v17, vcc, 0, v20, vcc
	v_mul_lo_u32 v13, v12, v13
	v_add_co_u32_e32 v13, vcc, v16, v13
	v_addc_co_u32_e32 v16, vcc, 0, v17, vcc
	v_add_co_u32_e32 v3, vcc, v3, v13
	v_addc_co_u32_e32 v12, vcc, v12, v16, vcc
	v_mul_lo_u32 v13, s0, v12
	v_mul_hi_u32 v16, s0, v3
	v_add_u32_e32 v13, v16, v13
	v_mul_lo_u32 v16, s1, v3
	v_add_u32_e32 v13, v13, v16
	v_mul_lo_u32 v17, s0, v3
	v_mul_hi_u32 v19, v12, v17
	v_mul_lo_u32 v20, v12, v17
	v_mul_lo_u32 v22, v3, v13
	v_mul_hi_u32 v17, v3, v17
	v_mul_hi_u32 v21, v3, v13
	v_add_co_u32_e32 v17, vcc, v17, v22
	v_addc_co_u32_e32 v21, vcc, 0, v21, vcc
	v_add_co_u32_e32 v17, vcc, v17, v20
	v_mul_hi_u32 v16, v12, v13
	v_addc_co_u32_e32 v17, vcc, v21, v19, vcc
	v_addc_co_u32_e32 v16, vcc, 0, v16, vcc
	v_mul_lo_u32 v13, v12, v13
	v_add_co_u32_e32 v13, vcc, v17, v13
	v_addc_co_u32_e32 v16, vcc, 0, v16, vcc
	v_add_co_u32_e32 v3, vcc, v3, v13
	v_addc_co_u32_e32 v16, vcc, v12, v16, vcc
	v_ashrrev_i32_e32 v19, 31, v11
	v_add_co_u32_e32 v12, vcc, v10, v19
	v_addc_co_u32_e32 v13, vcc, v11, v19, vcc
	v_xor_b32_e32 v21, v12, v19
	v_xor_b32_e32 v20, v13, v19
	v_mad_u64_u32 v[12:13], s[0:1], v21, v16, 0
	v_mul_hi_u32 v17, v21, v3
	v_add_co_u32_e32 v22, vcc, v17, v12
	v_addc_co_u32_e32 v23, vcc, 0, v13, vcc
	v_mad_u64_u32 v[12:13], s[0:1], v20, v16, 0
	v_mad_u64_u32 v[16:17], s[0:1], v20, v3, 0
	v_add_co_u32_e32 v3, vcc, v22, v16
	v_addc_co_u32_e32 v3, vcc, v23, v17, vcc
	v_addc_co_u32_e32 v13, vcc, 0, v13, vcc
	v_add_co_u32_e32 v3, vcc, v3, v12
	v_addc_co_u32_e32 v16, vcc, 0, v13, vcc
	v_mul_lo_u32 v17, s49, v3
	v_mul_lo_u32 v22, s48, v16
	v_mad_u64_u32 v[12:13], s[0:1], s48, v3, 0
	v_add3_u32 v13, v13, v22, v17
	v_sub_u32_e32 v17, v20, v13
	v_mov_b32_e32 v22, s49
	v_sub_co_u32_e32 v12, vcc, v21, v12
	v_subb_co_u32_e64 v17, s[0:1], v17, v22, vcc
	v_subrev_co_u32_e64 v21, s[0:1], s48, v12
	v_subbrev_co_u32_e64 v17, s[0:1], 0, v17, s[0:1]
	v_cmp_le_u32_e64 s[0:1], s49, v17
	v_cndmask_b32_e64 v22, 0, -1, s[0:1]
	v_cmp_le_u32_e64 s[0:1], s48, v21
	v_cndmask_b32_e64 v21, 0, -1, s[0:1]
	v_cmp_eq_u32_e64 s[0:1], s49, v17
	v_cndmask_b32_e64 v17, v22, v21, s[0:1]
	v_add_co_u32_e64 v21, s[0:1], 2, v3
	v_subb_co_u32_e32 v13, vcc, v20, v13, vcc
	v_addc_co_u32_e64 v22, s[0:1], 0, v16, s[0:1]
	v_cmp_le_u32_e32 vcc, s49, v13
	v_add_co_u32_e64 v23, s[0:1], 1, v3
	v_cndmask_b32_e64 v20, 0, -1, vcc
	v_cmp_le_u32_e32 vcc, s48, v12
	v_addc_co_u32_e64 v24, s[0:1], 0, v16, s[0:1]
	v_cndmask_b32_e64 v12, 0, -1, vcc
	v_cmp_eq_u32_e32 vcc, s49, v13
	v_cmp_ne_u32_e64 s[0:1], 0, v17
	v_cndmask_b32_e32 v12, v20, v12, vcc
	v_cmp_ne_u32_e32 vcc, 0, v12
	v_cndmask_b32_e64 v13, v23, v21, s[0:1]
	v_cndmask_b32_e64 v17, v24, v22, s[0:1]
	v_cndmask_b32_e32 v3, v3, v13, vcc
	v_xor_b32_e32 v13, s46, v19
	v_cndmask_b32_e32 v12, v16, v17, vcc
	v_xor_b32_e32 v3, v3, v13
	v_xor_b32_e32 v16, v12, v13
	v_sub_co_u32_e32 v12, vcc, v3, v13
	v_subb_co_u32_e32 v13, vcc, v16, v13, vcc
.LBB67_24:                              ;   in Loop: Header=BB67_22 Depth=2
	s_andn2_saveexec_b64 s[0:1], s[44:45]
	s_cbranch_execz .LBB67_21
; %bb.25:                               ;   in Loop: Header=BB67_22 Depth=2
	v_cvt_f32_u32_e32 v3, s42
	s_sub_i32 s44, 0, s42
	v_rcp_iflag_f32_e32 v3, v3
	v_mul_f32_e32 v3, 0x4f7ffffe, v3
	v_cvt_u32_f32_e32 v3, v3
	v_mul_lo_u32 v12, s44, v3
	v_mul_hi_u32 v12, v3, v12
	v_add_u32_e32 v3, v3, v12
	v_mul_hi_u32 v3, v10, v3
	v_mul_lo_u32 v12, v3, s42
	v_sub_u32_e32 v12, v10, v12
	v_add_u32_e32 v13, 1, v3
	v_subrev_u32_e32 v16, s42, v12
	v_cmp_le_u32_e32 vcc, s42, v12
	v_cndmask_b32_e32 v12, v12, v16, vcc
	v_cndmask_b32_e32 v3, v3, v13, vcc
	v_add_u32_e32 v13, 1, v3
	v_cmp_le_u32_e32 vcc, s42, v12
	v_cndmask_b32_e32 v12, v3, v13, vcc
	v_mov_b32_e32 v13, v2
	s_branch .LBB67_21
.LBB67_26:
	s_endpgm
	.section	.rodata,"a",@progbits
	.p2align	6, 0x0
	.amdhsa_kernel _ZN2at6native16triu_tril_kernelIllLb1ELi2ELb0EEEvNS_4cuda6detail10TensorInfoIT_T0_EENS4_IKS5_S6_EEllS6_
		.amdhsa_group_segment_fixed_size 0
		.amdhsa_private_segment_fixed_size 0
		.amdhsa_kernarg_size 1112
		.amdhsa_user_sgpr_count 6
		.amdhsa_user_sgpr_private_segment_buffer 1
		.amdhsa_user_sgpr_dispatch_ptr 0
		.amdhsa_user_sgpr_queue_ptr 0
		.amdhsa_user_sgpr_kernarg_segment_ptr 1
		.amdhsa_user_sgpr_dispatch_id 0
		.amdhsa_user_sgpr_flat_scratch_init 0
		.amdhsa_user_sgpr_kernarg_preload_length 0
		.amdhsa_user_sgpr_kernarg_preload_offset 0
		.amdhsa_user_sgpr_private_segment_size 0
		.amdhsa_uses_dynamic_stack 0
		.amdhsa_system_sgpr_private_segment_wavefront_offset 0
		.amdhsa_system_sgpr_workgroup_id_x 1
		.amdhsa_system_sgpr_workgroup_id_y 0
		.amdhsa_system_sgpr_workgroup_id_z 0
		.amdhsa_system_sgpr_workgroup_info 0
		.amdhsa_system_vgpr_workitem_id 0
		.amdhsa_next_free_vgpr 25
		.amdhsa_next_free_sgpr 51
		.amdhsa_accum_offset 28
		.amdhsa_reserve_vcc 1
		.amdhsa_reserve_flat_scratch 0
		.amdhsa_float_round_mode_32 0
		.amdhsa_float_round_mode_16_64 0
		.amdhsa_float_denorm_mode_32 3
		.amdhsa_float_denorm_mode_16_64 3
		.amdhsa_dx10_clamp 1
		.amdhsa_ieee_mode 1
		.amdhsa_fp16_overflow 0
		.amdhsa_tg_split 0
		.amdhsa_exception_fp_ieee_invalid_op 0
		.amdhsa_exception_fp_denorm_src 0
		.amdhsa_exception_fp_ieee_div_zero 0
		.amdhsa_exception_fp_ieee_overflow 0
		.amdhsa_exception_fp_ieee_underflow 0
		.amdhsa_exception_fp_ieee_inexact 0
		.amdhsa_exception_int_div_zero 0
	.end_amdhsa_kernel
	.section	.text._ZN2at6native16triu_tril_kernelIllLb1ELi2ELb0EEEvNS_4cuda6detail10TensorInfoIT_T0_EENS4_IKS5_S6_EEllS6_,"axG",@progbits,_ZN2at6native16triu_tril_kernelIllLb1ELi2ELb0EEEvNS_4cuda6detail10TensorInfoIT_T0_EENS4_IKS5_S6_EEllS6_,comdat
.Lfunc_end67:
	.size	_ZN2at6native16triu_tril_kernelIllLb1ELi2ELb0EEEvNS_4cuda6detail10TensorInfoIT_T0_EENS4_IKS5_S6_EEllS6_, .Lfunc_end67-_ZN2at6native16triu_tril_kernelIllLb1ELi2ELb0EEEvNS_4cuda6detail10TensorInfoIT_T0_EENS4_IKS5_S6_EEllS6_
                                        ; -- End function
	.section	.AMDGPU.csdata,"",@progbits
; Kernel info:
; codeLenInByte = 3440
; NumSgprs: 55
; NumVgprs: 25
; NumAgprs: 0
; TotalNumVgprs: 25
; ScratchSize: 0
; MemoryBound: 0
; FloatMode: 240
; IeeeMode: 1
; LDSByteSize: 0 bytes/workgroup (compile time only)
; SGPRBlocks: 6
; VGPRBlocks: 3
; NumSGPRsForWavesPerEU: 55
; NumVGPRsForWavesPerEU: 25
; AccumOffset: 28
; Occupancy: 8
; WaveLimiterHint : 0
; COMPUTE_PGM_RSRC2:SCRATCH_EN: 0
; COMPUTE_PGM_RSRC2:USER_SGPR: 6
; COMPUTE_PGM_RSRC2:TRAP_HANDLER: 0
; COMPUTE_PGM_RSRC2:TGID_X_EN: 1
; COMPUTE_PGM_RSRC2:TGID_Y_EN: 0
; COMPUTE_PGM_RSRC2:TGID_Z_EN: 0
; COMPUTE_PGM_RSRC2:TIDIG_COMP_CNT: 0
; COMPUTE_PGM_RSRC3_GFX90A:ACCUM_OFFSET: 6
; COMPUTE_PGM_RSRC3_GFX90A:TG_SPLIT: 0
	.section	.text._ZN2at6native16triu_tril_kernelIsiLb1ELi4ELb1EEEvNS_4cuda6detail10TensorInfoIT_T0_EENS4_IKS5_S6_EEllS6_,"axG",@progbits,_ZN2at6native16triu_tril_kernelIsiLb1ELi4ELb1EEEvNS_4cuda6detail10TensorInfoIT_T0_EENS4_IKS5_S6_EEllS6_,comdat
	.protected	_ZN2at6native16triu_tril_kernelIsiLb1ELi4ELb1EEEvNS_4cuda6detail10TensorInfoIT_T0_EENS4_IKS5_S6_EEllS6_ ; -- Begin function _ZN2at6native16triu_tril_kernelIsiLb1ELi4ELb1EEEvNS_4cuda6detail10TensorInfoIT_T0_EENS4_IKS5_S6_EEllS6_
	.globl	_ZN2at6native16triu_tril_kernelIsiLb1ELi4ELb1EEEvNS_4cuda6detail10TensorInfoIT_T0_EENS4_IKS5_S6_EEllS6_
	.p2align	8
	.type	_ZN2at6native16triu_tril_kernelIsiLb1ELi4ELb1EEEvNS_4cuda6detail10TensorInfoIT_T0_EENS4_IKS5_S6_EEllS6_,@function
_ZN2at6native16triu_tril_kernelIsiLb1ELi4ELb1EEEvNS_4cuda6detail10TensorInfoIT_T0_EENS4_IKS5_S6_EEllS6_: ; @_ZN2at6native16triu_tril_kernelIsiLb1ELi4ELb1EEEvNS_4cuda6detail10TensorInfoIT_T0_EENS4_IKS5_S6_EEllS6_
; %bb.0:
	s_load_dword s2, s[4:5], 0x1d4
	s_load_dwordx4 s[8:11], s[4:5], 0x1b0
	s_add_u32 s0, s4, 0x1c8
	v_mov_b32_e32 v2, 0
	s_addc_u32 s1, s5, 0
	s_waitcnt lgkmcnt(0)
	s_and_b32 s7, s2, 0xffff
	v_mov_b32_e32 v1, v2
	v_mov_b32_e32 v3, s6
	v_mad_u64_u32 v[0:1], s[2:3], s7, v3, v[0:1]
	v_lshlrev_b64 v[0:1], 2, v[0:1]
	v_cmp_gt_i64_e32 vcc, s[10:11], v[0:1]
	s_and_saveexec_b64 s[2:3], vcc
	s_cbranch_execz .LBB68_67
; %bb.1:
	s_load_dword s33, s[4:5], 0x1c0
	s_load_dword s14, s[4:5], 0x1a8
	;; [unrolled: 1-line block ×3, first 2 shown]
	s_load_dwordx2 s[2:3], s[4:5], 0x0
	s_mov_b64 s[22:23], 0
	s_waitcnt lgkmcnt(0)
	s_ashr_i32 s38, s33, 31
	s_ashr_i32 s15, s14, 31
	s_add_u32 s39, s4, 0xe0
	s_addc_u32 s40, s5, 0
	s_add_i32 s0, s14, -2
	s_ashr_i32 s1, s0, 31
	s_lshl_b64 s[12:13], s[0:1], 2
	s_add_u32 s16, s39, s12
	s_addc_u32 s17, s40, s13
	s_load_dword s41, s[16:17], 0x0
	s_lshl_b64 s[16:17], s[14:15], 2
	s_mul_i32 s1, s6, s7
	v_cmp_gt_i64_e64 s[6:7], s[14:15], 2
	v_cvt_f32_u32_e32 v3, s33
	s_waitcnt lgkmcnt(0)
	s_ashr_i32 s42, s41, 31
	s_add_u32 s15, s16, -4
	s_addc_u32 s16, s17, -1
	s_add_u32 s43, s4, 0x6c
	s_addc_u32 s44, s5, 0
	s_add_u32 s4, s43, s15
	v_rcp_iflag_f32_e32 v3, v3
	s_addc_u32 s5, s44, s16
	s_add_u32 s12, s43, s12
	s_addc_u32 s13, s44, s13
	s_add_i32 s45, s14, -3
	s_add_u32 s14, s39, s15
	v_mul_f32_e32 v3, 0x4f7ffffe, v3
	s_addc_u32 s15, s40, s16
	s_lshl_b32 s46, s1, 2
	s_and_b32 s48, s0, 7
	v_cvt_u32_f32_e32 v24, v3
	s_cmp_lg_u32 s48, 0
	s_mov_b32 s17, 0
	s_cselect_b64 s[18:19], -1, 0
	s_cmp_gt_u32 s45, 6
	s_mov_b32 s47, s17
	s_cselect_b64 s[20:21], -1, 0
	s_branch .LBB68_3
.LBB68_2:                               ;   in Loop: Header=BB68_3 Depth=1
	s_or_b64 exec, exec, s[24:25]
	v_mov_b32_e32 v3, s47
	v_add_co_u32_e32 v0, vcc, s46, v0
	v_addc_co_u32_e32 v1, vcc, v1, v3, vcc
	v_cmp_le_i64_e32 vcc, s[10:11], v[0:1]
	s_or_b64 s[22:23], vcc, s[22:23]
	s_andn2_b64 exec, exec, s[22:23]
	s_cbranch_execz .LBB68_67
.LBB68_3:                               ; =>This Loop Header: Depth=1
                                        ;     Child Loop BB68_16 Depth 2
                                        ;     Child Loop BB68_23 Depth 2
	v_or_b32_e32 v3, s38, v1
	v_cmp_ne_u64_e32 vcc, 0, v[2:3]
                                        ; implicit-def: $vgpr4_vgpr5
	s_and_saveexec_b64 s[0:1], vcc
	s_xor_b64 s[24:25], exec, s[0:1]
	s_cbranch_execz .LBB68_5
; %bb.4:                                ;   in Loop: Header=BB68_3 Depth=1
	s_add_u32 s0, s33, s38
	s_mov_b32 s26, s38
	s_mov_b32 s27, s38
	s_addc_u32 s1, s38, s38
	s_xor_b64 s[28:29], s[0:1], s[26:27]
	v_cvt_f32_u32_e32 v3, s28
	v_cvt_f32_u32_e32 v4, s29
	s_sub_u32 s0, 0, s28
	s_subb_u32 s1, 0, s29
	v_mac_f32_e32 v3, 0x4f800000, v4
	v_rcp_f32_e32 v3, v3
	v_mul_f32_e32 v3, 0x5f7ffffc, v3
	v_mul_f32_e32 v4, 0x2f800000, v3
	v_trunc_f32_e32 v4, v4
	v_mac_f32_e32 v3, 0xcf800000, v4
	v_cvt_u32_f32_e32 v4, v4
	v_cvt_u32_f32_e32 v3, v3
	v_mul_lo_u32 v5, s0, v4
	v_mul_hi_u32 v7, s0, v3
	v_mul_lo_u32 v6, s1, v3
	v_add_u32_e32 v5, v7, v5
	v_mul_lo_u32 v8, s0, v3
	v_add_u32_e32 v5, v5, v6
	v_mul_lo_u32 v7, v3, v5
	v_mul_hi_u32 v9, v3, v8
	v_mul_hi_u32 v6, v3, v5
	v_add_co_u32_e32 v7, vcc, v9, v7
	v_addc_co_u32_e32 v6, vcc, 0, v6, vcc
	v_mul_hi_u32 v10, v4, v8
	v_mul_lo_u32 v8, v4, v8
	v_add_co_u32_e32 v7, vcc, v7, v8
	v_mul_hi_u32 v9, v4, v5
	v_addc_co_u32_e32 v6, vcc, v6, v10, vcc
	v_addc_co_u32_e32 v7, vcc, 0, v9, vcc
	v_mul_lo_u32 v5, v4, v5
	v_add_co_u32_e32 v5, vcc, v6, v5
	v_addc_co_u32_e32 v6, vcc, 0, v7, vcc
	v_add_co_u32_e32 v3, vcc, v3, v5
	v_addc_co_u32_e32 v4, vcc, v4, v6, vcc
	v_mul_lo_u32 v5, s0, v4
	v_mul_hi_u32 v6, s0, v3
	v_add_u32_e32 v5, v6, v5
	v_mul_lo_u32 v6, s1, v3
	v_add_u32_e32 v5, v5, v6
	v_mul_lo_u32 v7, s0, v3
	v_mul_hi_u32 v8, v4, v7
	v_mul_lo_u32 v9, v4, v7
	v_mul_lo_u32 v11, v3, v5
	v_mul_hi_u32 v7, v3, v7
	v_mul_hi_u32 v10, v3, v5
	v_add_co_u32_e32 v7, vcc, v7, v11
	v_addc_co_u32_e32 v10, vcc, 0, v10, vcc
	v_add_co_u32_e32 v7, vcc, v7, v9
	v_mul_hi_u32 v6, v4, v5
	v_addc_co_u32_e32 v7, vcc, v10, v8, vcc
	v_addc_co_u32_e32 v6, vcc, 0, v6, vcc
	v_mul_lo_u32 v5, v4, v5
	v_add_co_u32_e32 v5, vcc, v7, v5
	v_addc_co_u32_e32 v6, vcc, 0, v6, vcc
	v_add_co_u32_e32 v3, vcc, v3, v5
	v_addc_co_u32_e32 v6, vcc, v4, v6, vcc
	v_ashrrev_i32_e32 v8, 31, v1
	v_add_co_u32_e32 v4, vcc, v0, v8
	v_addc_co_u32_e32 v5, vcc, v1, v8, vcc
	v_xor_b32_e32 v10, v4, v8
	v_xor_b32_e32 v9, v5, v8
	v_mad_u64_u32 v[4:5], s[0:1], v10, v6, 0
	v_mul_hi_u32 v7, v10, v3
	v_add_co_u32_e32 v11, vcc, v7, v4
	v_addc_co_u32_e32 v12, vcc, 0, v5, vcc
	v_mad_u64_u32 v[4:5], s[0:1], v9, v6, 0
	v_mad_u64_u32 v[6:7], s[0:1], v9, v3, 0
	v_add_co_u32_e32 v3, vcc, v11, v6
	v_addc_co_u32_e32 v3, vcc, v12, v7, vcc
	v_addc_co_u32_e32 v5, vcc, 0, v5, vcc
	v_add_co_u32_e32 v3, vcc, v3, v4
	v_addc_co_u32_e32 v6, vcc, 0, v5, vcc
	v_mul_lo_u32 v7, s29, v3
	v_mul_lo_u32 v11, s28, v6
	v_mad_u64_u32 v[4:5], s[0:1], s28, v3, 0
	v_add3_u32 v5, v5, v11, v7
	v_sub_u32_e32 v7, v9, v5
	v_mov_b32_e32 v11, s29
	v_sub_co_u32_e32 v4, vcc, v10, v4
	v_subb_co_u32_e64 v7, s[0:1], v7, v11, vcc
	v_subrev_co_u32_e64 v10, s[0:1], s28, v4
	v_subbrev_co_u32_e64 v7, s[0:1], 0, v7, s[0:1]
	v_cmp_le_u32_e64 s[0:1], s29, v7
	v_cndmask_b32_e64 v11, 0, -1, s[0:1]
	v_cmp_le_u32_e64 s[0:1], s28, v10
	v_cndmask_b32_e64 v10, 0, -1, s[0:1]
	v_cmp_eq_u32_e64 s[0:1], s29, v7
	v_cndmask_b32_e64 v7, v11, v10, s[0:1]
	v_add_co_u32_e64 v10, s[0:1], 2, v3
	v_subb_co_u32_e32 v5, vcc, v9, v5, vcc
	v_addc_co_u32_e64 v11, s[0:1], 0, v6, s[0:1]
	v_cmp_le_u32_e32 vcc, s29, v5
	v_add_co_u32_e64 v12, s[0:1], 1, v3
	v_cndmask_b32_e64 v9, 0, -1, vcc
	v_cmp_le_u32_e32 vcc, s28, v4
	v_addc_co_u32_e64 v13, s[0:1], 0, v6, s[0:1]
	v_cndmask_b32_e64 v4, 0, -1, vcc
	v_cmp_eq_u32_e32 vcc, s29, v5
	v_cmp_ne_u32_e64 s[0:1], 0, v7
	v_cndmask_b32_e32 v4, v9, v4, vcc
	v_cndmask_b32_e64 v7, v13, v11, s[0:1]
	v_cmp_ne_u32_e32 vcc, 0, v4
	v_cndmask_b32_e64 v5, v12, v10, s[0:1]
	v_cndmask_b32_e32 v4, v6, v7, vcc
	v_cndmask_b32_e32 v3, v3, v5, vcc
	v_xor_b32_e32 v6, s26, v8
	v_xor_b32_e32 v5, s27, v8
	v_xor_b32_e32 v3, v3, v6
	v_xor_b32_e32 v7, v4, v5
	v_sub_co_u32_e32 v4, vcc, v3, v6
	v_subb_co_u32_e32 v5, vcc, v7, v5, vcc
.LBB68_5:                               ;   in Loop: Header=BB68_3 Depth=1
	s_andn2_saveexec_b64 s[0:1], s[24:25]
	s_cbranch_execz .LBB68_7
; %bb.6:                                ;   in Loop: Header=BB68_3 Depth=1
	s_sub_i32 s16, 0, s33
	v_mul_lo_u32 v3, s16, v24
	v_mul_hi_u32 v3, v24, v3
	v_add_u32_e32 v3, v24, v3
	v_mul_hi_u32 v3, v0, v3
	v_mul_lo_u32 v4, v3, s33
	v_sub_u32_e32 v4, v0, v4
	v_subrev_u32_e32 v5, s33, v4
	v_cmp_le_u32_e32 vcc, s33, v4
	v_cndmask_b32_e32 v4, v4, v5, vcc
	v_add_u32_e32 v5, 1, v3
	v_cndmask_b32_e32 v3, v3, v5, vcc
	v_add_u32_e32 v5, 1, v3
	v_cmp_le_u32_e32 vcc, s33, v4
	v_cndmask_b32_e32 v4, v3, v5, vcc
	v_mov_b32_e32 v5, v2
.LBB68_7:                               ;   in Loop: Header=BB68_3 Depth=1
	s_or_b64 exec, exec, s[0:1]
	v_or_b32_e32 v3, s42, v5
	v_cmp_ne_u64_e32 vcc, 0, v[2:3]
                                        ; implicit-def: $vgpr6_vgpr7
	s_and_saveexec_b64 s[0:1], vcc
	s_xor_b64 s[24:25], exec, s[0:1]
	s_cbranch_execz .LBB68_9
; %bb.8:                                ;   in Loop: Header=BB68_3 Depth=1
	s_add_u32 s0, s41, s42
	s_mov_b32 s26, s42
	s_mov_b32 s27, s42
	s_addc_u32 s1, s42, s42
	s_xor_b64 s[28:29], s[0:1], s[26:27]
	v_cvt_f32_u32_e32 v3, s28
	v_cvt_f32_u32_e32 v6, s29
	s_sub_u32 s0, 0, s28
	s_subb_u32 s1, 0, s29
	v_mac_f32_e32 v3, 0x4f800000, v6
	v_rcp_f32_e32 v3, v3
	v_mul_f32_e32 v3, 0x5f7ffffc, v3
	v_mul_f32_e32 v6, 0x2f800000, v3
	v_trunc_f32_e32 v6, v6
	v_mac_f32_e32 v3, 0xcf800000, v6
	v_cvt_u32_f32_e32 v6, v6
	v_cvt_u32_f32_e32 v3, v3
	v_mul_lo_u32 v7, s0, v6
	v_mul_hi_u32 v9, s0, v3
	v_mul_lo_u32 v8, s1, v3
	v_add_u32_e32 v7, v9, v7
	v_mul_lo_u32 v10, s0, v3
	v_add_u32_e32 v7, v7, v8
	v_mul_lo_u32 v9, v3, v7
	v_mul_hi_u32 v11, v3, v10
	v_mul_hi_u32 v8, v3, v7
	v_add_co_u32_e32 v9, vcc, v11, v9
	v_addc_co_u32_e32 v8, vcc, 0, v8, vcc
	v_mul_hi_u32 v12, v6, v10
	v_mul_lo_u32 v10, v6, v10
	v_add_co_u32_e32 v9, vcc, v9, v10
	v_mul_hi_u32 v11, v6, v7
	v_addc_co_u32_e32 v8, vcc, v8, v12, vcc
	v_addc_co_u32_e32 v9, vcc, 0, v11, vcc
	v_mul_lo_u32 v7, v6, v7
	v_add_co_u32_e32 v7, vcc, v8, v7
	v_addc_co_u32_e32 v8, vcc, 0, v9, vcc
	v_add_co_u32_e32 v3, vcc, v3, v7
	v_addc_co_u32_e32 v6, vcc, v6, v8, vcc
	v_mul_lo_u32 v7, s0, v6
	v_mul_hi_u32 v8, s0, v3
	v_add_u32_e32 v7, v8, v7
	v_mul_lo_u32 v8, s1, v3
	v_add_u32_e32 v7, v7, v8
	v_mul_lo_u32 v9, s0, v3
	v_mul_hi_u32 v10, v6, v9
	v_mul_lo_u32 v11, v6, v9
	v_mul_lo_u32 v13, v3, v7
	v_mul_hi_u32 v9, v3, v9
	v_mul_hi_u32 v12, v3, v7
	v_add_co_u32_e32 v9, vcc, v9, v13
	v_addc_co_u32_e32 v12, vcc, 0, v12, vcc
	v_add_co_u32_e32 v9, vcc, v9, v11
	v_mul_hi_u32 v8, v6, v7
	v_addc_co_u32_e32 v9, vcc, v12, v10, vcc
	v_addc_co_u32_e32 v8, vcc, 0, v8, vcc
	v_mul_lo_u32 v7, v6, v7
	v_add_co_u32_e32 v7, vcc, v9, v7
	v_addc_co_u32_e32 v8, vcc, 0, v8, vcc
	v_add_co_u32_e32 v3, vcc, v3, v7
	v_addc_co_u32_e32 v8, vcc, v6, v8, vcc
	v_ashrrev_i32_e32 v10, 31, v5
	v_add_co_u32_e32 v6, vcc, v4, v10
	v_xor_b32_e32 v11, v6, v10
	v_addc_co_u32_e32 v5, vcc, v5, v10, vcc
	v_mad_u64_u32 v[6:7], s[0:1], v11, v8, 0
	v_mul_hi_u32 v9, v11, v3
	v_xor_b32_e32 v5, v5, v10
	v_add_co_u32_e32 v12, vcc, v9, v6
	v_addc_co_u32_e32 v13, vcc, 0, v7, vcc
	v_mad_u64_u32 v[6:7], s[0:1], v5, v8, 0
	v_mad_u64_u32 v[8:9], s[0:1], v5, v3, 0
	v_add_co_u32_e32 v3, vcc, v12, v8
	v_addc_co_u32_e32 v3, vcc, v13, v9, vcc
	v_addc_co_u32_e32 v7, vcc, 0, v7, vcc
	v_add_co_u32_e32 v3, vcc, v3, v6
	v_addc_co_u32_e32 v8, vcc, 0, v7, vcc
	v_mul_lo_u32 v9, s29, v3
	v_mul_lo_u32 v12, s28, v8
	v_mad_u64_u32 v[6:7], s[0:1], s28, v3, 0
	v_add3_u32 v7, v7, v12, v9
	v_sub_u32_e32 v9, v5, v7
	v_mov_b32_e32 v12, s29
	v_sub_co_u32_e32 v6, vcc, v11, v6
	v_subb_co_u32_e64 v9, s[0:1], v9, v12, vcc
	v_subrev_co_u32_e64 v11, s[0:1], s28, v6
	v_subbrev_co_u32_e64 v9, s[0:1], 0, v9, s[0:1]
	v_cmp_le_u32_e64 s[0:1], s29, v9
	v_cndmask_b32_e64 v12, 0, -1, s[0:1]
	v_cmp_le_u32_e64 s[0:1], s28, v11
	v_cndmask_b32_e64 v11, 0, -1, s[0:1]
	v_cmp_eq_u32_e64 s[0:1], s29, v9
	v_cndmask_b32_e64 v9, v12, v11, s[0:1]
	v_add_co_u32_e64 v11, s[0:1], 2, v3
	v_subb_co_u32_e32 v5, vcc, v5, v7, vcc
	v_addc_co_u32_e64 v12, s[0:1], 0, v8, s[0:1]
	v_cmp_le_u32_e32 vcc, s29, v5
	v_add_co_u32_e64 v13, s[0:1], 1, v3
	v_cndmask_b32_e64 v7, 0, -1, vcc
	v_cmp_le_u32_e32 vcc, s28, v6
	v_addc_co_u32_e64 v14, s[0:1], 0, v8, s[0:1]
	v_cndmask_b32_e64 v6, 0, -1, vcc
	v_cmp_eq_u32_e32 vcc, s29, v5
	v_cmp_ne_u32_e64 s[0:1], 0, v9
	v_cndmask_b32_e32 v5, v7, v6, vcc
	v_cmp_ne_u32_e32 vcc, 0, v5
	v_cndmask_b32_e64 v6, v13, v11, s[0:1]
	v_cndmask_b32_e64 v9, v14, v12, s[0:1]
	v_cndmask_b32_e32 v3, v3, v6, vcc
	v_xor_b32_e32 v6, s26, v10
	v_cndmask_b32_e32 v5, v8, v9, vcc
	v_xor_b32_e32 v7, s27, v10
	v_xor_b32_e32 v3, v3, v6
	;; [unrolled: 1-line block ×3, first 2 shown]
	v_sub_co_u32_e32 v6, vcc, v3, v6
	v_subb_co_u32_e32 v7, vcc, v5, v7, vcc
.LBB68_9:                               ;   in Loop: Header=BB68_3 Depth=1
	s_andn2_saveexec_b64 s[0:1], s[24:25]
	s_cbranch_execz .LBB68_11
; %bb.10:                               ;   in Loop: Header=BB68_3 Depth=1
	v_cvt_f32_u32_e32 v3, s41
	s_sub_i32 s16, 0, s41
	v_rcp_iflag_f32_e32 v3, v3
	v_mul_f32_e32 v3, 0x4f7ffffe, v3
	v_cvt_u32_f32_e32 v3, v3
	v_mul_lo_u32 v5, s16, v3
	v_mul_hi_u32 v5, v3, v5
	v_add_u32_e32 v3, v3, v5
	v_mul_hi_u32 v3, v4, v3
	v_mul_lo_u32 v5, v3, s41
	v_sub_u32_e32 v5, v4, v5
	v_add_u32_e32 v6, 1, v3
	v_subrev_u32_e32 v7, s41, v5
	v_cmp_le_u32_e32 vcc, s41, v5
	v_cndmask_b32_e32 v5, v5, v7, vcc
	v_cndmask_b32_e32 v3, v3, v6, vcc
	v_add_u32_e32 v6, 1, v3
	v_cmp_le_u32_e32 vcc, s41, v5
	v_cndmask_b32_e32 v6, v3, v6, vcc
	v_mov_b32_e32 v7, v2
.LBB68_11:                              ;   in Loop: Header=BB68_3 Depth=1
	s_or_b64 exec, exec, s[0:1]
	v_mad_u64_u32 v[8:9], s[0:1], v4, s33, 0
	v_sub_co_u32_e32 v26, vcc, v0, v8
	v_mad_u64_u32 v[8:9], s[0:1], v6, s41, 0
	v_sub_co_u32_e32 v25, vcc, v4, v8
	v_sub_u32_e32 v4, v26, v25
	v_ashrrev_i32_e32 v5, 31, v4
	v_cmp_gt_i64_e32 vcc, s[8:9], v[4:5]
	s_and_saveexec_b64 s[24:25], vcc
	s_cbranch_execz .LBB68_2
; %bb.12:                               ;   in Loop: Header=BB68_3 Depth=1
	s_load_dword s49, s[4:5], 0x0
	s_load_dword s0, s[12:13], 0x0
	s_andn2_b64 vcc, exec, s[6:7]
	s_waitcnt lgkmcnt(0)
	v_mul_lo_u32 v4, s49, v26
	v_mad_u64_u32 v[4:5], s[0:1], s0, v25, v[4:5]
	s_cbranch_vccnz .LBB68_57
; %bb.13:                               ;   in Loop: Header=BB68_3 Depth=1
	s_andn2_b64 vcc, exec, s[18:19]
	s_cbranch_vccnz .LBB68_20
; %bb.14:                               ;   in Loop: Header=BB68_3 Depth=1
	s_mov_b32 s36, s48
	s_mov_b32 s16, s45
	s_branch .LBB68_16
.LBB68_15:                              ;   in Loop: Header=BB68_16 Depth=2
	s_or_b64 exec, exec, s[0:1]
	s_add_u32 s0, s43, s26
	s_addc_u32 s1, s44, s27
	s_load_dword s0, s[0:1], 0x0
	v_mul_lo_u32 v3, v6, s37
	v_sub_u32_e32 v3, v8, v3
	s_add_i32 s16, s16, -1
	s_add_i32 s36, s36, -1
	s_cmp_lg_u32 s36, 0
	s_waitcnt lgkmcnt(0)
	v_mad_u64_u32 v[4:5], s[0:1], s0, v3, v[4:5]
	s_cbranch_scc0 .LBB68_21
.LBB68_16:                              ;   Parent Loop BB68_3 Depth=1
                                        ; =>  This Inner Loop Header: Depth=2
	s_lshl_b64 s[26:27], s[16:17], 2
	s_add_u32 s0, s39, s26
	s_addc_u32 s1, s40, s27
	s_load_dword s37, s[0:1], 0x0
	v_pk_mov_b32 v[8:9], v[6:7], v[6:7] op_sel:[0,1]
                                        ; implicit-def: $vgpr6_vgpr7
	s_waitcnt lgkmcnt(0)
	s_ashr_i32 s0, s37, 31
	v_or_b32_e32 v3, s0, v9
	v_cmp_ne_u64_e32 vcc, 0, v[2:3]
	s_and_saveexec_b64 s[28:29], vcc
	s_xor_b64 s[28:29], exec, s[28:29]
	s_cbranch_execz .LBB68_18
; %bb.17:                               ;   in Loop: Header=BB68_16 Depth=2
	s_add_u32 s34, s37, s0
	s_mov_b32 s30, s0
	s_mov_b32 s31, s0
	s_addc_u32 s35, s0, s0
	s_xor_b64 s[34:35], s[34:35], s[30:31]
	v_cvt_f32_u32_e32 v3, s34
	v_cvt_f32_u32_e32 v5, s35
	s_sub_u32 s0, 0, s34
	s_subb_u32 s1, 0, s35
	v_mac_f32_e32 v3, 0x4f800000, v5
	v_rcp_f32_e32 v3, v3
	v_mul_f32_e32 v3, 0x5f7ffffc, v3
	v_mul_f32_e32 v5, 0x2f800000, v3
	v_trunc_f32_e32 v5, v5
	v_mac_f32_e32 v3, 0xcf800000, v5
	v_cvt_u32_f32_e32 v5, v5
	v_cvt_u32_f32_e32 v3, v3
	v_mul_lo_u32 v6, s0, v5
	v_mul_hi_u32 v10, s0, v3
	v_mul_lo_u32 v7, s1, v3
	v_add_u32_e32 v6, v10, v6
	v_mul_lo_u32 v11, s0, v3
	v_add_u32_e32 v6, v6, v7
	v_mul_lo_u32 v10, v3, v6
	v_mul_hi_u32 v12, v3, v11
	v_mul_hi_u32 v7, v3, v6
	v_add_co_u32_e32 v10, vcc, v12, v10
	v_addc_co_u32_e32 v7, vcc, 0, v7, vcc
	v_mul_hi_u32 v13, v5, v11
	v_mul_lo_u32 v11, v5, v11
	v_add_co_u32_e32 v10, vcc, v10, v11
	v_mul_hi_u32 v12, v5, v6
	v_addc_co_u32_e32 v7, vcc, v7, v13, vcc
	v_addc_co_u32_e32 v10, vcc, 0, v12, vcc
	v_mul_lo_u32 v6, v5, v6
	v_add_co_u32_e32 v6, vcc, v7, v6
	v_addc_co_u32_e32 v7, vcc, 0, v10, vcc
	v_add_co_u32_e32 v3, vcc, v3, v6
	v_addc_co_u32_e32 v5, vcc, v5, v7, vcc
	v_mul_lo_u32 v6, s0, v5
	v_mul_hi_u32 v7, s0, v3
	v_add_u32_e32 v6, v7, v6
	v_mul_lo_u32 v7, s1, v3
	v_add_u32_e32 v6, v6, v7
	v_mul_lo_u32 v10, s0, v3
	v_mul_hi_u32 v11, v5, v10
	v_mul_lo_u32 v12, v5, v10
	v_mul_lo_u32 v14, v3, v6
	v_mul_hi_u32 v10, v3, v10
	v_mul_hi_u32 v13, v3, v6
	v_add_co_u32_e32 v10, vcc, v10, v14
	v_addc_co_u32_e32 v13, vcc, 0, v13, vcc
	v_add_co_u32_e32 v10, vcc, v10, v12
	v_mul_hi_u32 v7, v5, v6
	v_addc_co_u32_e32 v10, vcc, v13, v11, vcc
	v_addc_co_u32_e32 v7, vcc, 0, v7, vcc
	v_mul_lo_u32 v6, v5, v6
	v_add_co_u32_e32 v6, vcc, v10, v6
	v_addc_co_u32_e32 v7, vcc, 0, v7, vcc
	v_add_co_u32_e32 v3, vcc, v3, v6
	v_addc_co_u32_e32 v5, vcc, v5, v7, vcc
	v_ashrrev_i32_e32 v12, 31, v9
	v_add_co_u32_e32 v6, vcc, v8, v12
	v_addc_co_u32_e32 v7, vcc, v9, v12, vcc
	v_xor_b32_e32 v13, v6, v12
	v_xor_b32_e32 v9, v7, v12
	v_mad_u64_u32 v[6:7], s[0:1], v13, v5, 0
	v_mul_hi_u32 v10, v13, v3
	v_add_co_u32_e32 v14, vcc, v10, v6
	v_addc_co_u32_e32 v15, vcc, 0, v7, vcc
	v_mad_u64_u32 v[10:11], s[0:1], v9, v3, 0
	v_add_co_u32_e32 v3, vcc, v14, v10
	v_mad_u64_u32 v[6:7], s[0:1], v9, v5, 0
	v_addc_co_u32_e32 v3, vcc, v15, v11, vcc
	v_addc_co_u32_e32 v5, vcc, 0, v7, vcc
	v_add_co_u32_e32 v3, vcc, v3, v6
	v_addc_co_u32_e32 v5, vcc, 0, v5, vcc
	v_mul_lo_u32 v10, s35, v3
	v_mul_lo_u32 v11, s34, v5
	v_mad_u64_u32 v[6:7], s[0:1], s34, v3, 0
	v_add3_u32 v7, v7, v11, v10
	v_sub_u32_e32 v10, v9, v7
	v_mov_b32_e32 v11, s35
	v_sub_co_u32_e32 v6, vcc, v13, v6
	v_subb_co_u32_e64 v10, s[0:1], v10, v11, vcc
	v_subrev_co_u32_e64 v11, s[0:1], s34, v6
	v_subbrev_co_u32_e64 v10, s[0:1], 0, v10, s[0:1]
	v_cmp_le_u32_e64 s[0:1], s35, v10
	v_cndmask_b32_e64 v13, 0, -1, s[0:1]
	v_cmp_le_u32_e64 s[0:1], s34, v11
	v_cndmask_b32_e64 v11, 0, -1, s[0:1]
	v_cmp_eq_u32_e64 s[0:1], s35, v10
	v_cndmask_b32_e64 v10, v13, v11, s[0:1]
	v_add_co_u32_e64 v11, s[0:1], 2, v3
	v_subb_co_u32_e32 v7, vcc, v9, v7, vcc
	v_addc_co_u32_e64 v13, s[0:1], 0, v5, s[0:1]
	v_cmp_le_u32_e32 vcc, s35, v7
	v_add_co_u32_e64 v14, s[0:1], 1, v3
	v_cndmask_b32_e64 v9, 0, -1, vcc
	v_cmp_le_u32_e32 vcc, s34, v6
	v_addc_co_u32_e64 v15, s[0:1], 0, v5, s[0:1]
	v_cndmask_b32_e64 v6, 0, -1, vcc
	v_cmp_eq_u32_e32 vcc, s35, v7
	v_cmp_ne_u32_e64 s[0:1], 0, v10
	v_cndmask_b32_e32 v6, v9, v6, vcc
	v_cmp_ne_u32_e32 vcc, 0, v6
	v_cndmask_b32_e64 v6, v14, v11, s[0:1]
	v_cndmask_b32_e64 v10, v15, v13, s[0:1]
	v_cndmask_b32_e32 v3, v3, v6, vcc
	v_xor_b32_e32 v6, s30, v12
	v_cndmask_b32_e32 v5, v5, v10, vcc
	v_xor_b32_e32 v7, s31, v12
	v_xor_b32_e32 v3, v3, v6
	;; [unrolled: 1-line block ×3, first 2 shown]
	v_sub_co_u32_e32 v6, vcc, v3, v6
	v_subb_co_u32_e32 v7, vcc, v5, v7, vcc
.LBB68_18:                              ;   in Loop: Header=BB68_16 Depth=2
	s_andn2_saveexec_b64 s[0:1], s[28:29]
	s_cbranch_execz .LBB68_15
; %bb.19:                               ;   in Loop: Header=BB68_16 Depth=2
	v_cvt_f32_u32_e32 v3, s37
	s_sub_i32 s28, 0, s37
	v_rcp_iflag_f32_e32 v3, v3
	v_mul_f32_e32 v3, 0x4f7ffffe, v3
	v_cvt_u32_f32_e32 v3, v3
	v_mul_lo_u32 v5, s28, v3
	v_mul_hi_u32 v5, v3, v5
	v_add_u32_e32 v3, v3, v5
	v_mul_hi_u32 v3, v8, v3
	v_mul_lo_u32 v5, v3, s37
	v_sub_u32_e32 v5, v8, v5
	v_add_u32_e32 v6, 1, v3
	v_subrev_u32_e32 v7, s37, v5
	v_cmp_le_u32_e32 vcc, s37, v5
	v_cndmask_b32_e32 v5, v5, v7, vcc
	v_cndmask_b32_e32 v3, v3, v6, vcc
	v_add_u32_e32 v6, 1, v3
	v_cmp_le_u32_e32 vcc, s37, v5
	v_cndmask_b32_e32 v6, v3, v6, vcc
	v_mov_b32_e32 v7, v2
	s_branch .LBB68_15
.LBB68_20:                              ;   in Loop: Header=BB68_3 Depth=1
	s_mov_b32 s16, s45
.LBB68_21:                              ;   in Loop: Header=BB68_3 Depth=1
	s_andn2_b64 vcc, exec, s[20:21]
	s_cbranch_vccnz .LBB68_57
; %bb.22:                               ;   in Loop: Header=BB68_3 Depth=1
	s_add_i32 s26, s16, -7
.LBB68_23:                              ;   Parent Loop BB68_3 Depth=1
                                        ; =>  This Inner Loop Header: Depth=2
	s_add_i32 s16, s26, 7
	s_lshl_b64 s[28:29], s[16:17], 2
	s_add_u32 s0, s39, s28
	s_addc_u32 s1, s40, s29
	s_load_dword s50, s[0:1], 0x0
                                        ; implicit-def: $vgpr8_vgpr9
	s_waitcnt lgkmcnt(0)
	s_ashr_i32 s0, s50, 31
	v_or_b32_e32 v3, s0, v7
	v_cmp_ne_u64_e32 vcc, 0, v[2:3]
	s_and_saveexec_b64 s[30:31], vcc
	s_xor_b64 s[30:31], exec, s[30:31]
	s_cbranch_execz .LBB68_25
; %bb.24:                               ;   in Loop: Header=BB68_23 Depth=2
	s_add_u32 s36, s50, s0
	s_mov_b32 s34, s0
	s_mov_b32 s35, s0
	s_addc_u32 s37, s0, s0
	s_xor_b64 s[36:37], s[36:37], s[34:35]
	v_cvt_f32_u32_e32 v3, s36
	v_cvt_f32_u32_e32 v5, s37
	s_sub_u32 s0, 0, s36
	s_subb_u32 s1, 0, s37
	v_mac_f32_e32 v3, 0x4f800000, v5
	v_rcp_f32_e32 v3, v3
	v_mul_f32_e32 v3, 0x5f7ffffc, v3
	v_mul_f32_e32 v5, 0x2f800000, v3
	v_trunc_f32_e32 v5, v5
	v_mac_f32_e32 v3, 0xcf800000, v5
	v_cvt_u32_f32_e32 v5, v5
	v_cvt_u32_f32_e32 v3, v3
	v_mul_lo_u32 v8, s0, v5
	v_mul_hi_u32 v10, s0, v3
	v_mul_lo_u32 v9, s1, v3
	v_add_u32_e32 v8, v10, v8
	v_mul_lo_u32 v11, s0, v3
	v_add_u32_e32 v8, v8, v9
	v_mul_lo_u32 v10, v3, v8
	v_mul_hi_u32 v12, v3, v11
	v_mul_hi_u32 v9, v3, v8
	v_add_co_u32_e32 v10, vcc, v12, v10
	v_addc_co_u32_e32 v9, vcc, 0, v9, vcc
	v_mul_hi_u32 v13, v5, v11
	v_mul_lo_u32 v11, v5, v11
	v_add_co_u32_e32 v10, vcc, v10, v11
	v_mul_hi_u32 v12, v5, v8
	v_addc_co_u32_e32 v9, vcc, v9, v13, vcc
	v_addc_co_u32_e32 v10, vcc, 0, v12, vcc
	v_mul_lo_u32 v8, v5, v8
	v_add_co_u32_e32 v8, vcc, v9, v8
	v_addc_co_u32_e32 v9, vcc, 0, v10, vcc
	v_add_co_u32_e32 v3, vcc, v3, v8
	v_addc_co_u32_e32 v5, vcc, v5, v9, vcc
	v_mul_lo_u32 v8, s0, v5
	v_mul_hi_u32 v9, s0, v3
	v_add_u32_e32 v8, v9, v8
	v_mul_lo_u32 v9, s1, v3
	v_add_u32_e32 v8, v8, v9
	v_mul_lo_u32 v10, s0, v3
	v_mul_hi_u32 v11, v5, v10
	v_mul_lo_u32 v12, v5, v10
	v_mul_lo_u32 v14, v3, v8
	v_mul_hi_u32 v10, v3, v10
	v_mul_hi_u32 v13, v3, v8
	v_add_co_u32_e32 v10, vcc, v10, v14
	v_addc_co_u32_e32 v13, vcc, 0, v13, vcc
	v_add_co_u32_e32 v10, vcc, v10, v12
	v_mul_hi_u32 v9, v5, v8
	v_addc_co_u32_e32 v10, vcc, v13, v11, vcc
	v_addc_co_u32_e32 v9, vcc, 0, v9, vcc
	v_mul_lo_u32 v8, v5, v8
	v_add_co_u32_e32 v8, vcc, v10, v8
	v_addc_co_u32_e32 v9, vcc, 0, v9, vcc
	v_add_co_u32_e32 v3, vcc, v3, v8
	v_addc_co_u32_e32 v5, vcc, v5, v9, vcc
	v_ashrrev_i32_e32 v12, 31, v7
	v_add_co_u32_e32 v8, vcc, v6, v12
	v_xor_b32_e32 v13, v8, v12
	v_addc_co_u32_e32 v7, vcc, v7, v12, vcc
	v_mad_u64_u32 v[8:9], s[0:1], v13, v5, 0
	v_mul_hi_u32 v10, v13, v3
	v_xor_b32_e32 v7, v7, v12
	v_add_co_u32_e32 v14, vcc, v10, v8
	v_addc_co_u32_e32 v15, vcc, 0, v9, vcc
	v_mad_u64_u32 v[10:11], s[0:1], v7, v3, 0
	v_add_co_u32_e32 v3, vcc, v14, v10
	v_mad_u64_u32 v[8:9], s[0:1], v7, v5, 0
	v_addc_co_u32_e32 v3, vcc, v15, v11, vcc
	v_addc_co_u32_e32 v5, vcc, 0, v9, vcc
	v_add_co_u32_e32 v3, vcc, v3, v8
	v_addc_co_u32_e32 v5, vcc, 0, v5, vcc
	v_mul_lo_u32 v10, s37, v3
	v_mul_lo_u32 v11, s36, v5
	v_mad_u64_u32 v[8:9], s[0:1], s36, v3, 0
	v_add3_u32 v9, v9, v11, v10
	v_sub_u32_e32 v10, v7, v9
	v_mov_b32_e32 v11, s37
	v_sub_co_u32_e32 v8, vcc, v13, v8
	v_subb_co_u32_e64 v10, s[0:1], v10, v11, vcc
	v_subrev_co_u32_e64 v11, s[0:1], s36, v8
	v_subbrev_co_u32_e64 v10, s[0:1], 0, v10, s[0:1]
	v_cmp_le_u32_e64 s[0:1], s37, v10
	v_cndmask_b32_e64 v13, 0, -1, s[0:1]
	v_cmp_le_u32_e64 s[0:1], s36, v11
	v_cndmask_b32_e64 v11, 0, -1, s[0:1]
	v_cmp_eq_u32_e64 s[0:1], s37, v10
	v_cndmask_b32_e64 v10, v13, v11, s[0:1]
	v_add_co_u32_e64 v11, s[0:1], 2, v3
	v_subb_co_u32_e32 v7, vcc, v7, v9, vcc
	v_addc_co_u32_e64 v13, s[0:1], 0, v5, s[0:1]
	v_cmp_le_u32_e32 vcc, s37, v7
	v_add_co_u32_e64 v14, s[0:1], 1, v3
	v_cndmask_b32_e64 v9, 0, -1, vcc
	v_cmp_le_u32_e32 vcc, s36, v8
	v_addc_co_u32_e64 v15, s[0:1], 0, v5, s[0:1]
	v_cndmask_b32_e64 v8, 0, -1, vcc
	v_cmp_eq_u32_e32 vcc, s37, v7
	v_cmp_ne_u32_e64 s[0:1], 0, v10
	v_cndmask_b32_e32 v7, v9, v8, vcc
	v_cmp_ne_u32_e32 vcc, 0, v7
	v_cndmask_b32_e64 v7, v14, v11, s[0:1]
	v_cndmask_b32_e64 v10, v15, v13, s[0:1]
	v_cndmask_b32_e32 v3, v3, v7, vcc
	v_xor_b32_e32 v8, s34, v12
	v_cndmask_b32_e32 v5, v5, v10, vcc
	v_xor_b32_e32 v7, s35, v12
	v_xor_b32_e32 v3, v3, v8
	;; [unrolled: 1-line block ×3, first 2 shown]
	v_sub_co_u32_e32 v8, vcc, v3, v8
	v_subb_co_u32_e32 v9, vcc, v5, v7, vcc
.LBB68_25:                              ;   in Loop: Header=BB68_23 Depth=2
	s_andn2_saveexec_b64 s[0:1], s[30:31]
	s_cbranch_execz .LBB68_27
; %bb.26:                               ;   in Loop: Header=BB68_23 Depth=2
	v_cvt_f32_u32_e32 v3, s50
	s_sub_i32 s16, 0, s50
	v_mov_b32_e32 v9, v2
	v_rcp_iflag_f32_e32 v3, v3
	v_mul_f32_e32 v3, 0x4f7ffffe, v3
	v_cvt_u32_f32_e32 v3, v3
	v_mul_lo_u32 v5, s16, v3
	v_mul_hi_u32 v5, v3, v5
	v_add_u32_e32 v3, v3, v5
	v_mul_hi_u32 v3, v6, v3
	v_mul_lo_u32 v5, v3, s50
	v_sub_u32_e32 v5, v6, v5
	v_add_u32_e32 v7, 1, v3
	v_subrev_u32_e32 v8, s50, v5
	v_cmp_le_u32_e32 vcc, s50, v5
	v_cndmask_b32_e32 v5, v5, v8, vcc
	v_cndmask_b32_e32 v3, v3, v7, vcc
	v_add_u32_e32 v7, 1, v3
	v_cmp_le_u32_e32 vcc, s50, v5
	v_cndmask_b32_e32 v8, v3, v7, vcc
.LBB68_27:                              ;   in Loop: Header=BB68_23 Depth=2
	s_or_b64 exec, exec, s[0:1]
	s_add_u32 s0, s43, s28
	s_addc_u32 s1, s44, s29
	s_add_i32 s16, s26, 6
	s_lshl_b64 s[28:29], s[16:17], 2
	s_add_u32 s30, s39, s28
	s_addc_u32 s31, s40, s29
	s_load_dword s51, s[30:31], 0x0
	s_load_dword s52, s[0:1], 0x0
                                        ; implicit-def: $vgpr10_vgpr11
	s_waitcnt lgkmcnt(0)
	s_ashr_i32 s0, s51, 31
	v_or_b32_e32 v3, s0, v9
	v_cmp_ne_u64_e32 vcc, 0, v[2:3]
	s_and_saveexec_b64 s[30:31], vcc
	s_xor_b64 s[30:31], exec, s[30:31]
	s_cbranch_execz .LBB68_29
; %bb.28:                               ;   in Loop: Header=BB68_23 Depth=2
	s_add_u32 s36, s51, s0
	s_mov_b32 s34, s0
	s_mov_b32 s35, s0
	s_addc_u32 s37, s0, s0
	s_xor_b64 s[36:37], s[36:37], s[34:35]
	v_cvt_f32_u32_e32 v3, s36
	v_cvt_f32_u32_e32 v5, s37
	s_sub_u32 s0, 0, s36
	s_subb_u32 s1, 0, s37
	v_mac_f32_e32 v3, 0x4f800000, v5
	v_rcp_f32_e32 v3, v3
	v_mul_f32_e32 v3, 0x5f7ffffc, v3
	v_mul_f32_e32 v5, 0x2f800000, v3
	v_trunc_f32_e32 v5, v5
	v_mac_f32_e32 v3, 0xcf800000, v5
	v_cvt_u32_f32_e32 v5, v5
	v_cvt_u32_f32_e32 v3, v3
	v_mul_lo_u32 v7, s0, v5
	v_mul_hi_u32 v11, s0, v3
	v_mul_lo_u32 v10, s1, v3
	v_add_u32_e32 v7, v11, v7
	v_mul_lo_u32 v12, s0, v3
	v_add_u32_e32 v7, v7, v10
	v_mul_lo_u32 v11, v3, v7
	v_mul_hi_u32 v13, v3, v12
	v_mul_hi_u32 v10, v3, v7
	v_add_co_u32_e32 v11, vcc, v13, v11
	v_addc_co_u32_e32 v10, vcc, 0, v10, vcc
	v_mul_hi_u32 v14, v5, v12
	v_mul_lo_u32 v12, v5, v12
	v_add_co_u32_e32 v11, vcc, v11, v12
	v_mul_hi_u32 v13, v5, v7
	v_addc_co_u32_e32 v10, vcc, v10, v14, vcc
	v_addc_co_u32_e32 v11, vcc, 0, v13, vcc
	v_mul_lo_u32 v7, v5, v7
	v_add_co_u32_e32 v7, vcc, v10, v7
	v_addc_co_u32_e32 v10, vcc, 0, v11, vcc
	v_add_co_u32_e32 v3, vcc, v3, v7
	v_addc_co_u32_e32 v5, vcc, v5, v10, vcc
	v_mul_lo_u32 v7, s0, v5
	v_mul_hi_u32 v10, s0, v3
	v_add_u32_e32 v7, v10, v7
	v_mul_lo_u32 v10, s1, v3
	v_add_u32_e32 v7, v7, v10
	v_mul_lo_u32 v11, s0, v3
	v_mul_hi_u32 v12, v5, v11
	v_mul_lo_u32 v13, v5, v11
	v_mul_lo_u32 v15, v3, v7
	v_mul_hi_u32 v11, v3, v11
	v_mul_hi_u32 v14, v3, v7
	v_add_co_u32_e32 v11, vcc, v11, v15
	v_addc_co_u32_e32 v14, vcc, 0, v14, vcc
	v_add_co_u32_e32 v11, vcc, v11, v13
	v_mul_hi_u32 v10, v5, v7
	v_addc_co_u32_e32 v11, vcc, v14, v12, vcc
	v_addc_co_u32_e32 v10, vcc, 0, v10, vcc
	v_mul_lo_u32 v7, v5, v7
	v_add_co_u32_e32 v7, vcc, v11, v7
	v_addc_co_u32_e32 v10, vcc, 0, v10, vcc
	v_add_co_u32_e32 v3, vcc, v3, v7
	v_addc_co_u32_e32 v5, vcc, v5, v10, vcc
	v_ashrrev_i32_e32 v7, 31, v9
	v_add_co_u32_e32 v10, vcc, v8, v7
	v_xor_b32_e32 v14, v10, v7
	v_addc_co_u32_e32 v9, vcc, v9, v7, vcc
	v_mad_u64_u32 v[10:11], s[0:1], v14, v5, 0
	v_mul_hi_u32 v12, v14, v3
	v_xor_b32_e32 v9, v9, v7
	v_add_co_u32_e32 v15, vcc, v12, v10
	v_addc_co_u32_e32 v16, vcc, 0, v11, vcc
	v_mad_u64_u32 v[12:13], s[0:1], v9, v3, 0
	v_add_co_u32_e32 v3, vcc, v15, v12
	v_mad_u64_u32 v[10:11], s[0:1], v9, v5, 0
	v_addc_co_u32_e32 v3, vcc, v16, v13, vcc
	v_addc_co_u32_e32 v5, vcc, 0, v11, vcc
	v_add_co_u32_e32 v3, vcc, v3, v10
	v_addc_co_u32_e32 v5, vcc, 0, v5, vcc
	v_mul_lo_u32 v12, s37, v3
	v_mul_lo_u32 v13, s36, v5
	v_mad_u64_u32 v[10:11], s[0:1], s36, v3, 0
	v_add3_u32 v11, v11, v13, v12
	v_sub_u32_e32 v12, v9, v11
	v_mov_b32_e32 v13, s37
	v_sub_co_u32_e32 v10, vcc, v14, v10
	v_subb_co_u32_e64 v12, s[0:1], v12, v13, vcc
	v_subrev_co_u32_e64 v13, s[0:1], s36, v10
	v_subbrev_co_u32_e64 v12, s[0:1], 0, v12, s[0:1]
	v_cmp_le_u32_e64 s[0:1], s37, v12
	v_cndmask_b32_e64 v14, 0, -1, s[0:1]
	v_cmp_le_u32_e64 s[0:1], s36, v13
	v_cndmask_b32_e64 v13, 0, -1, s[0:1]
	v_cmp_eq_u32_e64 s[0:1], s37, v12
	v_cndmask_b32_e64 v12, v14, v13, s[0:1]
	v_add_co_u32_e64 v13, s[0:1], 2, v3
	v_subb_co_u32_e32 v9, vcc, v9, v11, vcc
	v_addc_co_u32_e64 v14, s[0:1], 0, v5, s[0:1]
	v_cmp_le_u32_e32 vcc, s37, v9
	v_add_co_u32_e64 v15, s[0:1], 1, v3
	v_cndmask_b32_e64 v11, 0, -1, vcc
	v_cmp_le_u32_e32 vcc, s36, v10
	v_addc_co_u32_e64 v16, s[0:1], 0, v5, s[0:1]
	v_cndmask_b32_e64 v10, 0, -1, vcc
	v_cmp_eq_u32_e32 vcc, s37, v9
	v_cmp_ne_u32_e64 s[0:1], 0, v12
	v_cndmask_b32_e32 v9, v11, v10, vcc
	v_cmp_ne_u32_e32 vcc, 0, v9
	v_cndmask_b32_e64 v9, v15, v13, s[0:1]
	v_cndmask_b32_e64 v12, v16, v14, s[0:1]
	v_cndmask_b32_e32 v3, v3, v9, vcc
	v_xor_b32_e32 v9, s35, v7
	v_xor_b32_e32 v7, s34, v7
	v_cndmask_b32_e32 v5, v5, v12, vcc
	v_xor_b32_e32 v3, v3, v7
	v_xor_b32_e32 v5, v5, v9
	v_sub_co_u32_e32 v10, vcc, v3, v7
	v_subb_co_u32_e32 v11, vcc, v5, v9, vcc
.LBB68_29:                              ;   in Loop: Header=BB68_23 Depth=2
	s_andn2_saveexec_b64 s[0:1], s[30:31]
	s_cbranch_execz .LBB68_31
; %bb.30:                               ;   in Loop: Header=BB68_23 Depth=2
	v_cvt_f32_u32_e32 v3, s51
	s_sub_i32 s16, 0, s51
	v_mov_b32_e32 v11, v2
	v_rcp_iflag_f32_e32 v3, v3
	v_mul_f32_e32 v3, 0x4f7ffffe, v3
	v_cvt_u32_f32_e32 v3, v3
	v_mul_lo_u32 v5, s16, v3
	v_mul_hi_u32 v5, v3, v5
	v_add_u32_e32 v3, v3, v5
	v_mul_hi_u32 v3, v8, v3
	v_mul_lo_u32 v5, v3, s51
	v_sub_u32_e32 v5, v8, v5
	v_add_u32_e32 v7, 1, v3
	v_subrev_u32_e32 v9, s51, v5
	v_cmp_le_u32_e32 vcc, s51, v5
	v_cndmask_b32_e32 v5, v5, v9, vcc
	v_cndmask_b32_e32 v3, v3, v7, vcc
	v_add_u32_e32 v7, 1, v3
	v_cmp_le_u32_e32 vcc, s51, v5
	v_cndmask_b32_e32 v10, v3, v7, vcc
.LBB68_31:                              ;   in Loop: Header=BB68_23 Depth=2
	s_or_b64 exec, exec, s[0:1]
	s_add_u32 s0, s43, s28
	s_addc_u32 s1, s44, s29
	s_add_i32 s16, s26, 5
	s_lshl_b64 s[28:29], s[16:17], 2
	s_add_u32 s30, s39, s28
	s_addc_u32 s31, s40, s29
	s_load_dword s53, s[30:31], 0x0
	s_load_dword s54, s[0:1], 0x0
                                        ; implicit-def: $vgpr12_vgpr13
	s_waitcnt lgkmcnt(0)
	s_ashr_i32 s0, s53, 31
	v_or_b32_e32 v3, s0, v11
	v_cmp_ne_u64_e32 vcc, 0, v[2:3]
	s_and_saveexec_b64 s[30:31], vcc
	s_xor_b64 s[30:31], exec, s[30:31]
	s_cbranch_execz .LBB68_33
; %bb.32:                               ;   in Loop: Header=BB68_23 Depth=2
	s_add_u32 s36, s53, s0
	s_mov_b32 s34, s0
	s_mov_b32 s35, s0
	s_addc_u32 s37, s0, s0
	s_xor_b64 s[36:37], s[36:37], s[34:35]
	v_cvt_f32_u32_e32 v3, s36
	v_cvt_f32_u32_e32 v5, s37
	s_sub_u32 s0, 0, s36
	s_subb_u32 s1, 0, s37
	v_mac_f32_e32 v3, 0x4f800000, v5
	v_rcp_f32_e32 v3, v3
	v_mul_f32_e32 v3, 0x5f7ffffc, v3
	v_mul_f32_e32 v5, 0x2f800000, v3
	v_trunc_f32_e32 v5, v5
	v_mac_f32_e32 v3, 0xcf800000, v5
	v_cvt_u32_f32_e32 v5, v5
	v_cvt_u32_f32_e32 v3, v3
	v_mul_lo_u32 v7, s0, v5
	v_mul_hi_u32 v12, s0, v3
	v_mul_lo_u32 v9, s1, v3
	v_add_u32_e32 v7, v12, v7
	v_mul_lo_u32 v13, s0, v3
	v_add_u32_e32 v7, v7, v9
	v_mul_lo_u32 v12, v3, v7
	v_mul_hi_u32 v14, v3, v13
	v_mul_hi_u32 v9, v3, v7
	v_add_co_u32_e32 v12, vcc, v14, v12
	v_addc_co_u32_e32 v9, vcc, 0, v9, vcc
	v_mul_hi_u32 v15, v5, v13
	v_mul_lo_u32 v13, v5, v13
	v_add_co_u32_e32 v12, vcc, v12, v13
	v_mul_hi_u32 v14, v5, v7
	v_addc_co_u32_e32 v9, vcc, v9, v15, vcc
	v_addc_co_u32_e32 v12, vcc, 0, v14, vcc
	v_mul_lo_u32 v7, v5, v7
	v_add_co_u32_e32 v7, vcc, v9, v7
	v_addc_co_u32_e32 v9, vcc, 0, v12, vcc
	v_add_co_u32_e32 v3, vcc, v3, v7
	v_addc_co_u32_e32 v5, vcc, v5, v9, vcc
	v_mul_lo_u32 v7, s0, v5
	v_mul_hi_u32 v9, s0, v3
	v_add_u32_e32 v7, v9, v7
	v_mul_lo_u32 v9, s1, v3
	v_add_u32_e32 v7, v7, v9
	v_mul_lo_u32 v12, s0, v3
	v_mul_hi_u32 v13, v5, v12
	v_mul_lo_u32 v14, v5, v12
	v_mul_lo_u32 v16, v3, v7
	v_mul_hi_u32 v12, v3, v12
	v_mul_hi_u32 v15, v3, v7
	v_add_co_u32_e32 v12, vcc, v12, v16
	v_addc_co_u32_e32 v15, vcc, 0, v15, vcc
	v_add_co_u32_e32 v12, vcc, v12, v14
	v_mul_hi_u32 v9, v5, v7
	v_addc_co_u32_e32 v12, vcc, v15, v13, vcc
	v_addc_co_u32_e32 v9, vcc, 0, v9, vcc
	v_mul_lo_u32 v7, v5, v7
	v_add_co_u32_e32 v7, vcc, v12, v7
	v_addc_co_u32_e32 v9, vcc, 0, v9, vcc
	v_add_co_u32_e32 v3, vcc, v3, v7
	v_addc_co_u32_e32 v5, vcc, v5, v9, vcc
	v_ashrrev_i32_e32 v7, 31, v11
	v_add_co_u32_e32 v9, vcc, v10, v7
	v_xor_b32_e32 v9, v9, v7
	v_addc_co_u32_e32 v11, vcc, v11, v7, vcc
	v_mad_u64_u32 v[12:13], s[0:1], v9, v5, 0
	v_mul_hi_u32 v14, v9, v3
	v_xor_b32_e32 v11, v11, v7
	v_add_co_u32_e32 v16, vcc, v14, v12
	v_addc_co_u32_e32 v17, vcc, 0, v13, vcc
	v_mad_u64_u32 v[14:15], s[0:1], v11, v3, 0
	v_add_co_u32_e32 v3, vcc, v16, v14
	v_mad_u64_u32 v[12:13], s[0:1], v11, v5, 0
	v_addc_co_u32_e32 v3, vcc, v17, v15, vcc
	v_addc_co_u32_e32 v5, vcc, 0, v13, vcc
	v_add_co_u32_e32 v3, vcc, v3, v12
	v_addc_co_u32_e32 v5, vcc, 0, v5, vcc
	v_mul_lo_u32 v14, s37, v3
	v_mul_lo_u32 v15, s36, v5
	v_mad_u64_u32 v[12:13], s[0:1], s36, v3, 0
	v_add3_u32 v13, v13, v15, v14
	v_sub_u32_e32 v14, v11, v13
	v_mov_b32_e32 v15, s37
	v_sub_co_u32_e32 v9, vcc, v9, v12
	v_subb_co_u32_e64 v12, s[0:1], v14, v15, vcc
	v_subrev_co_u32_e64 v14, s[0:1], s36, v9
	v_subbrev_co_u32_e64 v12, s[0:1], 0, v12, s[0:1]
	v_cmp_le_u32_e64 s[0:1], s37, v12
	v_cndmask_b32_e64 v15, 0, -1, s[0:1]
	v_cmp_le_u32_e64 s[0:1], s36, v14
	v_cndmask_b32_e64 v14, 0, -1, s[0:1]
	v_cmp_eq_u32_e64 s[0:1], s37, v12
	v_cndmask_b32_e64 v12, v15, v14, s[0:1]
	v_add_co_u32_e64 v14, s[0:1], 2, v3
	v_subb_co_u32_e32 v11, vcc, v11, v13, vcc
	v_addc_co_u32_e64 v15, s[0:1], 0, v5, s[0:1]
	v_cmp_le_u32_e32 vcc, s37, v11
	v_add_co_u32_e64 v16, s[0:1], 1, v3
	v_cndmask_b32_e64 v13, 0, -1, vcc
	v_cmp_le_u32_e32 vcc, s36, v9
	v_addc_co_u32_e64 v17, s[0:1], 0, v5, s[0:1]
	v_cndmask_b32_e64 v9, 0, -1, vcc
	v_cmp_eq_u32_e32 vcc, s37, v11
	v_cmp_ne_u32_e64 s[0:1], 0, v12
	v_cndmask_b32_e32 v9, v13, v9, vcc
	v_cmp_ne_u32_e32 vcc, 0, v9
	v_cndmask_b32_e64 v9, v16, v14, s[0:1]
	v_cndmask_b32_e64 v12, v17, v15, s[0:1]
	v_cndmask_b32_e32 v3, v3, v9, vcc
	v_xor_b32_e32 v9, s35, v7
	v_xor_b32_e32 v7, s34, v7
	v_cndmask_b32_e32 v5, v5, v12, vcc
	v_xor_b32_e32 v3, v3, v7
	v_xor_b32_e32 v5, v5, v9
	v_sub_co_u32_e32 v12, vcc, v3, v7
	v_subb_co_u32_e32 v13, vcc, v5, v9, vcc
.LBB68_33:                              ;   in Loop: Header=BB68_23 Depth=2
	s_andn2_saveexec_b64 s[0:1], s[30:31]
	s_cbranch_execz .LBB68_35
; %bb.34:                               ;   in Loop: Header=BB68_23 Depth=2
	v_cvt_f32_u32_e32 v3, s53
	s_sub_i32 s16, 0, s53
	v_mov_b32_e32 v13, v2
	v_rcp_iflag_f32_e32 v3, v3
	v_mul_f32_e32 v3, 0x4f7ffffe, v3
	v_cvt_u32_f32_e32 v3, v3
	v_mul_lo_u32 v5, s16, v3
	v_mul_hi_u32 v5, v3, v5
	v_add_u32_e32 v3, v3, v5
	v_mul_hi_u32 v3, v10, v3
	v_mul_lo_u32 v5, v3, s53
	v_sub_u32_e32 v5, v10, v5
	v_add_u32_e32 v7, 1, v3
	v_subrev_u32_e32 v9, s53, v5
	v_cmp_le_u32_e32 vcc, s53, v5
	v_cndmask_b32_e32 v5, v5, v9, vcc
	v_cndmask_b32_e32 v3, v3, v7, vcc
	v_add_u32_e32 v7, 1, v3
	v_cmp_le_u32_e32 vcc, s53, v5
	v_cndmask_b32_e32 v12, v3, v7, vcc
.LBB68_35:                              ;   in Loop: Header=BB68_23 Depth=2
	s_or_b64 exec, exec, s[0:1]
	s_add_u32 s0, s43, s28
	s_addc_u32 s1, s44, s29
	s_add_i32 s16, s26, 4
	s_lshl_b64 s[28:29], s[16:17], 2
	s_add_u32 s30, s39, s28
	s_addc_u32 s31, s40, s29
	s_load_dword s55, s[30:31], 0x0
	s_load_dword s56, s[0:1], 0x0
                                        ; implicit-def: $vgpr14_vgpr15
	s_waitcnt lgkmcnt(0)
	s_ashr_i32 s0, s55, 31
	v_or_b32_e32 v3, s0, v13
	v_cmp_ne_u64_e32 vcc, 0, v[2:3]
	s_and_saveexec_b64 s[30:31], vcc
	s_xor_b64 s[30:31], exec, s[30:31]
	s_cbranch_execz .LBB68_37
; %bb.36:                               ;   in Loop: Header=BB68_23 Depth=2
	s_add_u32 s36, s55, s0
	s_mov_b32 s34, s0
	s_mov_b32 s35, s0
	s_addc_u32 s37, s0, s0
	s_xor_b64 s[36:37], s[36:37], s[34:35]
	v_cvt_f32_u32_e32 v3, s36
	v_cvt_f32_u32_e32 v5, s37
	s_sub_u32 s0, 0, s36
	s_subb_u32 s1, 0, s37
	v_mac_f32_e32 v3, 0x4f800000, v5
	v_rcp_f32_e32 v3, v3
	v_mul_f32_e32 v3, 0x5f7ffffc, v3
	v_mul_f32_e32 v5, 0x2f800000, v3
	v_trunc_f32_e32 v5, v5
	v_mac_f32_e32 v3, 0xcf800000, v5
	v_cvt_u32_f32_e32 v5, v5
	v_cvt_u32_f32_e32 v3, v3
	v_mul_lo_u32 v7, s0, v5
	v_mul_hi_u32 v11, s0, v3
	v_mul_lo_u32 v9, s1, v3
	v_add_u32_e32 v7, v11, v7
	v_mul_lo_u32 v14, s0, v3
	v_add_u32_e32 v7, v7, v9
	v_mul_lo_u32 v11, v3, v7
	v_mul_hi_u32 v15, v3, v14
	v_mul_hi_u32 v9, v3, v7
	v_add_co_u32_e32 v11, vcc, v15, v11
	v_addc_co_u32_e32 v9, vcc, 0, v9, vcc
	v_mul_hi_u32 v16, v5, v14
	v_mul_lo_u32 v14, v5, v14
	v_add_co_u32_e32 v11, vcc, v11, v14
	v_mul_hi_u32 v15, v5, v7
	v_addc_co_u32_e32 v9, vcc, v9, v16, vcc
	v_addc_co_u32_e32 v11, vcc, 0, v15, vcc
	v_mul_lo_u32 v7, v5, v7
	v_add_co_u32_e32 v7, vcc, v9, v7
	v_addc_co_u32_e32 v9, vcc, 0, v11, vcc
	v_add_co_u32_e32 v3, vcc, v3, v7
	v_addc_co_u32_e32 v5, vcc, v5, v9, vcc
	v_mul_lo_u32 v7, s0, v5
	v_mul_hi_u32 v9, s0, v3
	v_add_u32_e32 v7, v9, v7
	v_mul_lo_u32 v9, s1, v3
	v_add_u32_e32 v7, v7, v9
	v_mul_lo_u32 v11, s0, v3
	v_mul_hi_u32 v14, v5, v11
	v_mul_lo_u32 v15, v5, v11
	v_mul_lo_u32 v17, v3, v7
	v_mul_hi_u32 v11, v3, v11
	v_mul_hi_u32 v16, v3, v7
	v_add_co_u32_e32 v11, vcc, v11, v17
	v_addc_co_u32_e32 v16, vcc, 0, v16, vcc
	v_add_co_u32_e32 v11, vcc, v11, v15
	v_mul_hi_u32 v9, v5, v7
	v_addc_co_u32_e32 v11, vcc, v16, v14, vcc
	v_addc_co_u32_e32 v9, vcc, 0, v9, vcc
	v_mul_lo_u32 v7, v5, v7
	v_add_co_u32_e32 v7, vcc, v11, v7
	v_addc_co_u32_e32 v9, vcc, 0, v9, vcc
	v_add_co_u32_e32 v3, vcc, v3, v7
	v_addc_co_u32_e32 v5, vcc, v5, v9, vcc
	v_ashrrev_i32_e32 v7, 31, v13
	v_add_co_u32_e32 v9, vcc, v12, v7
	v_xor_b32_e32 v9, v9, v7
	v_addc_co_u32_e32 v11, vcc, v13, v7, vcc
	v_mad_u64_u32 v[14:15], s[0:1], v9, v5, 0
	v_mul_hi_u32 v13, v9, v3
	v_xor_b32_e32 v11, v11, v7
	v_add_co_u32_e32 v13, vcc, v13, v14
	v_addc_co_u32_e32 v18, vcc, 0, v15, vcc
	v_mad_u64_u32 v[16:17], s[0:1], v11, v3, 0
	v_add_co_u32_e32 v3, vcc, v13, v16
	v_mad_u64_u32 v[14:15], s[0:1], v11, v5, 0
	v_addc_co_u32_e32 v3, vcc, v18, v17, vcc
	v_addc_co_u32_e32 v5, vcc, 0, v15, vcc
	v_add_co_u32_e32 v3, vcc, v3, v14
	v_addc_co_u32_e32 v5, vcc, 0, v5, vcc
	v_mul_lo_u32 v13, s37, v3
	v_mul_lo_u32 v16, s36, v5
	v_mad_u64_u32 v[14:15], s[0:1], s36, v3, 0
	v_add3_u32 v13, v15, v16, v13
	v_sub_u32_e32 v15, v11, v13
	v_mov_b32_e32 v16, s37
	v_sub_co_u32_e32 v9, vcc, v9, v14
	v_subb_co_u32_e64 v14, s[0:1], v15, v16, vcc
	v_subrev_co_u32_e64 v15, s[0:1], s36, v9
	v_subbrev_co_u32_e64 v14, s[0:1], 0, v14, s[0:1]
	v_cmp_le_u32_e64 s[0:1], s37, v14
	v_cndmask_b32_e64 v16, 0, -1, s[0:1]
	v_cmp_le_u32_e64 s[0:1], s36, v15
	v_cndmask_b32_e64 v15, 0, -1, s[0:1]
	v_cmp_eq_u32_e64 s[0:1], s37, v14
	v_cndmask_b32_e64 v14, v16, v15, s[0:1]
	v_add_co_u32_e64 v15, s[0:1], 2, v3
	v_subb_co_u32_e32 v11, vcc, v11, v13, vcc
	v_addc_co_u32_e64 v16, s[0:1], 0, v5, s[0:1]
	v_cmp_le_u32_e32 vcc, s37, v11
	v_add_co_u32_e64 v17, s[0:1], 1, v3
	v_cndmask_b32_e64 v13, 0, -1, vcc
	v_cmp_le_u32_e32 vcc, s36, v9
	v_addc_co_u32_e64 v18, s[0:1], 0, v5, s[0:1]
	v_cndmask_b32_e64 v9, 0, -1, vcc
	v_cmp_eq_u32_e32 vcc, s37, v11
	v_cmp_ne_u32_e64 s[0:1], 0, v14
	v_cndmask_b32_e32 v9, v13, v9, vcc
	v_cmp_ne_u32_e32 vcc, 0, v9
	v_cndmask_b32_e64 v9, v17, v15, s[0:1]
	v_cndmask_b32_e64 v14, v18, v16, s[0:1]
	v_cndmask_b32_e32 v3, v3, v9, vcc
	v_xor_b32_e32 v9, s35, v7
	v_xor_b32_e32 v7, s34, v7
	v_cndmask_b32_e32 v5, v5, v14, vcc
	v_xor_b32_e32 v3, v3, v7
	v_xor_b32_e32 v5, v5, v9
	v_sub_co_u32_e32 v14, vcc, v3, v7
	v_subb_co_u32_e32 v15, vcc, v5, v9, vcc
.LBB68_37:                              ;   in Loop: Header=BB68_23 Depth=2
	s_andn2_saveexec_b64 s[0:1], s[30:31]
	s_cbranch_execz .LBB68_39
; %bb.38:                               ;   in Loop: Header=BB68_23 Depth=2
	v_cvt_f32_u32_e32 v3, s55
	s_sub_i32 s16, 0, s55
	v_mov_b32_e32 v15, v2
	v_rcp_iflag_f32_e32 v3, v3
	v_mul_f32_e32 v3, 0x4f7ffffe, v3
	v_cvt_u32_f32_e32 v3, v3
	v_mul_lo_u32 v5, s16, v3
	v_mul_hi_u32 v5, v3, v5
	v_add_u32_e32 v3, v3, v5
	v_mul_hi_u32 v3, v12, v3
	v_mul_lo_u32 v5, v3, s55
	v_sub_u32_e32 v5, v12, v5
	v_add_u32_e32 v7, 1, v3
	v_subrev_u32_e32 v9, s55, v5
	v_cmp_le_u32_e32 vcc, s55, v5
	v_cndmask_b32_e32 v5, v5, v9, vcc
	v_cndmask_b32_e32 v3, v3, v7, vcc
	v_add_u32_e32 v7, 1, v3
	v_cmp_le_u32_e32 vcc, s55, v5
	v_cndmask_b32_e32 v14, v3, v7, vcc
.LBB68_39:                              ;   in Loop: Header=BB68_23 Depth=2
	s_or_b64 exec, exec, s[0:1]
	s_add_u32 s0, s43, s28
	s_addc_u32 s1, s44, s29
	s_add_i32 s16, s26, 3
	s_lshl_b64 s[28:29], s[16:17], 2
	s_add_u32 s30, s39, s28
	s_addc_u32 s31, s40, s29
	s_load_dword s57, s[30:31], 0x0
	s_load_dword s58, s[0:1], 0x0
                                        ; implicit-def: $vgpr16_vgpr17
	s_waitcnt lgkmcnt(0)
	s_ashr_i32 s0, s57, 31
	v_or_b32_e32 v3, s0, v15
	v_cmp_ne_u64_e32 vcc, 0, v[2:3]
	s_and_saveexec_b64 s[30:31], vcc
	s_xor_b64 s[30:31], exec, s[30:31]
	s_cbranch_execz .LBB68_41
; %bb.40:                               ;   in Loop: Header=BB68_23 Depth=2
	s_add_u32 s36, s57, s0
	s_mov_b32 s34, s0
	s_mov_b32 s35, s0
	s_addc_u32 s37, s0, s0
	s_xor_b64 s[36:37], s[36:37], s[34:35]
	v_cvt_f32_u32_e32 v3, s36
	v_cvt_f32_u32_e32 v5, s37
	s_sub_u32 s0, 0, s36
	s_subb_u32 s1, 0, s37
	v_mac_f32_e32 v3, 0x4f800000, v5
	v_rcp_f32_e32 v3, v3
	v_mul_f32_e32 v3, 0x5f7ffffc, v3
	v_mul_f32_e32 v5, 0x2f800000, v3
	v_trunc_f32_e32 v5, v5
	v_mac_f32_e32 v3, 0xcf800000, v5
	v_cvt_u32_f32_e32 v5, v5
	v_cvt_u32_f32_e32 v3, v3
	v_mul_lo_u32 v7, s0, v5
	v_mul_hi_u32 v11, s0, v3
	v_mul_lo_u32 v9, s1, v3
	v_add_u32_e32 v7, v11, v7
	v_mul_lo_u32 v13, s0, v3
	v_add_u32_e32 v7, v7, v9
	v_mul_lo_u32 v11, v3, v7
	v_mul_hi_u32 v16, v3, v13
	v_mul_hi_u32 v9, v3, v7
	v_add_co_u32_e32 v11, vcc, v16, v11
	v_addc_co_u32_e32 v9, vcc, 0, v9, vcc
	v_mul_hi_u32 v17, v5, v13
	v_mul_lo_u32 v13, v5, v13
	v_add_co_u32_e32 v11, vcc, v11, v13
	v_mul_hi_u32 v16, v5, v7
	v_addc_co_u32_e32 v9, vcc, v9, v17, vcc
	v_addc_co_u32_e32 v11, vcc, 0, v16, vcc
	v_mul_lo_u32 v7, v5, v7
	v_add_co_u32_e32 v7, vcc, v9, v7
	v_addc_co_u32_e32 v9, vcc, 0, v11, vcc
	v_add_co_u32_e32 v3, vcc, v3, v7
	v_addc_co_u32_e32 v5, vcc, v5, v9, vcc
	v_mul_lo_u32 v7, s0, v5
	v_mul_hi_u32 v9, s0, v3
	v_add_u32_e32 v7, v9, v7
	v_mul_lo_u32 v9, s1, v3
	v_add_u32_e32 v7, v7, v9
	v_mul_lo_u32 v11, s0, v3
	v_mul_hi_u32 v13, v5, v11
	v_mul_lo_u32 v16, v5, v11
	v_mul_lo_u32 v18, v3, v7
	v_mul_hi_u32 v11, v3, v11
	v_mul_hi_u32 v17, v3, v7
	v_add_co_u32_e32 v11, vcc, v11, v18
	v_addc_co_u32_e32 v17, vcc, 0, v17, vcc
	v_add_co_u32_e32 v11, vcc, v11, v16
	v_mul_hi_u32 v9, v5, v7
	v_addc_co_u32_e32 v11, vcc, v17, v13, vcc
	v_addc_co_u32_e32 v9, vcc, 0, v9, vcc
	v_mul_lo_u32 v7, v5, v7
	v_add_co_u32_e32 v7, vcc, v11, v7
	v_addc_co_u32_e32 v9, vcc, 0, v9, vcc
	v_add_co_u32_e32 v3, vcc, v3, v7
	v_addc_co_u32_e32 v5, vcc, v5, v9, vcc
	v_ashrrev_i32_e32 v7, 31, v15
	v_add_co_u32_e32 v9, vcc, v14, v7
	v_xor_b32_e32 v9, v9, v7
	v_addc_co_u32_e32 v11, vcc, v15, v7, vcc
	v_mad_u64_u32 v[16:17], s[0:1], v9, v5, 0
	v_mul_hi_u32 v13, v9, v3
	v_xor_b32_e32 v11, v11, v7
	v_add_co_u32_e32 v13, vcc, v13, v16
	v_addc_co_u32_e32 v15, vcc, 0, v17, vcc
	v_mad_u64_u32 v[18:19], s[0:1], v11, v3, 0
	v_add_co_u32_e32 v3, vcc, v13, v18
	v_mad_u64_u32 v[16:17], s[0:1], v11, v5, 0
	v_addc_co_u32_e32 v3, vcc, v15, v19, vcc
	v_addc_co_u32_e32 v5, vcc, 0, v17, vcc
	v_add_co_u32_e32 v3, vcc, v3, v16
	v_addc_co_u32_e32 v5, vcc, 0, v5, vcc
	v_mul_lo_u32 v13, s37, v3
	v_mul_lo_u32 v15, s36, v5
	v_mad_u64_u32 v[16:17], s[0:1], s36, v3, 0
	v_add3_u32 v13, v17, v15, v13
	v_sub_u32_e32 v15, v11, v13
	v_mov_b32_e32 v17, s37
	v_sub_co_u32_e32 v9, vcc, v9, v16
	v_subb_co_u32_e64 v15, s[0:1], v15, v17, vcc
	v_subrev_co_u32_e64 v16, s[0:1], s36, v9
	v_subbrev_co_u32_e64 v15, s[0:1], 0, v15, s[0:1]
	v_cmp_le_u32_e64 s[0:1], s37, v15
	v_cndmask_b32_e64 v17, 0, -1, s[0:1]
	v_cmp_le_u32_e64 s[0:1], s36, v16
	v_cndmask_b32_e64 v16, 0, -1, s[0:1]
	v_cmp_eq_u32_e64 s[0:1], s37, v15
	v_cndmask_b32_e64 v15, v17, v16, s[0:1]
	v_add_co_u32_e64 v16, s[0:1], 2, v3
	v_subb_co_u32_e32 v11, vcc, v11, v13, vcc
	v_addc_co_u32_e64 v17, s[0:1], 0, v5, s[0:1]
	v_cmp_le_u32_e32 vcc, s37, v11
	v_add_co_u32_e64 v18, s[0:1], 1, v3
	v_cndmask_b32_e64 v13, 0, -1, vcc
	v_cmp_le_u32_e32 vcc, s36, v9
	v_addc_co_u32_e64 v19, s[0:1], 0, v5, s[0:1]
	v_cndmask_b32_e64 v9, 0, -1, vcc
	v_cmp_eq_u32_e32 vcc, s37, v11
	v_cmp_ne_u32_e64 s[0:1], 0, v15
	v_cndmask_b32_e32 v9, v13, v9, vcc
	v_cmp_ne_u32_e32 vcc, 0, v9
	v_cndmask_b32_e64 v9, v18, v16, s[0:1]
	v_cndmask_b32_e64 v15, v19, v17, s[0:1]
	v_cndmask_b32_e32 v3, v3, v9, vcc
	v_xor_b32_e32 v9, s35, v7
	v_xor_b32_e32 v7, s34, v7
	v_cndmask_b32_e32 v5, v5, v15, vcc
	v_xor_b32_e32 v3, v3, v7
	v_xor_b32_e32 v5, v5, v9
	v_sub_co_u32_e32 v16, vcc, v3, v7
	v_subb_co_u32_e32 v17, vcc, v5, v9, vcc
.LBB68_41:                              ;   in Loop: Header=BB68_23 Depth=2
	s_andn2_saveexec_b64 s[0:1], s[30:31]
	s_cbranch_execz .LBB68_43
; %bb.42:                               ;   in Loop: Header=BB68_23 Depth=2
	v_cvt_f32_u32_e32 v3, s57
	s_sub_i32 s16, 0, s57
	v_mov_b32_e32 v17, v2
	v_rcp_iflag_f32_e32 v3, v3
	v_mul_f32_e32 v3, 0x4f7ffffe, v3
	v_cvt_u32_f32_e32 v3, v3
	v_mul_lo_u32 v5, s16, v3
	v_mul_hi_u32 v5, v3, v5
	v_add_u32_e32 v3, v3, v5
	v_mul_hi_u32 v3, v14, v3
	v_mul_lo_u32 v5, v3, s57
	v_sub_u32_e32 v5, v14, v5
	v_add_u32_e32 v7, 1, v3
	v_subrev_u32_e32 v9, s57, v5
	v_cmp_le_u32_e32 vcc, s57, v5
	v_cndmask_b32_e32 v5, v5, v9, vcc
	v_cndmask_b32_e32 v3, v3, v7, vcc
	v_add_u32_e32 v7, 1, v3
	v_cmp_le_u32_e32 vcc, s57, v5
	v_cndmask_b32_e32 v16, v3, v7, vcc
.LBB68_43:                              ;   in Loop: Header=BB68_23 Depth=2
	s_or_b64 exec, exec, s[0:1]
	s_add_u32 s0, s43, s28
	s_addc_u32 s1, s44, s29
	s_add_i32 s16, s26, 2
	s_lshl_b64 s[28:29], s[16:17], 2
	s_add_u32 s30, s39, s28
	s_addc_u32 s31, s40, s29
	s_load_dword s59, s[30:31], 0x0
	s_load_dword s60, s[0:1], 0x0
                                        ; implicit-def: $vgpr18_vgpr19
	s_waitcnt lgkmcnt(0)
	s_ashr_i32 s0, s59, 31
	v_or_b32_e32 v3, s0, v17
	v_cmp_ne_u64_e32 vcc, 0, v[2:3]
	s_and_saveexec_b64 s[30:31], vcc
	s_xor_b64 s[30:31], exec, s[30:31]
	s_cbranch_execz .LBB68_45
; %bb.44:                               ;   in Loop: Header=BB68_23 Depth=2
	s_add_u32 s36, s59, s0
	s_mov_b32 s34, s0
	s_mov_b32 s35, s0
	s_addc_u32 s37, s0, s0
	s_xor_b64 s[36:37], s[36:37], s[34:35]
	v_cvt_f32_u32_e32 v3, s36
	v_cvt_f32_u32_e32 v5, s37
	s_sub_u32 s0, 0, s36
	s_subb_u32 s1, 0, s37
	v_mac_f32_e32 v3, 0x4f800000, v5
	v_rcp_f32_e32 v3, v3
	v_mul_f32_e32 v3, 0x5f7ffffc, v3
	v_mul_f32_e32 v5, 0x2f800000, v3
	v_trunc_f32_e32 v5, v5
	v_mac_f32_e32 v3, 0xcf800000, v5
	v_cvt_u32_f32_e32 v5, v5
	v_cvt_u32_f32_e32 v3, v3
	v_mul_lo_u32 v7, s0, v5
	v_mul_hi_u32 v11, s0, v3
	v_mul_lo_u32 v9, s1, v3
	v_add_u32_e32 v7, v11, v7
	v_mul_lo_u32 v13, s0, v3
	v_add_u32_e32 v7, v7, v9
	v_mul_lo_u32 v11, v3, v7
	v_mul_hi_u32 v15, v3, v13
	v_mul_hi_u32 v9, v3, v7
	v_add_co_u32_e32 v11, vcc, v15, v11
	v_addc_co_u32_e32 v9, vcc, 0, v9, vcc
	v_mul_hi_u32 v18, v5, v13
	v_mul_lo_u32 v13, v5, v13
	v_add_co_u32_e32 v11, vcc, v11, v13
	v_mul_hi_u32 v15, v5, v7
	v_addc_co_u32_e32 v9, vcc, v9, v18, vcc
	v_addc_co_u32_e32 v11, vcc, 0, v15, vcc
	v_mul_lo_u32 v7, v5, v7
	v_add_co_u32_e32 v7, vcc, v9, v7
	v_addc_co_u32_e32 v9, vcc, 0, v11, vcc
	v_add_co_u32_e32 v3, vcc, v3, v7
	v_addc_co_u32_e32 v5, vcc, v5, v9, vcc
	v_mul_lo_u32 v7, s0, v5
	v_mul_hi_u32 v9, s0, v3
	v_add_u32_e32 v7, v9, v7
	v_mul_lo_u32 v9, s1, v3
	v_add_u32_e32 v7, v7, v9
	v_mul_lo_u32 v11, s0, v3
	v_mul_hi_u32 v13, v5, v11
	v_mul_lo_u32 v15, v5, v11
	v_mul_lo_u32 v19, v3, v7
	v_mul_hi_u32 v11, v3, v11
	v_mul_hi_u32 v18, v3, v7
	v_add_co_u32_e32 v11, vcc, v11, v19
	v_addc_co_u32_e32 v18, vcc, 0, v18, vcc
	v_add_co_u32_e32 v11, vcc, v11, v15
	v_mul_hi_u32 v9, v5, v7
	v_addc_co_u32_e32 v11, vcc, v18, v13, vcc
	v_addc_co_u32_e32 v9, vcc, 0, v9, vcc
	v_mul_lo_u32 v7, v5, v7
	v_add_co_u32_e32 v7, vcc, v11, v7
	v_addc_co_u32_e32 v9, vcc, 0, v9, vcc
	v_add_co_u32_e32 v3, vcc, v3, v7
	v_addc_co_u32_e32 v5, vcc, v5, v9, vcc
	v_ashrrev_i32_e32 v7, 31, v17
	v_add_co_u32_e32 v9, vcc, v16, v7
	v_xor_b32_e32 v9, v9, v7
	v_addc_co_u32_e32 v11, vcc, v17, v7, vcc
	v_mad_u64_u32 v[18:19], s[0:1], v9, v5, 0
	v_mul_hi_u32 v13, v9, v3
	v_xor_b32_e32 v11, v11, v7
	v_add_co_u32_e32 v13, vcc, v13, v18
	v_addc_co_u32_e32 v15, vcc, 0, v19, vcc
	v_mad_u64_u32 v[20:21], s[0:1], v11, v3, 0
	v_add_co_u32_e32 v3, vcc, v13, v20
	v_mad_u64_u32 v[18:19], s[0:1], v11, v5, 0
	v_addc_co_u32_e32 v3, vcc, v15, v21, vcc
	v_addc_co_u32_e32 v5, vcc, 0, v19, vcc
	v_add_co_u32_e32 v3, vcc, v3, v18
	v_addc_co_u32_e32 v5, vcc, 0, v5, vcc
	v_mul_lo_u32 v13, s37, v3
	v_mul_lo_u32 v15, s36, v5
	v_mad_u64_u32 v[18:19], s[0:1], s36, v3, 0
	v_add3_u32 v13, v19, v15, v13
	v_sub_u32_e32 v15, v11, v13
	v_mov_b32_e32 v17, s37
	v_sub_co_u32_e32 v9, vcc, v9, v18
	v_subb_co_u32_e64 v15, s[0:1], v15, v17, vcc
	v_subrev_co_u32_e64 v17, s[0:1], s36, v9
	v_subbrev_co_u32_e64 v15, s[0:1], 0, v15, s[0:1]
	v_cmp_le_u32_e64 s[0:1], s37, v15
	v_cndmask_b32_e64 v18, 0, -1, s[0:1]
	v_cmp_le_u32_e64 s[0:1], s36, v17
	v_cndmask_b32_e64 v17, 0, -1, s[0:1]
	v_cmp_eq_u32_e64 s[0:1], s37, v15
	v_cndmask_b32_e64 v15, v18, v17, s[0:1]
	v_add_co_u32_e64 v17, s[0:1], 2, v3
	v_subb_co_u32_e32 v11, vcc, v11, v13, vcc
	v_addc_co_u32_e64 v18, s[0:1], 0, v5, s[0:1]
	v_cmp_le_u32_e32 vcc, s37, v11
	v_add_co_u32_e64 v19, s[0:1], 1, v3
	v_cndmask_b32_e64 v13, 0, -1, vcc
	v_cmp_le_u32_e32 vcc, s36, v9
	v_addc_co_u32_e64 v20, s[0:1], 0, v5, s[0:1]
	v_cndmask_b32_e64 v9, 0, -1, vcc
	v_cmp_eq_u32_e32 vcc, s37, v11
	v_cmp_ne_u32_e64 s[0:1], 0, v15
	v_cndmask_b32_e32 v9, v13, v9, vcc
	v_cmp_ne_u32_e32 vcc, 0, v9
	v_cndmask_b32_e64 v9, v19, v17, s[0:1]
	v_cndmask_b32_e64 v15, v20, v18, s[0:1]
	v_cndmask_b32_e32 v3, v3, v9, vcc
	v_xor_b32_e32 v9, s35, v7
	v_xor_b32_e32 v7, s34, v7
	v_cndmask_b32_e32 v5, v5, v15, vcc
	v_xor_b32_e32 v3, v3, v7
	v_xor_b32_e32 v5, v5, v9
	v_sub_co_u32_e32 v18, vcc, v3, v7
	v_subb_co_u32_e32 v19, vcc, v5, v9, vcc
.LBB68_45:                              ;   in Loop: Header=BB68_23 Depth=2
	s_andn2_saveexec_b64 s[0:1], s[30:31]
	s_cbranch_execz .LBB68_47
; %bb.46:                               ;   in Loop: Header=BB68_23 Depth=2
	v_cvt_f32_u32_e32 v3, s59
	s_sub_i32 s16, 0, s59
	v_mov_b32_e32 v19, v2
	v_rcp_iflag_f32_e32 v3, v3
	v_mul_f32_e32 v3, 0x4f7ffffe, v3
	v_cvt_u32_f32_e32 v3, v3
	v_mul_lo_u32 v5, s16, v3
	v_mul_hi_u32 v5, v3, v5
	v_add_u32_e32 v3, v3, v5
	v_mul_hi_u32 v3, v16, v3
	v_mul_lo_u32 v5, v3, s59
	v_sub_u32_e32 v5, v16, v5
	v_add_u32_e32 v7, 1, v3
	v_subrev_u32_e32 v9, s59, v5
	v_cmp_le_u32_e32 vcc, s59, v5
	v_cndmask_b32_e32 v5, v5, v9, vcc
	v_cndmask_b32_e32 v3, v3, v7, vcc
	v_add_u32_e32 v7, 1, v3
	v_cmp_le_u32_e32 vcc, s59, v5
	v_cndmask_b32_e32 v18, v3, v7, vcc
.LBB68_47:                              ;   in Loop: Header=BB68_23 Depth=2
	s_or_b64 exec, exec, s[0:1]
	s_add_u32 s0, s43, s28
	s_addc_u32 s1, s44, s29
	s_add_i32 s16, s26, 1
	s_lshl_b64 s[28:29], s[16:17], 2
	s_add_u32 s30, s39, s28
	s_addc_u32 s31, s40, s29
	s_load_dword s16, s[30:31], 0x0
	s_load_dword s61, s[0:1], 0x0
                                        ; implicit-def: $vgpr20_vgpr21
	s_waitcnt lgkmcnt(0)
	s_ashr_i32 s0, s16, 31
	v_or_b32_e32 v3, s0, v19
	v_cmp_ne_u64_e32 vcc, 0, v[2:3]
	s_and_saveexec_b64 s[30:31], vcc
	s_xor_b64 s[30:31], exec, s[30:31]
	s_cbranch_execz .LBB68_49
; %bb.48:                               ;   in Loop: Header=BB68_23 Depth=2
	s_add_u32 s36, s16, s0
	s_mov_b32 s34, s0
	s_mov_b32 s35, s0
	s_addc_u32 s37, s0, s0
	s_xor_b64 s[36:37], s[36:37], s[34:35]
	v_cvt_f32_u32_e32 v3, s36
	v_cvt_f32_u32_e32 v5, s37
	s_sub_u32 s0, 0, s36
	s_subb_u32 s1, 0, s37
	v_mac_f32_e32 v3, 0x4f800000, v5
	v_rcp_f32_e32 v3, v3
	v_mul_f32_e32 v3, 0x5f7ffffc, v3
	v_mul_f32_e32 v5, 0x2f800000, v3
	v_trunc_f32_e32 v5, v5
	v_mac_f32_e32 v3, 0xcf800000, v5
	v_cvt_u32_f32_e32 v5, v5
	v_cvt_u32_f32_e32 v3, v3
	v_mul_lo_u32 v7, s0, v5
	v_mul_hi_u32 v11, s0, v3
	v_mul_lo_u32 v9, s1, v3
	v_add_u32_e32 v7, v11, v7
	v_mul_lo_u32 v13, s0, v3
	v_add_u32_e32 v7, v7, v9
	v_mul_lo_u32 v11, v3, v7
	v_mul_hi_u32 v15, v3, v13
	v_mul_hi_u32 v9, v3, v7
	v_add_co_u32_e32 v11, vcc, v15, v11
	v_addc_co_u32_e32 v9, vcc, 0, v9, vcc
	v_mul_hi_u32 v17, v5, v13
	v_mul_lo_u32 v13, v5, v13
	v_add_co_u32_e32 v11, vcc, v11, v13
	v_mul_hi_u32 v15, v5, v7
	v_addc_co_u32_e32 v9, vcc, v9, v17, vcc
	v_addc_co_u32_e32 v11, vcc, 0, v15, vcc
	v_mul_lo_u32 v7, v5, v7
	v_add_co_u32_e32 v7, vcc, v9, v7
	v_addc_co_u32_e32 v9, vcc, 0, v11, vcc
	v_add_co_u32_e32 v3, vcc, v3, v7
	v_addc_co_u32_e32 v5, vcc, v5, v9, vcc
	v_mul_lo_u32 v7, s0, v5
	v_mul_hi_u32 v9, s0, v3
	v_add_u32_e32 v7, v9, v7
	v_mul_lo_u32 v9, s1, v3
	v_add_u32_e32 v7, v7, v9
	v_mul_lo_u32 v11, s0, v3
	v_mul_hi_u32 v13, v5, v11
	v_mul_lo_u32 v15, v5, v11
	v_mul_lo_u32 v20, v3, v7
	v_mul_hi_u32 v11, v3, v11
	v_mul_hi_u32 v17, v3, v7
	v_add_co_u32_e32 v11, vcc, v11, v20
	v_addc_co_u32_e32 v17, vcc, 0, v17, vcc
	v_add_co_u32_e32 v11, vcc, v11, v15
	v_mul_hi_u32 v9, v5, v7
	v_addc_co_u32_e32 v11, vcc, v17, v13, vcc
	v_addc_co_u32_e32 v9, vcc, 0, v9, vcc
	v_mul_lo_u32 v7, v5, v7
	v_add_co_u32_e32 v7, vcc, v11, v7
	v_addc_co_u32_e32 v9, vcc, 0, v9, vcc
	v_add_co_u32_e32 v3, vcc, v3, v7
	v_addc_co_u32_e32 v5, vcc, v5, v9, vcc
	v_ashrrev_i32_e32 v7, 31, v19
	v_add_co_u32_e32 v9, vcc, v18, v7
	v_xor_b32_e32 v9, v9, v7
	v_addc_co_u32_e32 v11, vcc, v19, v7, vcc
	v_mad_u64_u32 v[20:21], s[0:1], v9, v5, 0
	v_mul_hi_u32 v13, v9, v3
	v_xor_b32_e32 v11, v11, v7
	v_add_co_u32_e32 v13, vcc, v13, v20
	v_addc_co_u32_e32 v15, vcc, 0, v21, vcc
	v_mad_u64_u32 v[22:23], s[0:1], v11, v3, 0
	v_add_co_u32_e32 v3, vcc, v13, v22
	v_mad_u64_u32 v[20:21], s[0:1], v11, v5, 0
	v_addc_co_u32_e32 v3, vcc, v15, v23, vcc
	v_addc_co_u32_e32 v5, vcc, 0, v21, vcc
	v_add_co_u32_e32 v3, vcc, v3, v20
	v_addc_co_u32_e32 v5, vcc, 0, v5, vcc
	v_mul_lo_u32 v13, s37, v3
	v_mul_lo_u32 v15, s36, v5
	v_mad_u64_u32 v[20:21], s[0:1], s36, v3, 0
	v_add3_u32 v13, v21, v15, v13
	v_sub_u32_e32 v15, v11, v13
	v_mov_b32_e32 v17, s37
	v_sub_co_u32_e32 v9, vcc, v9, v20
	v_subb_co_u32_e64 v15, s[0:1], v15, v17, vcc
	v_subrev_co_u32_e64 v17, s[0:1], s36, v9
	v_subbrev_co_u32_e64 v15, s[0:1], 0, v15, s[0:1]
	v_cmp_le_u32_e64 s[0:1], s37, v15
	v_cndmask_b32_e64 v19, 0, -1, s[0:1]
	v_cmp_le_u32_e64 s[0:1], s36, v17
	v_cndmask_b32_e64 v17, 0, -1, s[0:1]
	v_cmp_eq_u32_e64 s[0:1], s37, v15
	v_cndmask_b32_e64 v15, v19, v17, s[0:1]
	v_add_co_u32_e64 v17, s[0:1], 2, v3
	v_subb_co_u32_e32 v11, vcc, v11, v13, vcc
	v_addc_co_u32_e64 v19, s[0:1], 0, v5, s[0:1]
	v_cmp_le_u32_e32 vcc, s37, v11
	v_add_co_u32_e64 v20, s[0:1], 1, v3
	v_cndmask_b32_e64 v13, 0, -1, vcc
	v_cmp_le_u32_e32 vcc, s36, v9
	v_addc_co_u32_e64 v21, s[0:1], 0, v5, s[0:1]
	v_cndmask_b32_e64 v9, 0, -1, vcc
	v_cmp_eq_u32_e32 vcc, s37, v11
	v_cmp_ne_u32_e64 s[0:1], 0, v15
	v_cndmask_b32_e32 v9, v13, v9, vcc
	v_cmp_ne_u32_e32 vcc, 0, v9
	v_cndmask_b32_e64 v9, v20, v17, s[0:1]
	v_cndmask_b32_e64 v15, v21, v19, s[0:1]
	v_cndmask_b32_e32 v3, v3, v9, vcc
	v_xor_b32_e32 v9, s35, v7
	v_xor_b32_e32 v7, s34, v7
	v_cndmask_b32_e32 v5, v5, v15, vcc
	v_xor_b32_e32 v3, v3, v7
	v_xor_b32_e32 v5, v5, v9
	v_sub_co_u32_e32 v20, vcc, v3, v7
	v_subb_co_u32_e32 v21, vcc, v5, v9, vcc
.LBB68_49:                              ;   in Loop: Header=BB68_23 Depth=2
	s_andn2_saveexec_b64 s[0:1], s[30:31]
	s_cbranch_execz .LBB68_51
; %bb.50:                               ;   in Loop: Header=BB68_23 Depth=2
	v_cvt_f32_u32_e32 v3, s16
	s_sub_i32 s27, 0, s16
	v_mov_b32_e32 v21, v2
	v_rcp_iflag_f32_e32 v3, v3
	v_mul_f32_e32 v3, 0x4f7ffffe, v3
	v_cvt_u32_f32_e32 v3, v3
	v_mul_lo_u32 v5, s27, v3
	v_mul_hi_u32 v5, v3, v5
	v_add_u32_e32 v3, v3, v5
	v_mul_hi_u32 v3, v18, v3
	v_mul_lo_u32 v5, v3, s16
	v_sub_u32_e32 v5, v18, v5
	v_add_u32_e32 v7, 1, v3
	v_subrev_u32_e32 v9, s16, v5
	v_cmp_le_u32_e32 vcc, s16, v5
	v_cndmask_b32_e32 v5, v5, v9, vcc
	v_cndmask_b32_e32 v3, v3, v7, vcc
	v_add_u32_e32 v7, 1, v3
	v_cmp_le_u32_e32 vcc, s16, v5
	v_cndmask_b32_e32 v20, v3, v7, vcc
.LBB68_51:                              ;   in Loop: Header=BB68_23 Depth=2
	s_or_b64 exec, exec, s[0:1]
	s_add_u32 s0, s43, s28
	s_mov_b32 s27, s17
	s_addc_u32 s1, s44, s29
	s_lshl_b64 s[28:29], s[26:27], 2
	s_add_u32 s30, s39, s28
	s_addc_u32 s31, s40, s29
	s_load_dword s27, s[30:31], 0x0
	s_load_dword s62, s[0:1], 0x0
                                        ; implicit-def: $vgpr22_vgpr23
	s_waitcnt lgkmcnt(0)
	s_ashr_i32 s0, s27, 31
	v_or_b32_e32 v3, s0, v21
	v_cmp_ne_u64_e32 vcc, 0, v[2:3]
	s_and_saveexec_b64 s[30:31], vcc
	s_xor_b64 s[30:31], exec, s[30:31]
	s_cbranch_execz .LBB68_53
; %bb.52:                               ;   in Loop: Header=BB68_23 Depth=2
	s_add_u32 s36, s27, s0
	s_mov_b32 s34, s0
	s_mov_b32 s35, s0
	s_addc_u32 s37, s0, s0
	s_xor_b64 s[36:37], s[36:37], s[34:35]
	v_cvt_f32_u32_e32 v3, s36
	v_cvt_f32_u32_e32 v5, s37
	s_sub_u32 s0, 0, s36
	s_subb_u32 s1, 0, s37
	v_mac_f32_e32 v3, 0x4f800000, v5
	v_rcp_f32_e32 v3, v3
	v_mul_f32_e32 v3, 0x5f7ffffc, v3
	v_mul_f32_e32 v5, 0x2f800000, v3
	v_trunc_f32_e32 v5, v5
	v_mac_f32_e32 v3, 0xcf800000, v5
	v_cvt_u32_f32_e32 v5, v5
	v_cvt_u32_f32_e32 v3, v3
	v_mul_lo_u32 v7, s0, v5
	v_mul_hi_u32 v11, s0, v3
	v_mul_lo_u32 v9, s1, v3
	v_add_u32_e32 v7, v11, v7
	v_mul_lo_u32 v13, s0, v3
	v_add_u32_e32 v7, v7, v9
	v_mul_lo_u32 v11, v3, v7
	v_mul_hi_u32 v15, v3, v13
	v_mul_hi_u32 v9, v3, v7
	v_add_co_u32_e32 v11, vcc, v15, v11
	v_addc_co_u32_e32 v9, vcc, 0, v9, vcc
	v_mul_hi_u32 v17, v5, v13
	v_mul_lo_u32 v13, v5, v13
	v_add_co_u32_e32 v11, vcc, v11, v13
	v_mul_hi_u32 v15, v5, v7
	v_addc_co_u32_e32 v9, vcc, v9, v17, vcc
	v_addc_co_u32_e32 v11, vcc, 0, v15, vcc
	v_mul_lo_u32 v7, v5, v7
	v_add_co_u32_e32 v7, vcc, v9, v7
	v_addc_co_u32_e32 v9, vcc, 0, v11, vcc
	v_add_co_u32_e32 v3, vcc, v3, v7
	v_addc_co_u32_e32 v5, vcc, v5, v9, vcc
	v_mul_lo_u32 v7, s0, v5
	v_mul_hi_u32 v9, s0, v3
	v_add_u32_e32 v7, v9, v7
	v_mul_lo_u32 v9, s1, v3
	v_add_u32_e32 v7, v7, v9
	v_mul_lo_u32 v11, s0, v3
	v_mul_hi_u32 v13, v5, v11
	v_mul_lo_u32 v15, v5, v11
	v_mul_lo_u32 v19, v3, v7
	v_mul_hi_u32 v11, v3, v11
	v_mul_hi_u32 v17, v3, v7
	v_add_co_u32_e32 v11, vcc, v11, v19
	v_addc_co_u32_e32 v17, vcc, 0, v17, vcc
	v_add_co_u32_e32 v11, vcc, v11, v15
	v_mul_hi_u32 v9, v5, v7
	v_addc_co_u32_e32 v11, vcc, v17, v13, vcc
	v_addc_co_u32_e32 v9, vcc, 0, v9, vcc
	v_mul_lo_u32 v7, v5, v7
	v_add_co_u32_e32 v7, vcc, v11, v7
	v_addc_co_u32_e32 v9, vcc, 0, v9, vcc
	v_add_co_u32_e32 v3, vcc, v3, v7
	v_addc_co_u32_e32 v5, vcc, v5, v9, vcc
	v_ashrrev_i32_e32 v7, 31, v21
	v_add_co_u32_e32 v9, vcc, v20, v7
	v_xor_b32_e32 v9, v9, v7
	v_addc_co_u32_e32 v11, vcc, v21, v7, vcc
	v_mad_u64_u32 v[22:23], s[0:1], v9, v5, 0
	v_mul_hi_u32 v13, v9, v3
	v_xor_b32_e32 v11, v11, v7
	v_add_co_u32_e32 v13, vcc, v13, v22
	v_addc_co_u32_e32 v15, vcc, 0, v23, vcc
	v_mad_u64_u32 v[28:29], s[0:1], v11, v3, 0
	v_add_co_u32_e32 v3, vcc, v13, v28
	v_mad_u64_u32 v[22:23], s[0:1], v11, v5, 0
	v_addc_co_u32_e32 v3, vcc, v15, v29, vcc
	v_addc_co_u32_e32 v5, vcc, 0, v23, vcc
	v_add_co_u32_e32 v3, vcc, v3, v22
	v_addc_co_u32_e32 v5, vcc, 0, v5, vcc
	v_mul_lo_u32 v13, s37, v3
	v_mul_lo_u32 v15, s36, v5
	v_mad_u64_u32 v[22:23], s[0:1], s36, v3, 0
	v_add3_u32 v13, v23, v15, v13
	v_sub_u32_e32 v15, v11, v13
	v_mov_b32_e32 v17, s37
	v_sub_co_u32_e32 v9, vcc, v9, v22
	v_subb_co_u32_e64 v15, s[0:1], v15, v17, vcc
	v_subrev_co_u32_e64 v17, s[0:1], s36, v9
	v_subbrev_co_u32_e64 v15, s[0:1], 0, v15, s[0:1]
	v_cmp_le_u32_e64 s[0:1], s37, v15
	v_cndmask_b32_e64 v19, 0, -1, s[0:1]
	v_cmp_le_u32_e64 s[0:1], s36, v17
	v_cndmask_b32_e64 v17, 0, -1, s[0:1]
	v_cmp_eq_u32_e64 s[0:1], s37, v15
	v_cndmask_b32_e64 v15, v19, v17, s[0:1]
	v_add_co_u32_e64 v17, s[0:1], 2, v3
	v_subb_co_u32_e32 v11, vcc, v11, v13, vcc
	v_addc_co_u32_e64 v19, s[0:1], 0, v5, s[0:1]
	v_cmp_le_u32_e32 vcc, s37, v11
	v_add_co_u32_e64 v21, s[0:1], 1, v3
	v_cndmask_b32_e64 v13, 0, -1, vcc
	v_cmp_le_u32_e32 vcc, s36, v9
	v_addc_co_u32_e64 v22, s[0:1], 0, v5, s[0:1]
	v_cndmask_b32_e64 v9, 0, -1, vcc
	v_cmp_eq_u32_e32 vcc, s37, v11
	v_cmp_ne_u32_e64 s[0:1], 0, v15
	v_cndmask_b32_e32 v9, v13, v9, vcc
	v_cmp_ne_u32_e32 vcc, 0, v9
	v_cndmask_b32_e64 v9, v21, v17, s[0:1]
	v_cndmask_b32_e64 v15, v22, v19, s[0:1]
	v_cndmask_b32_e32 v3, v3, v9, vcc
	v_xor_b32_e32 v9, s35, v7
	v_xor_b32_e32 v7, s34, v7
	v_cndmask_b32_e32 v5, v5, v15, vcc
	v_xor_b32_e32 v3, v3, v7
	v_xor_b32_e32 v5, v5, v9
	v_sub_co_u32_e32 v22, vcc, v3, v7
	v_subb_co_u32_e32 v23, vcc, v5, v9, vcc
.LBB68_53:                              ;   in Loop: Header=BB68_23 Depth=2
	s_andn2_saveexec_b64 s[0:1], s[30:31]
	s_cbranch_execz .LBB68_55
; %bb.54:                               ;   in Loop: Header=BB68_23 Depth=2
	v_cvt_f32_u32_e32 v3, s27
	s_sub_i32 s30, 0, s27
	v_mov_b32_e32 v23, v2
	v_rcp_iflag_f32_e32 v3, v3
	v_mul_f32_e32 v3, 0x4f7ffffe, v3
	v_cvt_u32_f32_e32 v3, v3
	v_mul_lo_u32 v5, s30, v3
	v_mul_hi_u32 v5, v3, v5
	v_add_u32_e32 v3, v3, v5
	v_mul_hi_u32 v3, v20, v3
	v_mul_lo_u32 v5, v3, s27
	v_sub_u32_e32 v5, v20, v5
	v_add_u32_e32 v7, 1, v3
	v_subrev_u32_e32 v9, s27, v5
	v_cmp_le_u32_e32 vcc, s27, v5
	v_cndmask_b32_e32 v5, v5, v9, vcc
	v_cndmask_b32_e32 v3, v3, v7, vcc
	v_add_u32_e32 v7, 1, v3
	v_cmp_le_u32_e32 vcc, s27, v5
	v_cndmask_b32_e32 v22, v3, v7, vcc
.LBB68_55:                              ;   in Loop: Header=BB68_23 Depth=2
	s_or_b64 exec, exec, s[0:1]
	v_mul_lo_u32 v3, v8, s50
	v_mul_lo_u32 v5, v10, s51
	v_sub_u32_e32 v3, v6, v3
	v_sub_u32_e32 v5, v8, v5
	v_mul_lo_u32 v3, s52, v3
	v_mul_lo_u32 v5, s54, v5
	v_add3_u32 v3, v3, v4, v5
	v_mul_lo_u32 v4, v12, s53
	v_mul_lo_u32 v5, v14, s55
	v_sub_u32_e32 v4, v10, v4
	v_sub_u32_e32 v5, v12, v5
	s_add_u32 s0, s43, s28
	v_mul_lo_u32 v4, s56, v4
	v_mul_lo_u32 v5, s58, v5
	s_addc_u32 s1, s44, s29
	v_add3_u32 v3, v4, v3, v5
	v_mul_lo_u32 v4, v16, s57
	v_mul_lo_u32 v5, v18, s59
	s_load_dword s0, s[0:1], 0x0
	v_sub_u32_e32 v4, v14, v4
	v_sub_u32_e32 v5, v16, v5
	v_mul_lo_u32 v4, s60, v4
	v_mul_lo_u32 v5, s61, v5
	v_add3_u32 v3, v4, v3, v5
	v_mul_lo_u32 v4, v20, s16
	v_mul_lo_u32 v5, v22, s27
	v_sub_u32_e32 v4, v18, v4
	v_sub_u32_e32 v5, v20, v5
	v_mul_lo_u32 v4, s62, v4
	s_waitcnt lgkmcnt(0)
	v_mul_lo_u32 v5, s0, v5
	s_add_i32 s26, s26, -8
	s_cmp_eq_u32 s26, -8
	v_add3_u32 v4, v4, v3, v5
	s_cbranch_scc1 .LBB68_57
; %bb.56:                               ;   in Loop: Header=BB68_23 Depth=2
	v_pk_mov_b32 v[6:7], v[22:23], v[22:23] op_sel:[0,1]
	s_branch .LBB68_23
.LBB68_57:                              ;   in Loop: Header=BB68_3 Depth=1
	s_load_dword s16, s[14:15], 0x0
	s_waitcnt lgkmcnt(0)
	v_cmp_gt_i32_e32 vcc, s16, v26
	s_and_b64 exec, exec, vcc
	s_cbranch_execz .LBB68_2
; %bb.58:                               ;   in Loop: Header=BB68_3 Depth=1
	v_ashrrev_i32_e32 v5, 31, v4
	v_lshlrev_b64 v[6:7], 1, v[4:5]
	v_mov_b32_e32 v3, s3
	v_add_co_u32_e32 v6, vcc, s2, v6
	v_addc_co_u32_e32 v7, vcc, v3, v7, vcc
	v_add_u32_e32 v3, 1, v26
	v_cmp_gt_i32_e32 vcc, s16, v3
	global_store_short v[6:7], v2, off
	s_and_b64 exec, exec, vcc
	s_cbranch_execz .LBB68_2
; %bb.59:                               ;   in Loop: Header=BB68_3 Depth=1
	v_sub_u32_e32 v6, v3, v25
	v_ashrrev_i32_e32 v7, 31, v6
	v_cmp_gt_i64_e32 vcc, s[8:9], v[6:7]
	s_and_saveexec_b64 s[0:1], vcc
	s_cbranch_execz .LBB68_61
; %bb.60:                               ;   in Loop: Header=BB68_3 Depth=1
	v_add_u32_e32 v6, s49, v4
	v_ashrrev_i32_e32 v7, 31, v6
	v_lshlrev_b64 v[6:7], 1, v[6:7]
	v_mov_b32_e32 v3, s3
	v_add_co_u32_e32 v6, vcc, s2, v6
	v_addc_co_u32_e32 v7, vcc, v3, v7, vcc
	global_store_short v[6:7], v2, off
.LBB68_61:                              ;   in Loop: Header=BB68_3 Depth=1
	s_or_b64 exec, exec, s[0:1]
	v_add_u32_e32 v3, 2, v26
	v_cmp_gt_i32_e32 vcc, s16, v3
	s_and_b64 exec, exec, vcc
	s_cbranch_execz .LBB68_2
; %bb.62:                               ;   in Loop: Header=BB68_3 Depth=1
	v_sub_u32_e32 v6, v3, v25
	v_ashrrev_i32_e32 v7, 31, v6
	v_cmp_gt_i64_e32 vcc, s[8:9], v[6:7]
	s_and_saveexec_b64 s[0:1], vcc
	s_cbranch_execz .LBB68_64
; %bb.63:                               ;   in Loop: Header=BB68_3 Depth=1
	v_lshl_add_u32 v6, s49, 1, v4
	v_ashrrev_i32_e32 v7, 31, v6
	v_lshlrev_b64 v[6:7], 1, v[6:7]
	v_mov_b32_e32 v3, s3
	v_add_co_u32_e32 v6, vcc, s2, v6
	v_addc_co_u32_e32 v7, vcc, v3, v7, vcc
	global_store_short v[6:7], v2, off
.LBB68_64:                              ;   in Loop: Header=BB68_3 Depth=1
	s_or_b64 exec, exec, s[0:1]
	v_add_u32_e32 v3, 3, v26
	v_cmp_gt_i32_e32 vcc, s16, v3
	s_and_b64 exec, exec, vcc
	s_cbranch_execz .LBB68_2
; %bb.65:                               ;   in Loop: Header=BB68_3 Depth=1
	v_sub_u32_e32 v6, v3, v25
	v_ashrrev_i32_e32 v7, 31, v6
	v_cmp_gt_i64_e32 vcc, s[8:9], v[6:7]
	s_and_b64 exec, exec, vcc
	s_cbranch_execz .LBB68_2
; %bb.66:                               ;   in Loop: Header=BB68_3 Depth=1
	v_mad_u64_u32 v[4:5], s[0:1], s49, 3, v[4:5]
	v_ashrrev_i32_e32 v5, 31, v4
	v_lshlrev_b64 v[4:5], 1, v[4:5]
	v_mov_b32_e32 v3, s3
	v_add_co_u32_e32 v4, vcc, s2, v4
	v_addc_co_u32_e32 v5, vcc, v3, v5, vcc
	global_store_short v[4:5], v2, off
	s_branch .LBB68_2
.LBB68_67:
	s_endpgm
	.section	.rodata,"a",@progbits
	.p2align	6, 0x0
	.amdhsa_kernel _ZN2at6native16triu_tril_kernelIsiLb1ELi4ELb1EEEvNS_4cuda6detail10TensorInfoIT_T0_EENS4_IKS5_S6_EEllS6_
		.amdhsa_group_segment_fixed_size 0
		.amdhsa_private_segment_fixed_size 0
		.amdhsa_kernarg_size 712
		.amdhsa_user_sgpr_count 6
		.amdhsa_user_sgpr_private_segment_buffer 1
		.amdhsa_user_sgpr_dispatch_ptr 0
		.amdhsa_user_sgpr_queue_ptr 0
		.amdhsa_user_sgpr_kernarg_segment_ptr 1
		.amdhsa_user_sgpr_dispatch_id 0
		.amdhsa_user_sgpr_flat_scratch_init 0
		.amdhsa_user_sgpr_kernarg_preload_length 0
		.amdhsa_user_sgpr_kernarg_preload_offset 0
		.amdhsa_user_sgpr_private_segment_size 0
		.amdhsa_uses_dynamic_stack 0
		.amdhsa_system_sgpr_private_segment_wavefront_offset 0
		.amdhsa_system_sgpr_workgroup_id_x 1
		.amdhsa_system_sgpr_workgroup_id_y 0
		.amdhsa_system_sgpr_workgroup_id_z 0
		.amdhsa_system_sgpr_workgroup_info 0
		.amdhsa_system_vgpr_workitem_id 0
		.amdhsa_next_free_vgpr 30
		.amdhsa_next_free_sgpr 63
		.amdhsa_accum_offset 32
		.amdhsa_reserve_vcc 1
		.amdhsa_reserve_flat_scratch 0
		.amdhsa_float_round_mode_32 0
		.amdhsa_float_round_mode_16_64 0
		.amdhsa_float_denorm_mode_32 3
		.amdhsa_float_denorm_mode_16_64 3
		.amdhsa_dx10_clamp 1
		.amdhsa_ieee_mode 1
		.amdhsa_fp16_overflow 0
		.amdhsa_tg_split 0
		.amdhsa_exception_fp_ieee_invalid_op 0
		.amdhsa_exception_fp_denorm_src 0
		.amdhsa_exception_fp_ieee_div_zero 0
		.amdhsa_exception_fp_ieee_overflow 0
		.amdhsa_exception_fp_ieee_underflow 0
		.amdhsa_exception_fp_ieee_inexact 0
		.amdhsa_exception_int_div_zero 0
	.end_amdhsa_kernel
	.section	.text._ZN2at6native16triu_tril_kernelIsiLb1ELi4ELb1EEEvNS_4cuda6detail10TensorInfoIT_T0_EENS4_IKS5_S6_EEllS6_,"axG",@progbits,_ZN2at6native16triu_tril_kernelIsiLb1ELi4ELb1EEEvNS_4cuda6detail10TensorInfoIT_T0_EENS4_IKS5_S6_EEllS6_,comdat
.Lfunc_end68:
	.size	_ZN2at6native16triu_tril_kernelIsiLb1ELi4ELb1EEEvNS_4cuda6detail10TensorInfoIT_T0_EENS4_IKS5_S6_EEllS6_, .Lfunc_end68-_ZN2at6native16triu_tril_kernelIsiLb1ELi4ELb1EEEvNS_4cuda6detail10TensorInfoIT_T0_EENS4_IKS5_S6_EEllS6_
                                        ; -- End function
	.section	.AMDGPU.csdata,"",@progbits
; Kernel info:
; codeLenInByte = 10272
; NumSgprs: 67
; NumVgprs: 30
; NumAgprs: 0
; TotalNumVgprs: 30
; ScratchSize: 0
; MemoryBound: 0
; FloatMode: 240
; IeeeMode: 1
; LDSByteSize: 0 bytes/workgroup (compile time only)
; SGPRBlocks: 8
; VGPRBlocks: 3
; NumSGPRsForWavesPerEU: 67
; NumVGPRsForWavesPerEU: 30
; AccumOffset: 32
; Occupancy: 8
; WaveLimiterHint : 0
; COMPUTE_PGM_RSRC2:SCRATCH_EN: 0
; COMPUTE_PGM_RSRC2:USER_SGPR: 6
; COMPUTE_PGM_RSRC2:TRAP_HANDLER: 0
; COMPUTE_PGM_RSRC2:TGID_X_EN: 1
; COMPUTE_PGM_RSRC2:TGID_Y_EN: 0
; COMPUTE_PGM_RSRC2:TGID_Z_EN: 0
; COMPUTE_PGM_RSRC2:TIDIG_COMP_CNT: 0
; COMPUTE_PGM_RSRC3_GFX90A:ACCUM_OFFSET: 7
; COMPUTE_PGM_RSRC3_GFX90A:TG_SPLIT: 0
	.section	.text._ZN2at6native16triu_tril_kernelIsiLb1ELi4ELb0EEEvNS_4cuda6detail10TensorInfoIT_T0_EENS4_IKS5_S6_EEllS6_,"axG",@progbits,_ZN2at6native16triu_tril_kernelIsiLb1ELi4ELb0EEEvNS_4cuda6detail10TensorInfoIT_T0_EENS4_IKS5_S6_EEllS6_,comdat
	.protected	_ZN2at6native16triu_tril_kernelIsiLb1ELi4ELb0EEEvNS_4cuda6detail10TensorInfoIT_T0_EENS4_IKS5_S6_EEllS6_ ; -- Begin function _ZN2at6native16triu_tril_kernelIsiLb1ELi4ELb0EEEvNS_4cuda6detail10TensorInfoIT_T0_EENS4_IKS5_S6_EEllS6_
	.globl	_ZN2at6native16triu_tril_kernelIsiLb1ELi4ELb0EEEvNS_4cuda6detail10TensorInfoIT_T0_EENS4_IKS5_S6_EEllS6_
	.p2align	8
	.type	_ZN2at6native16triu_tril_kernelIsiLb1ELi4ELb0EEEvNS_4cuda6detail10TensorInfoIT_T0_EENS4_IKS5_S6_EEllS6_,@function
_ZN2at6native16triu_tril_kernelIsiLb1ELi4ELb0EEEvNS_4cuda6detail10TensorInfoIT_T0_EENS4_IKS5_S6_EEllS6_: ; @_ZN2at6native16triu_tril_kernelIsiLb1ELi4ELb0EEEvNS_4cuda6detail10TensorInfoIT_T0_EENS4_IKS5_S6_EEllS6_
; %bb.0:
	s_load_dword s2, s[4:5], 0x1d4
	s_load_dwordx4 s[8:11], s[4:5], 0x1b0
	s_add_u32 s0, s4, 0x1c8
	v_mov_b32_e32 v2, 0
	s_addc_u32 s1, s5, 0
	s_waitcnt lgkmcnt(0)
	s_and_b32 s2, s2, 0xffff
	v_mov_b32_e32 v1, v2
	v_mov_b32_e32 v3, s6
	v_mad_u64_u32 v[0:1], s[6:7], s2, v3, v[0:1]
	v_lshlrev_b64 v[0:1], 2, v[0:1]
	s_mov_b32 s33, 0xffff
	v_cmp_gt_i64_e32 vcc, s[10:11], v[0:1]
	s_and_saveexec_b64 s[6:7], vcc
	s_cbranch_execz .LBB69_58
; %bb.1:
	s_load_dword s20, s[4:5], 0x1a8
	s_add_u32 s50, s4, 0xd8
	s_addc_u32 s51, s5, 0
	s_load_dword s3, s[0:1], 0x0
	s_load_dwordx2 s[6:7], s[4:5], 0xd8
	s_mov_b32 s26, s8
	s_waitcnt lgkmcnt(0)
	s_ashr_i32 s21, s20, 31
	s_lshl_b64 s[0:1], s[20:21], 2
	s_add_u32 s18, s0, -8
	s_addc_u32 s19, s1, -1
	s_add_u32 s0, s50, s18
	s_addc_u32 s1, s51, s19
	s_load_dwordx2 s[12:13], s[0:1], 0x8
	s_load_dword s52, s[4:5], 0x1c0
	s_load_dwordx2 s[16:17], s[0:1], 0x6c
	s_mul_i32 s3, s3, s2
	v_cmp_gt_i64_e64 s[14:15], s[20:21], 2
	s_waitcnt lgkmcnt(0)
	s_ashr_i32 s53, s12, 31
	v_cvt_f32_u32_e32 v3, s52
	s_ashr_i32 s54, s52, 31
	s_add_u32 s55, s4, 0x6c
	s_addc_u32 s56, s5, 0
	v_rcp_iflag_f32_e32 v3, v3
	s_add_u32 s0, s55, s18
	s_addc_u32 s1, s56, s19
	s_load_dwordx2 s[18:19], s[0:1], 0x0
	v_mul_f32_e32 v3, 0x4f7ffffe, v3
	s_load_dwordx2 s[4:5], s[4:5], 0x0
	s_add_i32 s57, s20, -3
	s_lshl_b32 s58, s3, 2
	s_and_b32 s60, s20, 3
	v_cvt_u32_f32_e32 v22, v3
	s_cmp_lg_u32 s60, 2
	s_mov_b32 s21, 0
	s_cselect_b64 s[22:23], -1, 0
	s_cmp_gt_u32 s57, 2
	s_mov_b32 s59, s21
	s_cselect_b64 s[24:25], -1, 0
	s_mov_b32 s27, s9
	s_mov_b32 s28, s8
	;; [unrolled: 1-line block ×7, first 2 shown]
	s_ashr_i32 s37, s17, 31
	s_mov_b32 s36, s17
	s_waitcnt lgkmcnt(0)
	s_ashr_i32 s39, s19, 31
	s_mov_b32 s38, s19
	s_mov_b64 s[40:41], 0
	s_mov_b32 s61, 0x5040100
	s_branch .LBB69_3
.LBB69_2:                               ;   in Loop: Header=BB69_3 Depth=1
	s_or_b64 exec, exec, s[0:1]
	v_mov_b32_e32 v3, s59
	v_add_co_u32_e32 v0, vcc, s58, v0
	v_addc_co_u32_e32 v1, vcc, v1, v3, vcc
	v_cmp_le_i64_e32 vcc, s[10:11], v[0:1]
	s_or_b64 s[40:41], vcc, s[40:41]
	s_andn2_b64 exec, exec, s[40:41]
	s_cbranch_execz .LBB69_58
.LBB69_3:                               ; =>This Loop Header: Depth=1
                                        ;     Child Loop BB69_37 Depth 2
                                        ;     Child Loop BB69_18 Depth 2
	v_or_b32_e32 v3, s54, v1
	v_cmp_ne_u64_e32 vcc, 0, v[2:3]
                                        ; implicit-def: $vgpr6_vgpr7
                                        ; implicit-def: $vgpr14_vgpr15
	s_and_saveexec_b64 s[0:1], vcc
	s_xor_b64 s[42:43], exec, s[0:1]
	s_cbranch_execz .LBB69_5
; %bb.4:                                ;   in Loop: Header=BB69_3 Depth=1
	s_add_u32 s0, s52, s54
	s_mov_b32 s2, s54
	s_mov_b32 s3, s54
	s_addc_u32 s1, s54, s54
	s_xor_b64 s[44:45], s[0:1], s[2:3]
	v_cvt_f32_u32_e32 v3, s44
	v_cvt_f32_u32_e32 v4, s45
	s_sub_u32 s0, 0, s44
	s_subb_u32 s1, 0, s45
	v_mac_f32_e32 v3, 0x4f800000, v4
	v_rcp_f32_e32 v3, v3
	v_mul_f32_e32 v3, 0x5f7ffffc, v3
	v_mul_f32_e32 v4, 0x2f800000, v3
	v_trunc_f32_e32 v4, v4
	v_mac_f32_e32 v3, 0xcf800000, v4
	v_cvt_u32_f32_e32 v4, v4
	v_cvt_u32_f32_e32 v3, v3
	v_mul_lo_u32 v5, s0, v4
	v_mul_hi_u32 v7, s0, v3
	v_mul_lo_u32 v6, s1, v3
	v_add_u32_e32 v5, v7, v5
	v_mul_lo_u32 v8, s0, v3
	v_add_u32_e32 v5, v5, v6
	v_mul_lo_u32 v7, v3, v5
	v_mul_hi_u32 v9, v3, v8
	v_mul_hi_u32 v6, v3, v5
	v_add_co_u32_e32 v7, vcc, v9, v7
	v_addc_co_u32_e32 v6, vcc, 0, v6, vcc
	v_mul_hi_u32 v10, v4, v8
	v_mul_lo_u32 v8, v4, v8
	v_add_co_u32_e32 v7, vcc, v7, v8
	v_mul_hi_u32 v9, v4, v5
	v_addc_co_u32_e32 v6, vcc, v6, v10, vcc
	v_addc_co_u32_e32 v7, vcc, 0, v9, vcc
	v_mul_lo_u32 v5, v4, v5
	v_add_co_u32_e32 v5, vcc, v6, v5
	v_addc_co_u32_e32 v6, vcc, 0, v7, vcc
	v_add_co_u32_e32 v3, vcc, v3, v5
	v_addc_co_u32_e32 v4, vcc, v4, v6, vcc
	v_mul_lo_u32 v5, s0, v4
	v_mul_hi_u32 v6, s0, v3
	v_add_u32_e32 v5, v6, v5
	v_mul_lo_u32 v6, s1, v3
	v_add_u32_e32 v5, v5, v6
	v_mul_lo_u32 v7, s0, v3
	v_mul_hi_u32 v8, v4, v7
	v_mul_lo_u32 v9, v4, v7
	v_mul_lo_u32 v11, v3, v5
	v_mul_hi_u32 v7, v3, v7
	v_mul_hi_u32 v10, v3, v5
	v_add_co_u32_e32 v7, vcc, v7, v11
	v_addc_co_u32_e32 v10, vcc, 0, v10, vcc
	v_add_co_u32_e32 v7, vcc, v7, v9
	v_mul_hi_u32 v6, v4, v5
	v_addc_co_u32_e32 v7, vcc, v10, v8, vcc
	v_addc_co_u32_e32 v6, vcc, 0, v6, vcc
	v_mul_lo_u32 v5, v4, v5
	v_add_co_u32_e32 v5, vcc, v7, v5
	v_addc_co_u32_e32 v6, vcc, 0, v6, vcc
	v_add_co_u32_e32 v3, vcc, v3, v5
	v_addc_co_u32_e32 v6, vcc, v4, v6, vcc
	v_ashrrev_i32_e32 v8, 31, v1
	v_add_co_u32_e32 v4, vcc, v0, v8
	v_addc_co_u32_e32 v5, vcc, v1, v8, vcc
	v_xor_b32_e32 v10, v4, v8
	v_xor_b32_e32 v9, v5, v8
	v_mad_u64_u32 v[4:5], s[0:1], v10, v6, 0
	v_mul_hi_u32 v7, v10, v3
	v_add_co_u32_e32 v11, vcc, v7, v4
	v_addc_co_u32_e32 v12, vcc, 0, v5, vcc
	v_mad_u64_u32 v[4:5], s[0:1], v9, v6, 0
	v_mad_u64_u32 v[6:7], s[0:1], v9, v3, 0
	v_add_co_u32_e32 v3, vcc, v11, v6
	v_addc_co_u32_e32 v3, vcc, v12, v7, vcc
	v_addc_co_u32_e32 v5, vcc, 0, v5, vcc
	v_add_co_u32_e32 v3, vcc, v3, v4
	v_addc_co_u32_e32 v6, vcc, 0, v5, vcc
	v_mul_lo_u32 v7, s45, v3
	v_mul_lo_u32 v11, s44, v6
	v_mad_u64_u32 v[4:5], s[0:1], s44, v3, 0
	v_add3_u32 v5, v5, v11, v7
	v_sub_u32_e32 v7, v9, v5
	v_mov_b32_e32 v11, s45
	v_sub_co_u32_e32 v4, vcc, v10, v4
	v_subb_co_u32_e64 v7, s[0:1], v7, v11, vcc
	v_subrev_co_u32_e64 v10, s[0:1], s44, v4
	v_subbrev_co_u32_e64 v7, s[0:1], 0, v7, s[0:1]
	v_cmp_le_u32_e64 s[0:1], s45, v7
	v_cndmask_b32_e64 v11, 0, -1, s[0:1]
	v_cmp_le_u32_e64 s[0:1], s44, v10
	v_cndmask_b32_e64 v12, 0, -1, s[0:1]
	v_cmp_eq_u32_e64 s[0:1], s45, v7
	v_cndmask_b32_e64 v7, v11, v12, s[0:1]
	v_add_co_u32_e64 v11, s[0:1], 2, v3
	v_addc_co_u32_e64 v12, s[0:1], 0, v6, s[0:1]
	v_add_co_u32_e64 v13, s[0:1], 1, v3
	v_subb_co_u32_e32 v5, vcc, v9, v5, vcc
	v_addc_co_u32_e64 v14, s[0:1], 0, v6, s[0:1]
	v_cmp_le_u32_e32 vcc, s45, v5
	v_cmp_ne_u32_e64 s[0:1], 0, v7
	v_cndmask_b32_e64 v9, 0, -1, vcc
	v_cmp_le_u32_e32 vcc, s44, v4
	v_cndmask_b32_e64 v7, v14, v12, s[0:1]
	v_cndmask_b32_e64 v12, 0, -1, vcc
	v_cmp_eq_u32_e32 vcc, s45, v5
	v_cndmask_b32_e32 v5, v9, v12, vcc
	v_cmp_ne_u32_e32 vcc, 0, v5
	v_cndmask_b32_e32 v5, v6, v7, vcc
	v_cndmask_b32_e64 v6, v13, v11, s[0:1]
	v_cndmask_b32_e32 v3, v3, v6, vcc
	v_xor_b32_e32 v7, s2, v8
	v_xor_b32_e32 v6, s3, v8
	;; [unrolled: 1-line block ×4, first 2 shown]
	v_sub_co_u32_e64 v14, s[2:3], v3, v7
	v_subb_co_u32_e64 v15, s[2:3], v5, v6, s[2:3]
	v_subrev_co_u32_e64 v3, s[2:3], s44, v10
	v_cndmask_b32_e64 v3, v10, v3, s[0:1]
	v_cndmask_b32_e32 v3, v4, v3, vcc
	v_xor_b32_e32 v3, v3, v8
	v_sub_co_u32_e32 v6, vcc, v3, v8
.LBB69_5:                               ;   in Loop: Header=BB69_3 Depth=1
	s_andn2_saveexec_b64 s[2:3], s[42:43]
	s_cbranch_execz .LBB69_7
; %bb.6:                                ;   in Loop: Header=BB69_3 Depth=1
	s_sub_i32 s0, 0, s52
	v_mul_lo_u32 v3, s0, v22
	v_mul_hi_u32 v3, v22, v3
	v_add_u32_e32 v3, v22, v3
	v_mul_hi_u32 v3, v0, v3
	v_mul_lo_u32 v4, v3, s52
	v_sub_u32_e32 v4, v0, v4
	v_subrev_u32_e32 v5, s52, v4
	v_cmp_le_u32_e32 vcc, s52, v4
	v_cndmask_b32_e32 v4, v4, v5, vcc
	v_subrev_u32_e32 v5, s52, v4
	v_cmp_le_u32_e64 s[0:1], s52, v4
	v_cndmask_b32_e64 v6, v4, v5, s[0:1]
	v_add_u32_e32 v4, 1, v3
	v_cndmask_b32_e32 v3, v3, v4, vcc
	v_add_u32_e32 v4, 1, v3
	v_cndmask_b32_e64 v14, v3, v4, s[0:1]
	v_mov_b32_e32 v15, v2
.LBB69_7:                               ;   in Loop: Header=BB69_3 Depth=1
	s_or_b64 exec, exec, s[2:3]
	v_or_b32_e32 v3, s53, v15
	v_cmp_ne_u64_e32 vcc, 0, v[2:3]
                                        ; implicit-def: $vgpr8_vgpr9
	s_and_saveexec_b64 s[0:1], vcc
	s_xor_b64 s[2:3], exec, s[0:1]
	s_cbranch_execz .LBB69_9
; %bb.8:                                ;   in Loop: Header=BB69_3 Depth=1
	s_add_u32 s42, s12, s53
	s_mov_b32 s0, s53
	s_mov_b32 s1, s53
	s_addc_u32 s43, s53, s53
	s_xor_b64 s[42:43], s[42:43], s[0:1]
	v_cvt_f32_u32_e32 v4, s42
	v_cvt_f32_u32_e32 v5, s43
	s_sub_u32 s0, 0, s42
	s_subb_u32 s1, 0, s43
	v_mac_f32_e32 v4, 0x4f800000, v5
	v_rcp_f32_e32 v4, v4
	v_mul_f32_e32 v4, 0x5f7ffffc, v4
	v_mul_f32_e32 v5, 0x2f800000, v4
	v_trunc_f32_e32 v5, v5
	v_mac_f32_e32 v4, 0xcf800000, v5
	v_cvt_u32_f32_e32 v5, v5
	v_cvt_u32_f32_e32 v4, v4
	v_mul_lo_u32 v7, s0, v5
	v_mul_hi_u32 v9, s0, v4
	v_mul_lo_u32 v8, s1, v4
	v_add_u32_e32 v7, v9, v7
	v_mul_lo_u32 v10, s0, v4
	v_add_u32_e32 v7, v7, v8
	v_mul_lo_u32 v9, v4, v7
	v_mul_hi_u32 v11, v4, v10
	v_mul_hi_u32 v8, v4, v7
	v_add_co_u32_e32 v9, vcc, v11, v9
	v_addc_co_u32_e32 v8, vcc, 0, v8, vcc
	v_mul_hi_u32 v12, v5, v10
	v_mul_lo_u32 v10, v5, v10
	v_add_co_u32_e32 v9, vcc, v9, v10
	v_mul_hi_u32 v11, v5, v7
	v_addc_co_u32_e32 v8, vcc, v8, v12, vcc
	v_addc_co_u32_e32 v9, vcc, 0, v11, vcc
	v_mul_lo_u32 v7, v5, v7
	v_add_co_u32_e32 v7, vcc, v8, v7
	v_addc_co_u32_e32 v8, vcc, 0, v9, vcc
	v_add_co_u32_e32 v4, vcc, v4, v7
	v_addc_co_u32_e32 v5, vcc, v5, v8, vcc
	v_mul_lo_u32 v7, s0, v5
	v_mul_hi_u32 v8, s0, v4
	v_add_u32_e32 v7, v8, v7
	v_mul_lo_u32 v8, s1, v4
	v_add_u32_e32 v7, v7, v8
	v_mul_lo_u32 v9, s0, v4
	v_mul_hi_u32 v10, v5, v9
	v_mul_lo_u32 v11, v5, v9
	v_mul_lo_u32 v13, v4, v7
	v_mul_hi_u32 v9, v4, v9
	v_mul_hi_u32 v12, v4, v7
	v_add_co_u32_e32 v9, vcc, v9, v13
	v_addc_co_u32_e32 v12, vcc, 0, v12, vcc
	v_add_co_u32_e32 v9, vcc, v9, v11
	v_mul_hi_u32 v8, v5, v7
	v_addc_co_u32_e32 v9, vcc, v12, v10, vcc
	v_addc_co_u32_e32 v8, vcc, 0, v8, vcc
	v_mul_lo_u32 v7, v5, v7
	v_add_co_u32_e32 v7, vcc, v9, v7
	v_addc_co_u32_e32 v8, vcc, 0, v8, vcc
	v_add_co_u32_e32 v7, vcc, v4, v7
	v_addc_co_u32_e32 v8, vcc, v5, v8, vcc
	v_ashrrev_i32_e32 v10, 31, v15
	v_add_co_u32_e32 v4, vcc, v14, v10
	v_addc_co_u32_e32 v5, vcc, v15, v10, vcc
	v_xor_b32_e32 v12, v4, v10
	v_xor_b32_e32 v11, v5, v10
	v_mad_u64_u32 v[4:5], s[0:1], v12, v8, 0
	v_mul_hi_u32 v9, v12, v7
	v_add_co_u32_e32 v13, vcc, v9, v4
	v_addc_co_u32_e32 v16, vcc, 0, v5, vcc
	v_mad_u64_u32 v[4:5], s[0:1], v11, v8, 0
	v_mad_u64_u32 v[8:9], s[0:1], v11, v7, 0
	v_add_co_u32_e32 v7, vcc, v13, v8
	v_addc_co_u32_e32 v7, vcc, v16, v9, vcc
	v_addc_co_u32_e32 v5, vcc, 0, v5, vcc
	v_add_co_u32_e32 v4, vcc, v7, v4
	v_addc_co_u32_e32 v5, vcc, 0, v5, vcc
	v_mul_lo_u32 v7, s43, v4
	v_mul_lo_u32 v8, s42, v5
	v_mad_u64_u32 v[4:5], s[0:1], s42, v4, 0
	v_add3_u32 v5, v5, v8, v7
	v_sub_u32_e32 v7, v11, v5
	v_mov_b32_e32 v8, s43
	v_sub_co_u32_e32 v4, vcc, v12, v4
	v_subb_co_u32_e64 v7, s[0:1], v7, v8, vcc
	v_subrev_co_u32_e64 v8, s[0:1], s42, v4
	v_subbrev_co_u32_e64 v7, s[0:1], 0, v7, s[0:1]
	v_cmp_le_u32_e64 s[0:1], s43, v7
	v_subb_co_u32_e32 v5, vcc, v11, v5, vcc
	v_cndmask_b32_e64 v9, 0, -1, s[0:1]
	v_cmp_le_u32_e64 s[0:1], s42, v8
	v_cmp_le_u32_e32 vcc, s43, v5
	v_cndmask_b32_e64 v12, 0, -1, s[0:1]
	v_cmp_eq_u32_e64 s[0:1], s43, v7
	v_cndmask_b32_e64 v11, 0, -1, vcc
	v_cmp_le_u32_e32 vcc, s42, v4
	v_cndmask_b32_e64 v7, v9, v12, s[0:1]
	v_cndmask_b32_e64 v12, 0, -1, vcc
	v_cmp_eq_u32_e32 vcc, s43, v5
	v_subrev_co_u32_e64 v9, s[0:1], s42, v8
	v_cndmask_b32_e32 v5, v11, v12, vcc
	v_cmp_ne_u32_e32 vcc, 0, v7
	v_cndmask_b32_e32 v7, v8, v9, vcc
	v_cmp_ne_u32_e32 vcc, 0, v5
	v_cndmask_b32_e32 v4, v4, v7, vcc
	v_xor_b32_e32 v4, v4, v10
	v_sub_co_u32_e32 v8, vcc, v4, v10
.LBB69_9:                               ;   in Loop: Header=BB69_3 Depth=1
	s_andn2_saveexec_b64 s[0:1], s[2:3]
	s_cbranch_execz .LBB69_11
; %bb.10:                               ;   in Loop: Header=BB69_3 Depth=1
	v_cvt_f32_u32_e32 v4, s12
	s_sub_i32 s2, 0, s12
	v_rcp_iflag_f32_e32 v4, v4
	v_mul_f32_e32 v4, 0x4f7ffffe, v4
	v_cvt_u32_f32_e32 v4, v4
	v_mul_lo_u32 v5, s2, v4
	v_mul_hi_u32 v5, v4, v5
	v_add_u32_e32 v4, v4, v5
	v_mul_hi_u32 v4, v14, v4
	v_mul_lo_u32 v4, v4, s12
	v_sub_u32_e32 v4, v14, v4
	v_subrev_u32_e32 v5, s12, v4
	v_cmp_le_u32_e32 vcc, s12, v4
	v_cndmask_b32_e32 v4, v4, v5, vcc
	v_subrev_u32_e32 v5, s12, v4
	v_cmp_le_u32_e32 vcc, s12, v4
	v_cndmask_b32_e32 v8, v4, v5, vcc
.LBB69_11:                              ;   in Loop: Header=BB69_3 Depth=1
	s_or_b64 exec, exec, s[0:1]
	v_mul_lo_u32 v4, s17, v6
	v_mad_u64_u32 v[10:11], s[0:1], s16, v8, v[4:5]
	v_mul_lo_u32 v4, s19, v6
	s_andn2_b64 vcc, exec, s[14:15]
	v_mad_u64_u32 v[4:5], s[0:1], s18, v8, v[4:5]
	s_cbranch_vccnz .LBB69_41
; %bb.12:                               ;   in Loop: Header=BB69_3 Depth=1
	v_cmp_ne_u64_e32 vcc, 0, v[2:3]
                                        ; implicit-def: $vgpr12_vgpr13
	s_and_saveexec_b64 s[0:1], vcc
	s_xor_b64 s[2:3], exec, s[0:1]
	s_cbranch_execz .LBB69_14
; %bb.13:                               ;   in Loop: Header=BB69_3 Depth=1
	s_add_u32 s0, s12, s53
	s_mov_b32 s42, s53
	s_mov_b32 s43, s53
	s_addc_u32 s1, s53, s53
	s_xor_b64 s[44:45], s[0:1], s[42:43]
	v_cvt_f32_u32_e32 v3, s44
	v_cvt_f32_u32_e32 v5, s45
	s_sub_u32 s0, 0, s44
	s_subb_u32 s1, 0, s45
	v_mac_f32_e32 v3, 0x4f800000, v5
	v_rcp_f32_e32 v3, v3
	v_mul_f32_e32 v3, 0x5f7ffffc, v3
	v_mul_f32_e32 v5, 0x2f800000, v3
	v_trunc_f32_e32 v5, v5
	v_mac_f32_e32 v3, 0xcf800000, v5
	v_cvt_u32_f32_e32 v5, v5
	v_cvt_u32_f32_e32 v3, v3
	v_mul_lo_u32 v7, s0, v5
	v_mul_hi_u32 v11, s0, v3
	v_mul_lo_u32 v9, s1, v3
	v_add_u32_e32 v7, v11, v7
	v_mul_lo_u32 v12, s0, v3
	v_add_u32_e32 v7, v7, v9
	v_mul_lo_u32 v11, v3, v7
	v_mul_hi_u32 v13, v3, v12
	v_mul_hi_u32 v9, v3, v7
	v_add_co_u32_e32 v11, vcc, v13, v11
	v_addc_co_u32_e32 v9, vcc, 0, v9, vcc
	v_mul_hi_u32 v16, v5, v12
	v_mul_lo_u32 v12, v5, v12
	v_add_co_u32_e32 v11, vcc, v11, v12
	v_mul_hi_u32 v13, v5, v7
	v_addc_co_u32_e32 v9, vcc, v9, v16, vcc
	v_addc_co_u32_e32 v11, vcc, 0, v13, vcc
	v_mul_lo_u32 v7, v5, v7
	v_add_co_u32_e32 v7, vcc, v9, v7
	v_addc_co_u32_e32 v9, vcc, 0, v11, vcc
	v_add_co_u32_e32 v3, vcc, v3, v7
	v_addc_co_u32_e32 v5, vcc, v5, v9, vcc
	v_mul_lo_u32 v7, s0, v5
	v_mul_hi_u32 v9, s0, v3
	v_add_u32_e32 v7, v9, v7
	v_mul_lo_u32 v9, s1, v3
	v_add_u32_e32 v7, v7, v9
	v_mul_lo_u32 v11, s0, v3
	v_mul_hi_u32 v12, v5, v11
	v_mul_lo_u32 v13, v5, v11
	v_mul_lo_u32 v17, v3, v7
	v_mul_hi_u32 v11, v3, v11
	v_mul_hi_u32 v16, v3, v7
	v_add_co_u32_e32 v11, vcc, v11, v17
	v_addc_co_u32_e32 v16, vcc, 0, v16, vcc
	v_add_co_u32_e32 v11, vcc, v11, v13
	v_mul_hi_u32 v9, v5, v7
	v_addc_co_u32_e32 v11, vcc, v16, v12, vcc
	v_addc_co_u32_e32 v9, vcc, 0, v9, vcc
	v_mul_lo_u32 v7, v5, v7
	v_add_co_u32_e32 v7, vcc, v11, v7
	v_addc_co_u32_e32 v9, vcc, 0, v9, vcc
	v_add_co_u32_e32 v3, vcc, v3, v7
	v_addc_co_u32_e32 v5, vcc, v5, v9, vcc
	v_ashrrev_i32_e32 v7, 31, v15
	v_add_co_u32_e32 v9, vcc, v14, v7
	v_xor_b32_e32 v9, v9, v7
	v_addc_co_u32_e32 v11, vcc, v15, v7, vcc
	v_mad_u64_u32 v[12:13], s[0:1], v9, v5, 0
	v_mul_hi_u32 v14, v9, v3
	v_xor_b32_e32 v11, v11, v7
	v_add_co_u32_e32 v16, vcc, v14, v12
	v_addc_co_u32_e32 v17, vcc, 0, v13, vcc
	v_mad_u64_u32 v[14:15], s[0:1], v11, v3, 0
	v_add_co_u32_e32 v3, vcc, v16, v14
	v_mad_u64_u32 v[12:13], s[0:1], v11, v5, 0
	v_addc_co_u32_e32 v3, vcc, v17, v15, vcc
	v_addc_co_u32_e32 v5, vcc, 0, v13, vcc
	v_add_co_u32_e32 v3, vcc, v3, v12
	v_addc_co_u32_e32 v5, vcc, 0, v5, vcc
	v_mul_lo_u32 v14, s45, v3
	v_mul_lo_u32 v15, s44, v5
	v_mad_u64_u32 v[12:13], s[0:1], s44, v3, 0
	v_add3_u32 v13, v13, v15, v14
	v_sub_u32_e32 v14, v11, v13
	v_mov_b32_e32 v15, s45
	v_sub_co_u32_e32 v9, vcc, v9, v12
	v_subb_co_u32_e64 v12, s[0:1], v14, v15, vcc
	v_subrev_co_u32_e64 v14, s[0:1], s44, v9
	v_subbrev_co_u32_e64 v12, s[0:1], 0, v12, s[0:1]
	v_cmp_le_u32_e64 s[0:1], s45, v12
	v_cndmask_b32_e64 v15, 0, -1, s[0:1]
	v_cmp_le_u32_e64 s[0:1], s44, v14
	v_cndmask_b32_e64 v14, 0, -1, s[0:1]
	v_cmp_eq_u32_e64 s[0:1], s45, v12
	v_cndmask_b32_e64 v12, v15, v14, s[0:1]
	v_add_co_u32_e64 v14, s[0:1], 2, v3
	v_subb_co_u32_e32 v11, vcc, v11, v13, vcc
	v_addc_co_u32_e64 v15, s[0:1], 0, v5, s[0:1]
	v_cmp_le_u32_e32 vcc, s45, v11
	v_add_co_u32_e64 v16, s[0:1], 1, v3
	v_cndmask_b32_e64 v13, 0, -1, vcc
	v_cmp_le_u32_e32 vcc, s44, v9
	v_addc_co_u32_e64 v17, s[0:1], 0, v5, s[0:1]
	v_cndmask_b32_e64 v9, 0, -1, vcc
	v_cmp_eq_u32_e32 vcc, s45, v11
	v_cmp_ne_u32_e64 s[0:1], 0, v12
	v_cndmask_b32_e32 v9, v13, v9, vcc
	v_cmp_ne_u32_e32 vcc, 0, v9
	v_cndmask_b32_e64 v9, v16, v14, s[0:1]
	v_cndmask_b32_e64 v12, v17, v15, s[0:1]
	v_cndmask_b32_e32 v3, v3, v9, vcc
	v_xor_b32_e32 v9, s43, v7
	v_xor_b32_e32 v7, s42, v7
	v_cndmask_b32_e32 v5, v5, v12, vcc
	v_xor_b32_e32 v3, v3, v7
	v_xor_b32_e32 v5, v5, v9
	v_sub_co_u32_e32 v12, vcc, v3, v7
	v_subb_co_u32_e32 v13, vcc, v5, v9, vcc
                                        ; implicit-def: $vgpr14_vgpr15
.LBB69_14:                              ;   in Loop: Header=BB69_3 Depth=1
	s_andn2_saveexec_b64 s[0:1], s[2:3]
	s_cbranch_execz .LBB69_16
; %bb.15:                               ;   in Loop: Header=BB69_3 Depth=1
	v_cvt_f32_u32_e32 v3, s12
	s_sub_i32 s2, 0, s12
	v_mov_b32_e32 v13, v2
	v_rcp_iflag_f32_e32 v3, v3
	v_mul_f32_e32 v3, 0x4f7ffffe, v3
	v_cvt_u32_f32_e32 v3, v3
	v_mul_lo_u32 v5, s2, v3
	v_mul_hi_u32 v5, v3, v5
	v_add_u32_e32 v3, v3, v5
	v_mul_hi_u32 v3, v14, v3
	v_mul_lo_u32 v5, v3, s12
	v_sub_u32_e32 v5, v14, v5
	v_add_u32_e32 v7, 1, v3
	v_subrev_u32_e32 v9, s12, v5
	v_cmp_le_u32_e32 vcc, s12, v5
	v_cndmask_b32_e32 v5, v5, v9, vcc
	v_cndmask_b32_e32 v3, v3, v7, vcc
	v_add_u32_e32 v7, 1, v3
	v_cmp_le_u32_e32 vcc, s12, v5
	v_cndmask_b32_e32 v12, v3, v7, vcc
.LBB69_16:                              ;   in Loop: Header=BB69_3 Depth=1
	s_or_b64 exec, exec, s[0:1]
	s_andn2_b64 vcc, exec, s[22:23]
	s_mov_b32 s62, 1
	s_mov_b32 s20, s57
	s_cbranch_vccz .LBB69_37
.LBB69_17:                              ;   in Loop: Header=BB69_3 Depth=1
	s_and_b64 vcc, exec, s[24:25]
	s_cbranch_vccz .LBB69_41
.LBB69_18:                              ;   Parent Loop BB69_3 Depth=1
                                        ; =>  This Inner Loop Header: Depth=2
	s_lshl_b64 s[2:3], s[20:21], 2
	s_add_u32 s42, s50, s2
	s_addc_u32 s43, s51, s3
	s_load_dword s62, s[42:43], 0x8
                                        ; implicit-def: $vgpr14_vgpr15
	s_waitcnt lgkmcnt(0)
	s_ashr_i32 s0, s62, 31
	v_or_b32_e32 v3, s0, v13
	v_cmp_ne_u64_e32 vcc, 0, v[2:3]
	s_and_saveexec_b64 s[44:45], vcc
	s_xor_b64 s[44:45], exec, s[44:45]
	s_cbranch_execz .LBB69_20
; %bb.19:                               ;   in Loop: Header=BB69_18 Depth=2
	s_add_u32 s48, s62, s0
	s_mov_b32 s46, s0
	s_mov_b32 s47, s0
	s_addc_u32 s49, s0, s0
	s_xor_b64 s[48:49], s[48:49], s[46:47]
	v_cvt_f32_u32_e32 v3, s48
	v_cvt_f32_u32_e32 v5, s49
	s_sub_u32 s0, 0, s48
	s_subb_u32 s1, 0, s49
	v_mac_f32_e32 v3, 0x4f800000, v5
	v_rcp_f32_e32 v3, v3
	v_mul_f32_e32 v3, 0x5f7ffffc, v3
	v_mul_f32_e32 v5, 0x2f800000, v3
	v_trunc_f32_e32 v5, v5
	v_mac_f32_e32 v3, 0xcf800000, v5
	v_cvt_u32_f32_e32 v5, v5
	v_cvt_u32_f32_e32 v3, v3
	v_mul_lo_u32 v7, s0, v5
	v_mul_hi_u32 v11, s0, v3
	v_mul_lo_u32 v9, s1, v3
	v_add_u32_e32 v7, v11, v7
	v_mul_lo_u32 v14, s0, v3
	v_add_u32_e32 v7, v7, v9
	v_mul_lo_u32 v11, v3, v7
	v_mul_hi_u32 v15, v3, v14
	v_mul_hi_u32 v9, v3, v7
	v_add_co_u32_e32 v11, vcc, v15, v11
	v_addc_co_u32_e32 v9, vcc, 0, v9, vcc
	v_mul_hi_u32 v16, v5, v14
	v_mul_lo_u32 v14, v5, v14
	v_add_co_u32_e32 v11, vcc, v11, v14
	v_mul_hi_u32 v15, v5, v7
	v_addc_co_u32_e32 v9, vcc, v9, v16, vcc
	v_addc_co_u32_e32 v11, vcc, 0, v15, vcc
	v_mul_lo_u32 v7, v5, v7
	v_add_co_u32_e32 v7, vcc, v9, v7
	v_addc_co_u32_e32 v9, vcc, 0, v11, vcc
	v_add_co_u32_e32 v3, vcc, v3, v7
	v_addc_co_u32_e32 v5, vcc, v5, v9, vcc
	v_mul_lo_u32 v7, s0, v5
	v_mul_hi_u32 v9, s0, v3
	v_add_u32_e32 v7, v9, v7
	v_mul_lo_u32 v9, s1, v3
	v_add_u32_e32 v7, v7, v9
	v_mul_lo_u32 v11, s0, v3
	v_mul_hi_u32 v14, v5, v11
	v_mul_lo_u32 v15, v5, v11
	v_mul_lo_u32 v17, v3, v7
	v_mul_hi_u32 v11, v3, v11
	v_mul_hi_u32 v16, v3, v7
	v_add_co_u32_e32 v11, vcc, v11, v17
	v_addc_co_u32_e32 v16, vcc, 0, v16, vcc
	v_add_co_u32_e32 v11, vcc, v11, v15
	v_mul_hi_u32 v9, v5, v7
	v_addc_co_u32_e32 v11, vcc, v16, v14, vcc
	v_addc_co_u32_e32 v9, vcc, 0, v9, vcc
	v_mul_lo_u32 v7, v5, v7
	v_add_co_u32_e32 v7, vcc, v11, v7
	v_addc_co_u32_e32 v9, vcc, 0, v9, vcc
	v_add_co_u32_e32 v3, vcc, v3, v7
	v_addc_co_u32_e32 v5, vcc, v5, v9, vcc
	v_ashrrev_i32_e32 v7, 31, v13
	v_add_co_u32_e32 v9, vcc, v12, v7
	v_xor_b32_e32 v9, v9, v7
	v_addc_co_u32_e32 v11, vcc, v13, v7, vcc
	v_mad_u64_u32 v[14:15], s[0:1], v9, v5, 0
	v_mul_hi_u32 v13, v9, v3
	v_xor_b32_e32 v11, v11, v7
	v_add_co_u32_e32 v13, vcc, v13, v14
	v_addc_co_u32_e32 v18, vcc, 0, v15, vcc
	v_mad_u64_u32 v[16:17], s[0:1], v11, v3, 0
	v_add_co_u32_e32 v3, vcc, v13, v16
	v_mad_u64_u32 v[14:15], s[0:1], v11, v5, 0
	v_addc_co_u32_e32 v3, vcc, v18, v17, vcc
	v_addc_co_u32_e32 v5, vcc, 0, v15, vcc
	v_add_co_u32_e32 v3, vcc, v3, v14
	v_addc_co_u32_e32 v5, vcc, 0, v5, vcc
	v_mul_lo_u32 v13, s49, v3
	v_mul_lo_u32 v16, s48, v5
	v_mad_u64_u32 v[14:15], s[0:1], s48, v3, 0
	v_add3_u32 v13, v15, v16, v13
	v_sub_u32_e32 v15, v11, v13
	v_mov_b32_e32 v16, s49
	v_sub_co_u32_e32 v9, vcc, v9, v14
	v_subb_co_u32_e64 v14, s[0:1], v15, v16, vcc
	v_subrev_co_u32_e64 v15, s[0:1], s48, v9
	v_subbrev_co_u32_e64 v14, s[0:1], 0, v14, s[0:1]
	v_cmp_le_u32_e64 s[0:1], s49, v14
	v_cndmask_b32_e64 v16, 0, -1, s[0:1]
	v_cmp_le_u32_e64 s[0:1], s48, v15
	v_cndmask_b32_e64 v15, 0, -1, s[0:1]
	v_cmp_eq_u32_e64 s[0:1], s49, v14
	v_cndmask_b32_e64 v14, v16, v15, s[0:1]
	v_add_co_u32_e64 v15, s[0:1], 2, v3
	v_subb_co_u32_e32 v11, vcc, v11, v13, vcc
	v_addc_co_u32_e64 v16, s[0:1], 0, v5, s[0:1]
	v_cmp_le_u32_e32 vcc, s49, v11
	v_add_co_u32_e64 v17, s[0:1], 1, v3
	v_cndmask_b32_e64 v13, 0, -1, vcc
	v_cmp_le_u32_e32 vcc, s48, v9
	v_addc_co_u32_e64 v18, s[0:1], 0, v5, s[0:1]
	v_cndmask_b32_e64 v9, 0, -1, vcc
	v_cmp_eq_u32_e32 vcc, s49, v11
	v_cmp_ne_u32_e64 s[0:1], 0, v14
	v_cndmask_b32_e32 v9, v13, v9, vcc
	v_cmp_ne_u32_e32 vcc, 0, v9
	v_cndmask_b32_e64 v9, v17, v15, s[0:1]
	v_cndmask_b32_e64 v14, v18, v16, s[0:1]
	v_cndmask_b32_e32 v3, v3, v9, vcc
	v_xor_b32_e32 v9, s47, v7
	v_xor_b32_e32 v7, s46, v7
	v_cndmask_b32_e32 v5, v5, v14, vcc
	v_xor_b32_e32 v3, v3, v7
	v_xor_b32_e32 v5, v5, v9
	v_sub_co_u32_e32 v14, vcc, v3, v7
	v_subb_co_u32_e32 v15, vcc, v5, v9, vcc
.LBB69_20:                              ;   in Loop: Header=BB69_18 Depth=2
	s_andn2_saveexec_b64 s[0:1], s[44:45]
	s_cbranch_execz .LBB69_22
; %bb.21:                               ;   in Loop: Header=BB69_18 Depth=2
	v_cvt_f32_u32_e32 v3, s62
	s_sub_i32 s44, 0, s62
	v_mov_b32_e32 v15, v2
	v_rcp_iflag_f32_e32 v3, v3
	v_mul_f32_e32 v3, 0x4f7ffffe, v3
	v_cvt_u32_f32_e32 v3, v3
	v_mul_lo_u32 v5, s44, v3
	v_mul_hi_u32 v5, v3, v5
	v_add_u32_e32 v3, v3, v5
	v_mul_hi_u32 v3, v12, v3
	v_mul_lo_u32 v5, v3, s62
	v_sub_u32_e32 v5, v12, v5
	v_add_u32_e32 v7, 1, v3
	v_subrev_u32_e32 v9, s62, v5
	v_cmp_le_u32_e32 vcc, s62, v5
	v_cndmask_b32_e32 v5, v5, v9, vcc
	v_cndmask_b32_e32 v3, v3, v7, vcc
	v_add_u32_e32 v7, 1, v3
	v_cmp_le_u32_e32 vcc, s62, v5
	v_cndmask_b32_e32 v14, v3, v7, vcc
.LBB69_22:                              ;   in Loop: Header=BB69_18 Depth=2
	s_or_b64 exec, exec, s[0:1]
	s_add_u32 s0, s55, s2
	s_addc_u32 s1, s56, s3
	s_add_i32 s2, s20, -1
	s_mov_b32 s3, s21
	s_lshl_b64 s[44:45], s[2:3], 2
	s_add_u32 s2, s50, s44
	s_addc_u32 s3, s51, s45
	s_load_dword s63, s[2:3], 0x8
	s_load_dword s64, s[42:43], 0x6c
	;; [unrolled: 1-line block ×3, first 2 shown]
                                        ; implicit-def: $vgpr16_vgpr17
	s_waitcnt lgkmcnt(0)
	s_ashr_i32 s0, s63, 31
	v_or_b32_e32 v3, s0, v15
	v_cmp_ne_u64_e32 vcc, 0, v[2:3]
	s_and_saveexec_b64 s[42:43], vcc
	s_xor_b64 s[42:43], exec, s[42:43]
	s_cbranch_execz .LBB69_24
; %bb.23:                               ;   in Loop: Header=BB69_18 Depth=2
	s_add_u32 s48, s63, s0
	s_mov_b32 s46, s0
	s_mov_b32 s47, s0
	s_addc_u32 s49, s0, s0
	s_xor_b64 s[48:49], s[48:49], s[46:47]
	v_cvt_f32_u32_e32 v3, s48
	v_cvt_f32_u32_e32 v5, s49
	s_sub_u32 s0, 0, s48
	s_subb_u32 s1, 0, s49
	v_mac_f32_e32 v3, 0x4f800000, v5
	v_rcp_f32_e32 v3, v3
	v_mul_f32_e32 v3, 0x5f7ffffc, v3
	v_mul_f32_e32 v5, 0x2f800000, v3
	v_trunc_f32_e32 v5, v5
	v_mac_f32_e32 v3, 0xcf800000, v5
	v_cvt_u32_f32_e32 v5, v5
	v_cvt_u32_f32_e32 v3, v3
	v_mul_lo_u32 v7, s0, v5
	v_mul_hi_u32 v11, s0, v3
	v_mul_lo_u32 v9, s1, v3
	v_add_u32_e32 v7, v11, v7
	v_mul_lo_u32 v13, s0, v3
	v_add_u32_e32 v7, v7, v9
	v_mul_lo_u32 v11, v3, v7
	v_mul_hi_u32 v16, v3, v13
	v_mul_hi_u32 v9, v3, v7
	v_add_co_u32_e32 v11, vcc, v16, v11
	v_addc_co_u32_e32 v9, vcc, 0, v9, vcc
	v_mul_hi_u32 v17, v5, v13
	v_mul_lo_u32 v13, v5, v13
	v_add_co_u32_e32 v11, vcc, v11, v13
	v_mul_hi_u32 v16, v5, v7
	v_addc_co_u32_e32 v9, vcc, v9, v17, vcc
	v_addc_co_u32_e32 v11, vcc, 0, v16, vcc
	v_mul_lo_u32 v7, v5, v7
	v_add_co_u32_e32 v7, vcc, v9, v7
	v_addc_co_u32_e32 v9, vcc, 0, v11, vcc
	v_add_co_u32_e32 v3, vcc, v3, v7
	v_addc_co_u32_e32 v5, vcc, v5, v9, vcc
	v_mul_lo_u32 v7, s0, v5
	v_mul_hi_u32 v9, s0, v3
	v_add_u32_e32 v7, v9, v7
	v_mul_lo_u32 v9, s1, v3
	v_add_u32_e32 v7, v7, v9
	v_mul_lo_u32 v11, s0, v3
	v_mul_hi_u32 v13, v5, v11
	v_mul_lo_u32 v16, v5, v11
	v_mul_lo_u32 v18, v3, v7
	v_mul_hi_u32 v11, v3, v11
	v_mul_hi_u32 v17, v3, v7
	v_add_co_u32_e32 v11, vcc, v11, v18
	v_addc_co_u32_e32 v17, vcc, 0, v17, vcc
	v_add_co_u32_e32 v11, vcc, v11, v16
	v_mul_hi_u32 v9, v5, v7
	v_addc_co_u32_e32 v11, vcc, v17, v13, vcc
	v_addc_co_u32_e32 v9, vcc, 0, v9, vcc
	v_mul_lo_u32 v7, v5, v7
	v_add_co_u32_e32 v7, vcc, v11, v7
	v_addc_co_u32_e32 v9, vcc, 0, v9, vcc
	v_add_co_u32_e32 v3, vcc, v3, v7
	v_addc_co_u32_e32 v5, vcc, v5, v9, vcc
	v_ashrrev_i32_e32 v7, 31, v15
	v_add_co_u32_e32 v9, vcc, v14, v7
	v_xor_b32_e32 v9, v9, v7
	v_addc_co_u32_e32 v11, vcc, v15, v7, vcc
	v_mad_u64_u32 v[16:17], s[0:1], v9, v5, 0
	v_mul_hi_u32 v13, v9, v3
	v_xor_b32_e32 v11, v11, v7
	v_add_co_u32_e32 v13, vcc, v13, v16
	v_addc_co_u32_e32 v15, vcc, 0, v17, vcc
	v_mad_u64_u32 v[18:19], s[0:1], v11, v3, 0
	v_add_co_u32_e32 v3, vcc, v13, v18
	v_mad_u64_u32 v[16:17], s[0:1], v11, v5, 0
	v_addc_co_u32_e32 v3, vcc, v15, v19, vcc
	v_addc_co_u32_e32 v5, vcc, 0, v17, vcc
	v_add_co_u32_e32 v3, vcc, v3, v16
	v_addc_co_u32_e32 v5, vcc, 0, v5, vcc
	v_mul_lo_u32 v13, s49, v3
	v_mul_lo_u32 v15, s48, v5
	v_mad_u64_u32 v[16:17], s[0:1], s48, v3, 0
	v_add3_u32 v13, v17, v15, v13
	v_sub_u32_e32 v15, v11, v13
	v_mov_b32_e32 v17, s49
	v_sub_co_u32_e32 v9, vcc, v9, v16
	v_subb_co_u32_e64 v15, s[0:1], v15, v17, vcc
	v_subrev_co_u32_e64 v16, s[0:1], s48, v9
	v_subbrev_co_u32_e64 v15, s[0:1], 0, v15, s[0:1]
	v_cmp_le_u32_e64 s[0:1], s49, v15
	v_cndmask_b32_e64 v17, 0, -1, s[0:1]
	v_cmp_le_u32_e64 s[0:1], s48, v16
	v_cndmask_b32_e64 v16, 0, -1, s[0:1]
	v_cmp_eq_u32_e64 s[0:1], s49, v15
	v_cndmask_b32_e64 v15, v17, v16, s[0:1]
	v_add_co_u32_e64 v16, s[0:1], 2, v3
	v_subb_co_u32_e32 v11, vcc, v11, v13, vcc
	v_addc_co_u32_e64 v17, s[0:1], 0, v5, s[0:1]
	v_cmp_le_u32_e32 vcc, s49, v11
	v_add_co_u32_e64 v18, s[0:1], 1, v3
	v_cndmask_b32_e64 v13, 0, -1, vcc
	v_cmp_le_u32_e32 vcc, s48, v9
	v_addc_co_u32_e64 v19, s[0:1], 0, v5, s[0:1]
	v_cndmask_b32_e64 v9, 0, -1, vcc
	v_cmp_eq_u32_e32 vcc, s49, v11
	v_cmp_ne_u32_e64 s[0:1], 0, v15
	v_cndmask_b32_e32 v9, v13, v9, vcc
	v_cmp_ne_u32_e32 vcc, 0, v9
	v_cndmask_b32_e64 v9, v18, v16, s[0:1]
	v_cndmask_b32_e64 v15, v19, v17, s[0:1]
	v_cndmask_b32_e32 v3, v3, v9, vcc
	v_xor_b32_e32 v9, s47, v7
	v_xor_b32_e32 v7, s46, v7
	v_cndmask_b32_e32 v5, v5, v15, vcc
	v_xor_b32_e32 v3, v3, v7
	v_xor_b32_e32 v5, v5, v9
	v_sub_co_u32_e32 v16, vcc, v3, v7
	v_subb_co_u32_e32 v17, vcc, v5, v9, vcc
.LBB69_24:                              ;   in Loop: Header=BB69_18 Depth=2
	s_andn2_saveexec_b64 s[0:1], s[42:43]
	s_cbranch_execz .LBB69_26
; %bb.25:                               ;   in Loop: Header=BB69_18 Depth=2
	v_cvt_f32_u32_e32 v3, s63
	s_sub_i32 s42, 0, s63
	v_mov_b32_e32 v17, v2
	v_rcp_iflag_f32_e32 v3, v3
	v_mul_f32_e32 v3, 0x4f7ffffe, v3
	v_cvt_u32_f32_e32 v3, v3
	v_mul_lo_u32 v5, s42, v3
	v_mul_hi_u32 v5, v3, v5
	v_add_u32_e32 v3, v3, v5
	v_mul_hi_u32 v3, v14, v3
	v_mul_lo_u32 v5, v3, s63
	v_sub_u32_e32 v5, v14, v5
	v_add_u32_e32 v7, 1, v3
	v_subrev_u32_e32 v9, s63, v5
	v_cmp_le_u32_e32 vcc, s63, v5
	v_cndmask_b32_e32 v5, v5, v9, vcc
	v_cndmask_b32_e32 v3, v3, v7, vcc
	v_add_u32_e32 v7, 1, v3
	v_cmp_le_u32_e32 vcc, s63, v5
	v_cndmask_b32_e32 v16, v3, v7, vcc
.LBB69_26:                              ;   in Loop: Header=BB69_18 Depth=2
	s_or_b64 exec, exec, s[0:1]
	s_add_u32 s0, s55, s44
	s_addc_u32 s1, s56, s45
	s_add_i32 s42, s20, -2
	s_mov_b32 s43, s21
	s_lshl_b64 s[42:43], s[42:43], 2
	s_add_u32 s44, s50, s42
	s_addc_u32 s45, s51, s43
	s_load_dword s66, s[44:45], 0x8
	s_load_dword s68, s[2:3], 0x6c
	;; [unrolled: 1-line block ×3, first 2 shown]
                                        ; implicit-def: $vgpr18_vgpr19
	s_waitcnt lgkmcnt(0)
	s_ashr_i32 s0, s66, 31
	v_or_b32_e32 v3, s0, v17
	v_cmp_ne_u64_e32 vcc, 0, v[2:3]
	s_and_saveexec_b64 s[2:3], vcc
	s_xor_b64 s[2:3], exec, s[2:3]
	s_cbranch_execz .LBB69_28
; %bb.27:                               ;   in Loop: Header=BB69_18 Depth=2
	s_add_u32 s48, s66, s0
	s_mov_b32 s46, s0
	s_mov_b32 s47, s0
	s_addc_u32 s49, s0, s0
	s_xor_b64 s[48:49], s[48:49], s[46:47]
	v_cvt_f32_u32_e32 v3, s48
	v_cvt_f32_u32_e32 v5, s49
	s_sub_u32 s0, 0, s48
	s_subb_u32 s1, 0, s49
	v_mac_f32_e32 v3, 0x4f800000, v5
	v_rcp_f32_e32 v3, v3
	v_mul_f32_e32 v3, 0x5f7ffffc, v3
	v_mul_f32_e32 v5, 0x2f800000, v3
	v_trunc_f32_e32 v5, v5
	v_mac_f32_e32 v3, 0xcf800000, v5
	v_cvt_u32_f32_e32 v5, v5
	v_cvt_u32_f32_e32 v3, v3
	v_mul_lo_u32 v7, s0, v5
	v_mul_hi_u32 v11, s0, v3
	v_mul_lo_u32 v9, s1, v3
	v_add_u32_e32 v7, v11, v7
	v_mul_lo_u32 v13, s0, v3
	v_add_u32_e32 v7, v7, v9
	v_mul_lo_u32 v11, v3, v7
	v_mul_hi_u32 v15, v3, v13
	v_mul_hi_u32 v9, v3, v7
	v_add_co_u32_e32 v11, vcc, v15, v11
	v_addc_co_u32_e32 v9, vcc, 0, v9, vcc
	v_mul_hi_u32 v18, v5, v13
	v_mul_lo_u32 v13, v5, v13
	v_add_co_u32_e32 v11, vcc, v11, v13
	v_mul_hi_u32 v15, v5, v7
	v_addc_co_u32_e32 v9, vcc, v9, v18, vcc
	v_addc_co_u32_e32 v11, vcc, 0, v15, vcc
	v_mul_lo_u32 v7, v5, v7
	v_add_co_u32_e32 v7, vcc, v9, v7
	v_addc_co_u32_e32 v9, vcc, 0, v11, vcc
	v_add_co_u32_e32 v3, vcc, v3, v7
	v_addc_co_u32_e32 v5, vcc, v5, v9, vcc
	v_mul_lo_u32 v7, s0, v5
	v_mul_hi_u32 v9, s0, v3
	v_add_u32_e32 v7, v9, v7
	v_mul_lo_u32 v9, s1, v3
	v_add_u32_e32 v7, v7, v9
	v_mul_lo_u32 v11, s0, v3
	v_mul_hi_u32 v13, v5, v11
	v_mul_lo_u32 v15, v5, v11
	v_mul_lo_u32 v19, v3, v7
	v_mul_hi_u32 v11, v3, v11
	v_mul_hi_u32 v18, v3, v7
	v_add_co_u32_e32 v11, vcc, v11, v19
	v_addc_co_u32_e32 v18, vcc, 0, v18, vcc
	v_add_co_u32_e32 v11, vcc, v11, v15
	v_mul_hi_u32 v9, v5, v7
	v_addc_co_u32_e32 v11, vcc, v18, v13, vcc
	v_addc_co_u32_e32 v9, vcc, 0, v9, vcc
	v_mul_lo_u32 v7, v5, v7
	v_add_co_u32_e32 v7, vcc, v11, v7
	v_addc_co_u32_e32 v9, vcc, 0, v9, vcc
	v_add_co_u32_e32 v3, vcc, v3, v7
	v_addc_co_u32_e32 v5, vcc, v5, v9, vcc
	v_ashrrev_i32_e32 v7, 31, v17
	v_add_co_u32_e32 v9, vcc, v16, v7
	v_xor_b32_e32 v9, v9, v7
	v_addc_co_u32_e32 v11, vcc, v17, v7, vcc
	v_mad_u64_u32 v[18:19], s[0:1], v9, v5, 0
	v_mul_hi_u32 v13, v9, v3
	v_xor_b32_e32 v11, v11, v7
	v_add_co_u32_e32 v13, vcc, v13, v18
	v_addc_co_u32_e32 v15, vcc, 0, v19, vcc
	v_mad_u64_u32 v[20:21], s[0:1], v11, v3, 0
	v_add_co_u32_e32 v3, vcc, v13, v20
	v_mad_u64_u32 v[18:19], s[0:1], v11, v5, 0
	v_addc_co_u32_e32 v3, vcc, v15, v21, vcc
	v_addc_co_u32_e32 v5, vcc, 0, v19, vcc
	v_add_co_u32_e32 v3, vcc, v3, v18
	v_addc_co_u32_e32 v5, vcc, 0, v5, vcc
	v_mul_lo_u32 v13, s49, v3
	v_mul_lo_u32 v15, s48, v5
	v_mad_u64_u32 v[18:19], s[0:1], s48, v3, 0
	v_add3_u32 v13, v19, v15, v13
	v_sub_u32_e32 v15, v11, v13
	v_mov_b32_e32 v17, s49
	v_sub_co_u32_e32 v9, vcc, v9, v18
	v_subb_co_u32_e64 v15, s[0:1], v15, v17, vcc
	v_subrev_co_u32_e64 v17, s[0:1], s48, v9
	v_subbrev_co_u32_e64 v15, s[0:1], 0, v15, s[0:1]
	v_cmp_le_u32_e64 s[0:1], s49, v15
	v_cndmask_b32_e64 v18, 0, -1, s[0:1]
	v_cmp_le_u32_e64 s[0:1], s48, v17
	v_cndmask_b32_e64 v17, 0, -1, s[0:1]
	v_cmp_eq_u32_e64 s[0:1], s49, v15
	v_cndmask_b32_e64 v15, v18, v17, s[0:1]
	v_add_co_u32_e64 v17, s[0:1], 2, v3
	v_subb_co_u32_e32 v11, vcc, v11, v13, vcc
	v_addc_co_u32_e64 v18, s[0:1], 0, v5, s[0:1]
	v_cmp_le_u32_e32 vcc, s49, v11
	v_add_co_u32_e64 v19, s[0:1], 1, v3
	v_cndmask_b32_e64 v13, 0, -1, vcc
	v_cmp_le_u32_e32 vcc, s48, v9
	v_addc_co_u32_e64 v20, s[0:1], 0, v5, s[0:1]
	v_cndmask_b32_e64 v9, 0, -1, vcc
	v_cmp_eq_u32_e32 vcc, s49, v11
	v_cmp_ne_u32_e64 s[0:1], 0, v15
	v_cndmask_b32_e32 v9, v13, v9, vcc
	v_cmp_ne_u32_e32 vcc, 0, v9
	v_cndmask_b32_e64 v9, v19, v17, s[0:1]
	v_cndmask_b32_e64 v15, v20, v18, s[0:1]
	v_cndmask_b32_e32 v3, v3, v9, vcc
	v_xor_b32_e32 v9, s47, v7
	v_xor_b32_e32 v7, s46, v7
	v_cndmask_b32_e32 v5, v5, v15, vcc
	v_xor_b32_e32 v3, v3, v7
	v_xor_b32_e32 v5, v5, v9
	v_sub_co_u32_e32 v18, vcc, v3, v7
	v_subb_co_u32_e32 v19, vcc, v5, v9, vcc
.LBB69_28:                              ;   in Loop: Header=BB69_18 Depth=2
	s_andn2_saveexec_b64 s[0:1], s[2:3]
	s_cbranch_execz .LBB69_30
; %bb.29:                               ;   in Loop: Header=BB69_18 Depth=2
	v_cvt_f32_u32_e32 v3, s66
	s_sub_i32 s2, 0, s66
	v_mov_b32_e32 v19, v2
	v_rcp_iflag_f32_e32 v3, v3
	v_mul_f32_e32 v3, 0x4f7ffffe, v3
	v_cvt_u32_f32_e32 v3, v3
	v_mul_lo_u32 v5, s2, v3
	v_mul_hi_u32 v5, v3, v5
	v_add_u32_e32 v3, v3, v5
	v_mul_hi_u32 v3, v16, v3
	v_mul_lo_u32 v5, v3, s66
	v_sub_u32_e32 v5, v16, v5
	v_add_u32_e32 v7, 1, v3
	v_subrev_u32_e32 v9, s66, v5
	v_cmp_le_u32_e32 vcc, s66, v5
	v_cndmask_b32_e32 v5, v5, v9, vcc
	v_cndmask_b32_e32 v3, v3, v7, vcc
	v_add_u32_e32 v7, 1, v3
	v_cmp_le_u32_e32 vcc, s66, v5
	v_cndmask_b32_e32 v18, v3, v7, vcc
.LBB69_30:                              ;   in Loop: Header=BB69_18 Depth=2
	s_or_b64 exec, exec, s[0:1]
	s_add_u32 s0, s55, s42
	s_addc_u32 s1, s56, s43
	s_add_i32 s2, s20, -3
	s_mov_b32 s3, s21
	s_lshl_b64 s[2:3], s[2:3], 2
	s_add_u32 s42, s50, s2
	s_addc_u32 s43, s51, s3
	s_load_dword s69, s[42:43], 0x8
	s_load_dword s70, s[44:45], 0x6c
	;; [unrolled: 1-line block ×3, first 2 shown]
                                        ; implicit-def: $vgpr20_vgpr21
	s_waitcnt lgkmcnt(0)
	s_ashr_i32 s0, s69, 31
	v_or_b32_e32 v3, s0, v19
	v_cmp_ne_u64_e32 vcc, 0, v[2:3]
	s_and_saveexec_b64 s[44:45], vcc
	s_xor_b64 s[44:45], exec, s[44:45]
	s_cbranch_execz .LBB69_32
; %bb.31:                               ;   in Loop: Header=BB69_18 Depth=2
	s_add_u32 s48, s69, s0
	s_mov_b32 s46, s0
	s_mov_b32 s47, s0
	s_addc_u32 s49, s0, s0
	s_xor_b64 s[48:49], s[48:49], s[46:47]
	v_cvt_f32_u32_e32 v3, s48
	v_cvt_f32_u32_e32 v5, s49
	s_sub_u32 s0, 0, s48
	s_subb_u32 s1, 0, s49
	v_mac_f32_e32 v3, 0x4f800000, v5
	v_rcp_f32_e32 v3, v3
	v_mul_f32_e32 v3, 0x5f7ffffc, v3
	v_mul_f32_e32 v5, 0x2f800000, v3
	v_trunc_f32_e32 v5, v5
	v_mac_f32_e32 v3, 0xcf800000, v5
	v_cvt_u32_f32_e32 v5, v5
	v_cvt_u32_f32_e32 v3, v3
	v_mul_lo_u32 v7, s0, v5
	v_mul_hi_u32 v11, s0, v3
	v_mul_lo_u32 v9, s1, v3
	v_add_u32_e32 v7, v11, v7
	v_mul_lo_u32 v13, s0, v3
	v_add_u32_e32 v7, v7, v9
	v_mul_lo_u32 v11, v3, v7
	v_mul_hi_u32 v15, v3, v13
	v_mul_hi_u32 v9, v3, v7
	v_add_co_u32_e32 v11, vcc, v15, v11
	v_addc_co_u32_e32 v9, vcc, 0, v9, vcc
	v_mul_hi_u32 v17, v5, v13
	v_mul_lo_u32 v13, v5, v13
	v_add_co_u32_e32 v11, vcc, v11, v13
	v_mul_hi_u32 v15, v5, v7
	v_addc_co_u32_e32 v9, vcc, v9, v17, vcc
	v_addc_co_u32_e32 v11, vcc, 0, v15, vcc
	v_mul_lo_u32 v7, v5, v7
	v_add_co_u32_e32 v7, vcc, v9, v7
	v_addc_co_u32_e32 v9, vcc, 0, v11, vcc
	v_add_co_u32_e32 v3, vcc, v3, v7
	v_addc_co_u32_e32 v5, vcc, v5, v9, vcc
	v_mul_lo_u32 v7, s0, v5
	v_mul_hi_u32 v9, s0, v3
	v_add_u32_e32 v7, v9, v7
	v_mul_lo_u32 v9, s1, v3
	v_add_u32_e32 v7, v7, v9
	v_mul_lo_u32 v11, s0, v3
	v_mul_hi_u32 v13, v5, v11
	v_mul_lo_u32 v15, v5, v11
	v_mul_lo_u32 v20, v3, v7
	v_mul_hi_u32 v11, v3, v11
	v_mul_hi_u32 v17, v3, v7
	v_add_co_u32_e32 v11, vcc, v11, v20
	v_addc_co_u32_e32 v17, vcc, 0, v17, vcc
	v_add_co_u32_e32 v11, vcc, v11, v15
	v_mul_hi_u32 v9, v5, v7
	v_addc_co_u32_e32 v11, vcc, v17, v13, vcc
	v_addc_co_u32_e32 v9, vcc, 0, v9, vcc
	v_mul_lo_u32 v7, v5, v7
	v_add_co_u32_e32 v7, vcc, v11, v7
	v_addc_co_u32_e32 v9, vcc, 0, v9, vcc
	v_add_co_u32_e32 v3, vcc, v3, v7
	v_addc_co_u32_e32 v5, vcc, v5, v9, vcc
	v_ashrrev_i32_e32 v7, 31, v19
	v_add_co_u32_e32 v9, vcc, v18, v7
	v_xor_b32_e32 v9, v9, v7
	v_addc_co_u32_e32 v11, vcc, v19, v7, vcc
	v_mad_u64_u32 v[20:21], s[0:1], v9, v5, 0
	v_mul_hi_u32 v13, v9, v3
	v_xor_b32_e32 v11, v11, v7
	v_add_co_u32_e32 v13, vcc, v13, v20
	v_addc_co_u32_e32 v15, vcc, 0, v21, vcc
	v_mad_u64_u32 v[24:25], s[0:1], v11, v3, 0
	v_add_co_u32_e32 v3, vcc, v13, v24
	v_mad_u64_u32 v[20:21], s[0:1], v11, v5, 0
	v_addc_co_u32_e32 v3, vcc, v15, v25, vcc
	v_addc_co_u32_e32 v5, vcc, 0, v21, vcc
	v_add_co_u32_e32 v3, vcc, v3, v20
	v_addc_co_u32_e32 v5, vcc, 0, v5, vcc
	v_mul_lo_u32 v13, s49, v3
	v_mul_lo_u32 v15, s48, v5
	v_mad_u64_u32 v[20:21], s[0:1], s48, v3, 0
	v_add3_u32 v13, v21, v15, v13
	v_sub_u32_e32 v15, v11, v13
	v_mov_b32_e32 v17, s49
	v_sub_co_u32_e32 v9, vcc, v9, v20
	v_subb_co_u32_e64 v15, s[0:1], v15, v17, vcc
	v_subrev_co_u32_e64 v17, s[0:1], s48, v9
	v_subbrev_co_u32_e64 v15, s[0:1], 0, v15, s[0:1]
	v_cmp_le_u32_e64 s[0:1], s49, v15
	v_cndmask_b32_e64 v19, 0, -1, s[0:1]
	v_cmp_le_u32_e64 s[0:1], s48, v17
	v_cndmask_b32_e64 v17, 0, -1, s[0:1]
	v_cmp_eq_u32_e64 s[0:1], s49, v15
	v_cndmask_b32_e64 v15, v19, v17, s[0:1]
	v_add_co_u32_e64 v17, s[0:1], 2, v3
	v_subb_co_u32_e32 v11, vcc, v11, v13, vcc
	v_addc_co_u32_e64 v19, s[0:1], 0, v5, s[0:1]
	v_cmp_le_u32_e32 vcc, s49, v11
	v_add_co_u32_e64 v20, s[0:1], 1, v3
	v_cndmask_b32_e64 v13, 0, -1, vcc
	v_cmp_le_u32_e32 vcc, s48, v9
	v_addc_co_u32_e64 v21, s[0:1], 0, v5, s[0:1]
	v_cndmask_b32_e64 v9, 0, -1, vcc
	v_cmp_eq_u32_e32 vcc, s49, v11
	v_cmp_ne_u32_e64 s[0:1], 0, v15
	v_cndmask_b32_e32 v9, v13, v9, vcc
	v_cmp_ne_u32_e32 vcc, 0, v9
	v_cndmask_b32_e64 v9, v20, v17, s[0:1]
	v_cndmask_b32_e64 v15, v21, v19, s[0:1]
	v_cndmask_b32_e32 v3, v3, v9, vcc
	v_xor_b32_e32 v9, s47, v7
	v_xor_b32_e32 v7, s46, v7
	v_cndmask_b32_e32 v5, v5, v15, vcc
	v_xor_b32_e32 v3, v3, v7
	v_xor_b32_e32 v5, v5, v9
	v_sub_co_u32_e32 v20, vcc, v3, v7
	v_subb_co_u32_e32 v21, vcc, v5, v9, vcc
.LBB69_32:                              ;   in Loop: Header=BB69_18 Depth=2
	s_andn2_saveexec_b64 s[0:1], s[44:45]
	s_cbranch_execz .LBB69_34
; %bb.33:                               ;   in Loop: Header=BB69_18 Depth=2
	v_cvt_f32_u32_e32 v3, s69
	s_sub_i32 s44, 0, s69
	v_mov_b32_e32 v21, v2
	v_rcp_iflag_f32_e32 v3, v3
	v_mul_f32_e32 v3, 0x4f7ffffe, v3
	v_cvt_u32_f32_e32 v3, v3
	v_mul_lo_u32 v5, s44, v3
	v_mul_hi_u32 v5, v3, v5
	v_add_u32_e32 v3, v3, v5
	v_mul_hi_u32 v3, v18, v3
	v_mul_lo_u32 v5, v3, s69
	v_sub_u32_e32 v5, v18, v5
	v_add_u32_e32 v7, 1, v3
	v_subrev_u32_e32 v9, s69, v5
	v_cmp_le_u32_e32 vcc, s69, v5
	v_cndmask_b32_e32 v5, v5, v9, vcc
	v_cndmask_b32_e32 v3, v3, v7, vcc
	v_add_u32_e32 v7, 1, v3
	v_cmp_le_u32_e32 vcc, s69, v5
	v_cndmask_b32_e32 v20, v3, v7, vcc
.LBB69_34:                              ;   in Loop: Header=BB69_18 Depth=2
	s_or_b64 exec, exec, s[0:1]
	s_add_u32 s0, s55, s2
	v_mul_lo_u32 v3, v14, s62
	v_mul_lo_u32 v7, v16, s63
	s_load_dword s2, s[42:43], 0x6c
	s_addc_u32 s1, s56, s3
	s_load_dword s0, s[0:1], 0x0
	v_sub_u32_e32 v3, v12, v3
	v_sub_u32_e32 v7, v14, v7
	v_mul_lo_u32 v5, s64, v3
	v_mul_lo_u32 v3, s65, v3
	v_mul_lo_u32 v9, s68, v7
	v_mul_lo_u32 v7, s67, v7
	v_add3_u32 v5, v5, v10, v9
	v_add3_u32 v3, v3, v4, v7
	v_mul_lo_u32 v4, v18, s66
	v_mul_lo_u32 v9, v20, s69
	v_sub_u32_e32 v4, v16, v4
	v_sub_u32_e32 v9, v18, v9
	v_mul_lo_u32 v7, s70, v4
	s_waitcnt lgkmcnt(0)
	v_mul_lo_u32 v10, s2, v9
	v_mul_lo_u32 v4, s71, v4
	v_add3_u32 v10, v7, v5, v10
	v_mul_lo_u32 v5, s0, v9
	s_add_i32 s20, s20, -4
	s_cmp_eq_u32 s20, -1
	v_add3_u32 v4, v4, v3, v5
	s_cbranch_scc1 .LBB69_41
; %bb.35:                               ;   in Loop: Header=BB69_18 Depth=2
	v_pk_mov_b32 v[12:13], v[20:21], v[20:21] op_sel:[0,1]
	s_branch .LBB69_18
.LBB69_36:                              ;   in Loop: Header=BB69_37 Depth=2
	s_or_b64 exec, exec, s[0:1]
	s_load_dword s42, s[42:43], 0x6c
	s_add_u32 s0, s55, s2
	s_addc_u32 s1, s56, s3
	s_load_dword s2, s[0:1], 0x0
	v_mul_lo_u32 v3, v12, s63
	v_sub_u32_e32 v3, v14, v3
	s_waitcnt lgkmcnt(0)
	v_mad_u64_u32 v[10:11], s[0:1], s42, v3, v[10:11]
	s_add_i32 s20, s20, -1
	s_xor_b32 s0, s60, s62
	s_add_i32 s62, s62, 1
	s_cmp_lg_u32 s0, 2
	v_mad_u64_u32 v[4:5], s[0:1], s2, v3, v[4:5]
	s_cbranch_scc0 .LBB69_17
.LBB69_37:                              ;   Parent Loop BB69_3 Depth=1
                                        ; =>  This Inner Loop Header: Depth=2
	s_lshl_b64 s[2:3], s[20:21], 2
	s_add_u32 s42, s50, s2
	s_addc_u32 s43, s51, s3
	s_load_dword s63, s[42:43], 0x8
	v_pk_mov_b32 v[14:15], v[12:13], v[12:13] op_sel:[0,1]
                                        ; implicit-def: $vgpr12_vgpr13
	s_waitcnt lgkmcnt(0)
	s_ashr_i32 s0, s63, 31
	v_or_b32_e32 v3, s0, v15
	v_cmp_ne_u64_e32 vcc, 0, v[2:3]
	s_and_saveexec_b64 s[44:45], vcc
	s_xor_b64 s[44:45], exec, s[44:45]
	s_cbranch_execz .LBB69_39
; %bb.38:                               ;   in Loop: Header=BB69_37 Depth=2
	s_add_u32 s48, s63, s0
	s_mov_b32 s46, s0
	s_mov_b32 s47, s0
	s_addc_u32 s49, s0, s0
	s_xor_b64 s[48:49], s[48:49], s[46:47]
	v_cvt_f32_u32_e32 v3, s48
	v_cvt_f32_u32_e32 v5, s49
	s_sub_u32 s0, 0, s48
	s_subb_u32 s1, 0, s49
	v_mac_f32_e32 v3, 0x4f800000, v5
	v_rcp_f32_e32 v3, v3
	v_mul_f32_e32 v3, 0x5f7ffffc, v3
	v_mul_f32_e32 v5, 0x2f800000, v3
	v_trunc_f32_e32 v5, v5
	v_mac_f32_e32 v3, 0xcf800000, v5
	v_cvt_u32_f32_e32 v5, v5
	v_cvt_u32_f32_e32 v3, v3
	v_mul_lo_u32 v7, s0, v5
	v_mul_hi_u32 v11, s0, v3
	v_mul_lo_u32 v9, s1, v3
	v_add_u32_e32 v7, v11, v7
	v_mul_lo_u32 v12, s0, v3
	v_add_u32_e32 v7, v7, v9
	v_mul_lo_u32 v11, v3, v7
	v_mul_hi_u32 v13, v3, v12
	v_mul_hi_u32 v9, v3, v7
	v_add_co_u32_e32 v11, vcc, v13, v11
	v_addc_co_u32_e32 v9, vcc, 0, v9, vcc
	v_mul_hi_u32 v16, v5, v12
	v_mul_lo_u32 v12, v5, v12
	v_add_co_u32_e32 v11, vcc, v11, v12
	v_mul_hi_u32 v13, v5, v7
	v_addc_co_u32_e32 v9, vcc, v9, v16, vcc
	v_addc_co_u32_e32 v11, vcc, 0, v13, vcc
	v_mul_lo_u32 v7, v5, v7
	v_add_co_u32_e32 v7, vcc, v9, v7
	v_addc_co_u32_e32 v9, vcc, 0, v11, vcc
	v_add_co_u32_e32 v3, vcc, v3, v7
	v_addc_co_u32_e32 v5, vcc, v5, v9, vcc
	v_mul_lo_u32 v7, s0, v5
	v_mul_hi_u32 v9, s0, v3
	v_add_u32_e32 v7, v9, v7
	v_mul_lo_u32 v9, s1, v3
	v_add_u32_e32 v7, v7, v9
	v_mul_lo_u32 v11, s0, v3
	v_mul_hi_u32 v12, v5, v11
	v_mul_lo_u32 v13, v5, v11
	v_mul_lo_u32 v17, v3, v7
	v_mul_hi_u32 v11, v3, v11
	v_mul_hi_u32 v16, v3, v7
	v_add_co_u32_e32 v11, vcc, v11, v17
	v_addc_co_u32_e32 v16, vcc, 0, v16, vcc
	v_add_co_u32_e32 v11, vcc, v11, v13
	v_mul_hi_u32 v9, v5, v7
	v_addc_co_u32_e32 v11, vcc, v16, v12, vcc
	v_addc_co_u32_e32 v9, vcc, 0, v9, vcc
	v_mul_lo_u32 v7, v5, v7
	v_add_co_u32_e32 v7, vcc, v11, v7
	v_addc_co_u32_e32 v9, vcc, 0, v9, vcc
	v_add_co_u32_e32 v3, vcc, v3, v7
	v_addc_co_u32_e32 v5, vcc, v5, v9, vcc
	v_ashrrev_i32_e32 v7, 31, v15
	v_add_co_u32_e32 v9, vcc, v14, v7
	v_xor_b32_e32 v9, v9, v7
	v_addc_co_u32_e32 v11, vcc, v15, v7, vcc
	v_mad_u64_u32 v[12:13], s[0:1], v9, v5, 0
	v_mul_hi_u32 v15, v9, v3
	v_xor_b32_e32 v11, v11, v7
	v_add_co_u32_e32 v15, vcc, v15, v12
	v_addc_co_u32_e32 v18, vcc, 0, v13, vcc
	v_mad_u64_u32 v[16:17], s[0:1], v11, v3, 0
	v_add_co_u32_e32 v3, vcc, v15, v16
	v_mad_u64_u32 v[12:13], s[0:1], v11, v5, 0
	v_addc_co_u32_e32 v3, vcc, v18, v17, vcc
	v_addc_co_u32_e32 v5, vcc, 0, v13, vcc
	v_add_co_u32_e32 v3, vcc, v3, v12
	v_addc_co_u32_e32 v5, vcc, 0, v5, vcc
	v_mul_lo_u32 v15, s49, v3
	v_mul_lo_u32 v16, s48, v5
	v_mad_u64_u32 v[12:13], s[0:1], s48, v3, 0
	v_add3_u32 v13, v13, v16, v15
	v_sub_u32_e32 v15, v11, v13
	v_mov_b32_e32 v16, s49
	v_sub_co_u32_e32 v9, vcc, v9, v12
	v_subb_co_u32_e64 v12, s[0:1], v15, v16, vcc
	v_subrev_co_u32_e64 v15, s[0:1], s48, v9
	v_subbrev_co_u32_e64 v12, s[0:1], 0, v12, s[0:1]
	v_cmp_le_u32_e64 s[0:1], s49, v12
	v_cndmask_b32_e64 v16, 0, -1, s[0:1]
	v_cmp_le_u32_e64 s[0:1], s48, v15
	v_cndmask_b32_e64 v15, 0, -1, s[0:1]
	v_cmp_eq_u32_e64 s[0:1], s49, v12
	v_cndmask_b32_e64 v12, v16, v15, s[0:1]
	v_add_co_u32_e64 v15, s[0:1], 2, v3
	v_subb_co_u32_e32 v11, vcc, v11, v13, vcc
	v_addc_co_u32_e64 v16, s[0:1], 0, v5, s[0:1]
	v_cmp_le_u32_e32 vcc, s49, v11
	v_add_co_u32_e64 v17, s[0:1], 1, v3
	v_cndmask_b32_e64 v13, 0, -1, vcc
	v_cmp_le_u32_e32 vcc, s48, v9
	v_addc_co_u32_e64 v18, s[0:1], 0, v5, s[0:1]
	v_cndmask_b32_e64 v9, 0, -1, vcc
	v_cmp_eq_u32_e32 vcc, s49, v11
	v_cmp_ne_u32_e64 s[0:1], 0, v12
	v_cndmask_b32_e32 v9, v13, v9, vcc
	v_cmp_ne_u32_e32 vcc, 0, v9
	v_cndmask_b32_e64 v9, v17, v15, s[0:1]
	v_cndmask_b32_e64 v12, v18, v16, s[0:1]
	v_cndmask_b32_e32 v3, v3, v9, vcc
	v_xor_b32_e32 v9, s47, v7
	v_xor_b32_e32 v7, s46, v7
	v_cndmask_b32_e32 v5, v5, v12, vcc
	v_xor_b32_e32 v3, v3, v7
	v_xor_b32_e32 v5, v5, v9
	v_sub_co_u32_e32 v12, vcc, v3, v7
	v_subb_co_u32_e32 v13, vcc, v5, v9, vcc
.LBB69_39:                              ;   in Loop: Header=BB69_37 Depth=2
	s_andn2_saveexec_b64 s[0:1], s[44:45]
	s_cbranch_execz .LBB69_36
; %bb.40:                               ;   in Loop: Header=BB69_37 Depth=2
	v_cvt_f32_u32_e32 v3, s63
	s_sub_i32 s44, 0, s63
	v_mov_b32_e32 v13, v2
	v_rcp_iflag_f32_e32 v3, v3
	v_mul_f32_e32 v3, 0x4f7ffffe, v3
	v_cvt_u32_f32_e32 v3, v3
	v_mul_lo_u32 v5, s44, v3
	v_mul_hi_u32 v5, v3, v5
	v_add_u32_e32 v3, v3, v5
	v_mul_hi_u32 v3, v14, v3
	v_mul_lo_u32 v5, v3, s63
	v_sub_u32_e32 v5, v14, v5
	v_add_u32_e32 v7, 1, v3
	v_subrev_u32_e32 v9, s63, v5
	v_cmp_le_u32_e32 vcc, s63, v5
	v_cndmask_b32_e32 v5, v5, v9, vcc
	v_cndmask_b32_e32 v3, v3, v7, vcc
	v_add_u32_e32 v7, 1, v3
	v_cmp_le_u32_e32 vcc, s63, v5
	v_cndmask_b32_e32 v12, v3, v7, vcc
	s_branch .LBB69_36
.LBB69_41:                              ;   in Loop: Header=BB69_3 Depth=1
	v_sub_u32_e32 v5, v6, v8
	v_mov_b32_e32 v3, v6
	v_add_u32_e32 v6, 4, v5
	v_ashrrev_i32_e32 v7, 31, v6
	v_cmp_le_i64_e32 vcc, s[8:9], v[6:7]
                                        ; implicit-def: $vgpr9
                                        ; implicit-def: $vgpr11
	s_and_saveexec_b64 s[0:1], vcc
	s_xor_b64 s[0:1], exec, s[0:1]
	s_cbranch_execnz .LBB69_44
; %bb.42:                               ;   in Loop: Header=BB69_3 Depth=1
	s_andn2_saveexec_b64 s[0:1], s[0:1]
	s_cbranch_execnz .LBB69_53
.LBB69_43:                              ;   in Loop: Header=BB69_3 Depth=1
	s_or_b64 exec, exec, s[0:1]
	v_cmp_gt_i32_e32 vcc, s13, v3
	s_and_saveexec_b64 s[0:1], vcc
	s_cbranch_execz .LBB69_2
	s_branch .LBB69_54
.LBB69_44:                              ;   in Loop: Header=BB69_3 Depth=1
	v_cmp_gt_i32_e32 vcc, s13, v3
	v_mov_b32_e32 v5, 0
	v_mov_b32_e32 v9, 0
	s_and_saveexec_b64 s[2:3], vcc
	s_cbranch_execz .LBB69_52
; %bb.45:                               ;   in Loop: Header=BB69_3 Depth=1
	v_ashrrev_i32_e32 v11, 31, v10
	v_lshlrev_b64 v[6:7], 1, v[10:11]
	v_mov_b32_e32 v5, s7
	v_add_co_u32_e32 v6, vcc, s6, v6
	v_addc_co_u32_e32 v7, vcc, v5, v7, vcc
	global_load_ushort v5, v[6:7], off
	v_add_u32_e32 v11, 1, v3
	v_mov_b32_e32 v9, 0
	v_cmp_gt_i32_e32 vcc, s13, v11
	s_waitcnt vmcnt(0)
	v_and_b32_e32 v5, 0xffff, v5
	s_and_saveexec_b64 s[42:43], vcc
	s_xor_b64 s[42:43], exec, s[42:43]
	s_cbranch_execz .LBB69_51
; %bb.46:                               ;   in Loop: Header=BB69_3 Depth=1
	s_lshl_b64 s[44:45], s[36:37], 1
	v_mov_b32_e32 v9, s45
	v_add_co_u32_e32 v6, vcc, s44, v6
	v_addc_co_u32_e32 v7, vcc, v7, v9, vcc
	global_load_ushort v6, v[6:7], off
	v_add_u32_e32 v7, 2, v3
	v_mov_b32_e32 v9, 0
	v_cmp_gt_i32_e32 vcc, s13, v7
	s_waitcnt vmcnt(0)
	v_perm_b32 v5, v6, v5, s61
	s_and_saveexec_b64 s[44:45], vcc
	s_xor_b64 s[44:45], exec, s[44:45]
	s_cbranch_execz .LBB69_50
; %bb.47:                               ;   in Loop: Header=BB69_3 Depth=1
	s_add_i32 s20, s36, s36
	v_add_u32_e32 v6, s20, v10
	v_ashrrev_i32_e32 v7, 31, v6
	v_lshlrev_b64 v[10:11], 1, v[6:7]
	v_mov_b32_e32 v7, s7
	v_add_co_u32_e32 v10, vcc, s6, v10
	v_addc_co_u32_e32 v11, vcc, v7, v11, vcc
	global_load_ushort v7, v[10:11], off
	v_add_u32_e32 v10, 3, v3
	v_cmp_gt_i32_e32 vcc, s13, v10
	s_waitcnt vmcnt(0)
	v_bfi_b32 v9, s33, v7, 0
	s_and_saveexec_b64 s[46:47], vcc
	s_xor_b64 s[46:47], exec, s[46:47]
	s_cbranch_execz .LBB69_49
; %bb.48:                               ;   in Loop: Header=BB69_3 Depth=1
	v_add_u32_e32 v6, s36, v6
	v_ashrrev_i32_e32 v7, 31, v6
	v_lshlrev_b64 v[6:7], 1, v[6:7]
	v_mov_b32_e32 v10, s7
	v_add_co_u32_e32 v6, vcc, s6, v6
	v_addc_co_u32_e32 v7, vcc, v10, v7, vcc
	global_load_ushort v6, v[6:7], off
	s_waitcnt vmcnt(0)
	v_perm_b32 v9, v6, v9, s61
.LBB69_49:                              ;   in Loop: Header=BB69_3 Depth=1
	s_or_b64 exec, exec, s[46:47]
.LBB69_50:                              ;   in Loop: Header=BB69_3 Depth=1
	s_or_b64 exec, exec, s[44:45]
.LBB69_51:                              ;   in Loop: Header=BB69_3 Depth=1
	s_or_b64 exec, exec, s[42:43]
.LBB69_52:                              ;   in Loop: Header=BB69_3 Depth=1
	s_or_b64 exec, exec, s[2:3]
	v_sub_u32_e32 v6, v3, v8
	v_add_u32_e32 v12, 2, v6
	v_add_u32_e32 v14, 3, v6
	v_ashrrev_i32_e32 v13, 31, v12
	v_ashrrev_i32_e32 v15, 31, v14
	v_cmp_le_i64_e32 vcc, s[30:31], v[12:13]
	v_add_u32_e32 v10, 1, v6
	v_ashrrev_i32_e32 v7, 31, v6
	v_cndmask_b32_e32 v8, 0, v9, vcc
	v_lshrrev_b32_e32 v9, 16, v9
	v_cmp_le_i64_e32 vcc, s[34:35], v[14:15]
	v_ashrrev_i32_e32 v11, 31, v10
	v_cndmask_b32_e32 v9, 0, v9, vcc
	v_cmp_le_i64_e32 vcc, s[26:27], v[6:7]
	v_cndmask_b32_e32 v6, 0, v5, vcc
	v_lshrrev_b32_e32 v5, 16, v5
	v_cmp_le_i64_e32 vcc, s[28:29], v[10:11]
	v_cndmask_b32_e32 v5, 0, v5, vcc
	v_perm_b32 v11, v5, v6, s61
	v_perm_b32 v9, v9, v8, s61
	s_andn2_saveexec_b64 s[0:1], s[0:1]
	s_cbranch_execz .LBB69_43
.LBB69_53:                              ;   in Loop: Header=BB69_3 Depth=1
	v_mov_b32_e32 v11, 0
	v_mov_b32_e32 v9, 0
	s_or_b64 exec, exec, s[0:1]
	v_cmp_gt_i32_e32 vcc, s13, v3
	s_and_saveexec_b64 s[0:1], vcc
	s_cbranch_execz .LBB69_2
.LBB69_54:                              ;   in Loop: Header=BB69_3 Depth=1
	v_ashrrev_i32_e32 v5, 31, v4
	v_lshlrev_b64 v[6:7], 1, v[4:5]
	v_mov_b32_e32 v5, s5
	v_add_co_u32_e32 v6, vcc, s4, v6
	v_addc_co_u32_e32 v7, vcc, v5, v7, vcc
	v_add_u32_e32 v5, 1, v3
	v_cmp_gt_i32_e32 vcc, s13, v5
	global_store_short v[6:7], v11, off
	s_and_saveexec_b64 s[2:3], vcc
	s_xor_b64 s[2:3], exec, s[2:3]
	s_cbranch_execz .LBB69_2
; %bb.55:                               ;   in Loop: Header=BB69_3 Depth=1
	s_lshl_b64 s[2:3], s[38:39], 1
	v_mov_b32_e32 v5, s3
	v_add_co_u32_e32 v6, vcc, s2, v6
	v_addc_co_u32_e32 v7, vcc, v7, v5, vcc
	v_add_u32_e32 v5, 2, v3
	v_cmp_gt_i32_e32 vcc, s13, v5
	global_store_short_d16_hi v[6:7], v11, off
	s_and_saveexec_b64 s[2:3], vcc
	s_xor_b64 s[2:3], exec, s[2:3]
	s_cbranch_execz .LBB69_2
; %bb.56:                               ;   in Loop: Header=BB69_3 Depth=1
	s_add_i32 s2, s38, s38
	v_add_u32_e32 v4, s2, v4
	v_ashrrev_i32_e32 v5, 31, v4
	v_lshlrev_b64 v[6:7], 1, v[4:5]
	v_mov_b32_e32 v5, s5
	v_add_co_u32_e32 v6, vcc, s4, v6
	v_addc_co_u32_e32 v7, vcc, v5, v7, vcc
	v_add_u32_e32 v3, 3, v3
	v_cmp_gt_i32_e32 vcc, s13, v3
	global_store_short v[6:7], v9, off
	s_and_saveexec_b64 s[2:3], vcc
	s_xor_b64 s[2:3], exec, s[2:3]
	s_cbranch_execz .LBB69_2
; %bb.57:                               ;   in Loop: Header=BB69_3 Depth=1
	v_add_u32_e32 v4, s38, v4
	v_ashrrev_i32_e32 v5, 31, v4
	v_lshlrev_b64 v[4:5], 1, v[4:5]
	v_mov_b32_e32 v3, s5
	v_add_co_u32_e32 v4, vcc, s4, v4
	v_addc_co_u32_e32 v5, vcc, v3, v5, vcc
	global_store_short_d16_hi v[4:5], v9, off
	s_branch .LBB69_2
.LBB69_58:
	s_endpgm
	.section	.rodata,"a",@progbits
	.p2align	6, 0x0
	.amdhsa_kernel _ZN2at6native16triu_tril_kernelIsiLb1ELi4ELb0EEEvNS_4cuda6detail10TensorInfoIT_T0_EENS4_IKS5_S6_EEllS6_
		.amdhsa_group_segment_fixed_size 0
		.amdhsa_private_segment_fixed_size 0
		.amdhsa_kernarg_size 712
		.amdhsa_user_sgpr_count 6
		.amdhsa_user_sgpr_private_segment_buffer 1
		.amdhsa_user_sgpr_dispatch_ptr 0
		.amdhsa_user_sgpr_queue_ptr 0
		.amdhsa_user_sgpr_kernarg_segment_ptr 1
		.amdhsa_user_sgpr_dispatch_id 0
		.amdhsa_user_sgpr_flat_scratch_init 0
		.amdhsa_user_sgpr_kernarg_preload_length 0
		.amdhsa_user_sgpr_kernarg_preload_offset 0
		.amdhsa_user_sgpr_private_segment_size 0
		.amdhsa_uses_dynamic_stack 0
		.amdhsa_system_sgpr_private_segment_wavefront_offset 0
		.amdhsa_system_sgpr_workgroup_id_x 1
		.amdhsa_system_sgpr_workgroup_id_y 0
		.amdhsa_system_sgpr_workgroup_id_z 0
		.amdhsa_system_sgpr_workgroup_info 0
		.amdhsa_system_vgpr_workitem_id 0
		.amdhsa_next_free_vgpr 26
		.amdhsa_next_free_sgpr 72
		.amdhsa_accum_offset 28
		.amdhsa_reserve_vcc 1
		.amdhsa_reserve_flat_scratch 0
		.amdhsa_float_round_mode_32 0
		.amdhsa_float_round_mode_16_64 0
		.amdhsa_float_denorm_mode_32 3
		.amdhsa_float_denorm_mode_16_64 3
		.amdhsa_dx10_clamp 1
		.amdhsa_ieee_mode 1
		.amdhsa_fp16_overflow 0
		.amdhsa_tg_split 0
		.amdhsa_exception_fp_ieee_invalid_op 0
		.amdhsa_exception_fp_denorm_src 0
		.amdhsa_exception_fp_ieee_div_zero 0
		.amdhsa_exception_fp_ieee_overflow 0
		.amdhsa_exception_fp_ieee_underflow 0
		.amdhsa_exception_fp_ieee_inexact 0
		.amdhsa_exception_int_div_zero 0
	.end_amdhsa_kernel
	.section	.text._ZN2at6native16triu_tril_kernelIsiLb1ELi4ELb0EEEvNS_4cuda6detail10TensorInfoIT_T0_EENS4_IKS5_S6_EEllS6_,"axG",@progbits,_ZN2at6native16triu_tril_kernelIsiLb1ELi4ELb0EEEvNS_4cuda6detail10TensorInfoIT_T0_EENS4_IKS5_S6_EEllS6_,comdat
.Lfunc_end69:
	.size	_ZN2at6native16triu_tril_kernelIsiLb1ELi4ELb0EEEvNS_4cuda6detail10TensorInfoIT_T0_EENS4_IKS5_S6_EEllS6_, .Lfunc_end69-_ZN2at6native16triu_tril_kernelIsiLb1ELi4ELb0EEEvNS_4cuda6detail10TensorInfoIT_T0_EENS4_IKS5_S6_EEllS6_
                                        ; -- End function
	.section	.AMDGPU.csdata,"",@progbits
; Kernel info:
; codeLenInByte = 8032
; NumSgprs: 76
; NumVgprs: 26
; NumAgprs: 0
; TotalNumVgprs: 26
; ScratchSize: 0
; MemoryBound: 0
; FloatMode: 240
; IeeeMode: 1
; LDSByteSize: 0 bytes/workgroup (compile time only)
; SGPRBlocks: 9
; VGPRBlocks: 3
; NumSGPRsForWavesPerEU: 76
; NumVGPRsForWavesPerEU: 26
; AccumOffset: 28
; Occupancy: 8
; WaveLimiterHint : 0
; COMPUTE_PGM_RSRC2:SCRATCH_EN: 0
; COMPUTE_PGM_RSRC2:USER_SGPR: 6
; COMPUTE_PGM_RSRC2:TRAP_HANDLER: 0
; COMPUTE_PGM_RSRC2:TGID_X_EN: 1
; COMPUTE_PGM_RSRC2:TGID_Y_EN: 0
; COMPUTE_PGM_RSRC2:TGID_Z_EN: 0
; COMPUTE_PGM_RSRC2:TIDIG_COMP_CNT: 0
; COMPUTE_PGM_RSRC3_GFX90A:ACCUM_OFFSET: 6
; COMPUTE_PGM_RSRC3_GFX90A:TG_SPLIT: 0
	.section	.text._ZN2at6native16triu_tril_kernelIslLb1ELi4ELb1EEEvNS_4cuda6detail10TensorInfoIT_T0_EENS4_IKS5_S6_EEllS6_,"axG",@progbits,_ZN2at6native16triu_tril_kernelIslLb1ELi4ELb1EEEvNS_4cuda6detail10TensorInfoIT_T0_EENS4_IKS5_S6_EEllS6_,comdat
	.protected	_ZN2at6native16triu_tril_kernelIslLb1ELi4ELb1EEEvNS_4cuda6detail10TensorInfoIT_T0_EENS4_IKS5_S6_EEllS6_ ; -- Begin function _ZN2at6native16triu_tril_kernelIslLb1ELi4ELb1EEEvNS_4cuda6detail10TensorInfoIT_T0_EENS4_IKS5_S6_EEllS6_
	.globl	_ZN2at6native16triu_tril_kernelIslLb1ELi4ELb1EEEvNS_4cuda6detail10TensorInfoIT_T0_EENS4_IKS5_S6_EEllS6_
	.p2align	8
	.type	_ZN2at6native16triu_tril_kernelIslLb1ELi4ELb1EEEvNS_4cuda6detail10TensorInfoIT_T0_EENS4_IKS5_S6_EEllS6_,@function
_ZN2at6native16triu_tril_kernelIslLb1ELi4ELb1EEEvNS_4cuda6detail10TensorInfoIT_T0_EENS4_IKS5_S6_EEllS6_: ; @_ZN2at6native16triu_tril_kernelIslLb1ELi4ELb1EEEvNS_4cuda6detail10TensorInfoIT_T0_EENS4_IKS5_S6_EEllS6_
; %bb.0:
	s_load_dword s2, s[4:5], 0x364
	s_load_dwordx4 s[8:11], s[4:5], 0x340
	s_add_u32 s0, s4, 0x358
	v_mov_b32_e32 v2, 0
	s_addc_u32 s1, s5, 0
	s_waitcnt lgkmcnt(0)
	s_and_b32 s12, s2, 0xffff
	v_mov_b32_e32 v1, v2
	v_mov_b32_e32 v3, s6
	v_mad_u64_u32 v[0:1], s[2:3], s12, v3, v[0:1]
	v_lshlrev_b64 v[0:1], 2, v[0:1]
	v_cmp_gt_i64_e32 vcc, s[10:11], v[0:1]
	s_and_saveexec_b64 s[2:3], vcc
	s_cbranch_execz .LBB70_27
; %bb.1:
	s_load_dword s13, s[0:1], 0x0
	s_load_dword s18, s[4:5], 0x338
	s_load_dwordx2 s[2:3], s[4:5], 0x350
	s_load_dwordx2 s[6:7], s[4:5], 0x0
	s_mov_b32 s48, 0
	s_waitcnt lgkmcnt(0)
	s_mul_i32 s20, s13, s12
	s_ashr_i32 s19, s18, 31
	s_add_u32 s24, s4, 0x1a8
	s_addc_u32 s25, s5, 0
	s_lshl_b64 s[0:1], s[18:19], 3
	s_add_u32 s16, s0, -16
	s_addc_u32 s17, s1, -1
	s_add_u32 s14, s24, s16
	s_addc_u32 s15, s25, s17
	v_cmp_gt_i64_e64 s[12:13], s[18:19], 2
	s_add_u32 s19, s0, -8
	s_addc_u32 s21, s1, -1
	s_add_u32 s26, s4, 0xd0
	s_addc_u32 s27, s5, 0
	s_add_u32 s4, s26, s19
	v_cvt_f32_u32_e32 v3, s2
	s_addc_u32 s5, s27, s21
	s_add_u32 s16, s26, s16
	s_addc_u32 s17, s27, s17
	s_add_i32 s0, s18, -3
	s_ashr_i32 s1, s0, 31
	v_rcp_iflag_f32_e32 v3, v3
	s_add_u32 s18, s24, s19
	s_addc_u32 s19, s25, s21
	s_lshl_b32 s33, s20, 2
	s_lshl_b64 s[22:23], s[0:1], 3
	s_add_u32 s20, s26, s22
	s_load_dwordx2 s[14:15], s[14:15], 0x0
	s_addc_u32 s21, s27, s23
	v_mul_f32_e32 v3, 0x4f7ffffe, v3
	s_add_u32 s22, s24, s22
	v_cvt_u32_f32_e32 v12, v3
	s_addc_u32 s23, s25, s23
	s_add_u32 s24, s0, 1
	s_addc_u32 s25, s1, 0
	s_mov_b64 s[26:27], 0
	s_branch .LBB70_3
.LBB70_2:                               ;   in Loop: Header=BB70_3 Depth=1
	s_or_b64 exec, exec, s[28:29]
	v_mov_b32_e32 v3, s48
	v_add_co_u32_e32 v0, vcc, s33, v0
	v_addc_co_u32_e32 v1, vcc, v1, v3, vcc
	v_cmp_le_i64_e32 vcc, s[10:11], v[0:1]
	s_or_b64 s[26:27], vcc, s[26:27]
	s_andn2_b64 exec, exec, s[26:27]
	s_cbranch_execz .LBB70_27
.LBB70_3:                               ; =>This Loop Header: Depth=1
                                        ;     Child Loop BB70_23 Depth 2
	v_or_b32_e32 v3, s3, v1
	v_cmp_ne_u64_e32 vcc, 0, v[2:3]
                                        ; implicit-def: $vgpr8_vgpr9
	s_and_saveexec_b64 s[0:1], vcc
	s_xor_b64 s[28:29], exec, s[0:1]
	s_cbranch_execz .LBB70_5
; %bb.4:                                ;   in Loop: Header=BB70_3 Depth=1
	s_ashr_i32 s30, s3, 31
	s_add_u32 s0, s2, s30
	s_mov_b32 s31, s30
	s_addc_u32 s1, s3, s30
	s_xor_b64 s[34:35], s[0:1], s[30:31]
	v_cvt_f32_u32_e32 v3, s34
	v_cvt_f32_u32_e32 v4, s35
	s_sub_u32 s0, 0, s34
	s_subb_u32 s1, 0, s35
	v_mac_f32_e32 v3, 0x4f800000, v4
	v_rcp_f32_e32 v3, v3
	v_mul_f32_e32 v3, 0x5f7ffffc, v3
	v_mul_f32_e32 v4, 0x2f800000, v3
	v_trunc_f32_e32 v4, v4
	v_mac_f32_e32 v3, 0xcf800000, v4
	v_cvt_u32_f32_e32 v4, v4
	v_cvt_u32_f32_e32 v3, v3
	v_mul_lo_u32 v5, s0, v4
	v_mul_hi_u32 v7, s0, v3
	v_mul_lo_u32 v6, s1, v3
	v_add_u32_e32 v5, v7, v5
	v_mul_lo_u32 v8, s0, v3
	v_add_u32_e32 v5, v5, v6
	v_mul_lo_u32 v7, v3, v5
	v_mul_hi_u32 v9, v3, v8
	v_mul_hi_u32 v6, v3, v5
	v_add_co_u32_e32 v7, vcc, v9, v7
	v_addc_co_u32_e32 v6, vcc, 0, v6, vcc
	v_mul_hi_u32 v10, v4, v8
	v_mul_lo_u32 v8, v4, v8
	v_add_co_u32_e32 v7, vcc, v7, v8
	v_mul_hi_u32 v9, v4, v5
	v_addc_co_u32_e32 v6, vcc, v6, v10, vcc
	v_addc_co_u32_e32 v7, vcc, 0, v9, vcc
	v_mul_lo_u32 v5, v4, v5
	v_add_co_u32_e32 v5, vcc, v6, v5
	v_addc_co_u32_e32 v6, vcc, 0, v7, vcc
	v_add_co_u32_e32 v3, vcc, v3, v5
	v_addc_co_u32_e32 v4, vcc, v4, v6, vcc
	v_mul_lo_u32 v5, s0, v4
	v_mul_hi_u32 v6, s0, v3
	v_add_u32_e32 v5, v6, v5
	v_mul_lo_u32 v6, s1, v3
	v_add_u32_e32 v5, v5, v6
	v_mul_lo_u32 v7, s0, v3
	v_mul_hi_u32 v8, v4, v7
	v_mul_lo_u32 v9, v4, v7
	v_mul_lo_u32 v11, v3, v5
	v_mul_hi_u32 v7, v3, v7
	v_mul_hi_u32 v10, v3, v5
	v_add_co_u32_e32 v7, vcc, v7, v11
	v_addc_co_u32_e32 v10, vcc, 0, v10, vcc
	v_add_co_u32_e32 v7, vcc, v7, v9
	v_mul_hi_u32 v6, v4, v5
	v_addc_co_u32_e32 v7, vcc, v10, v8, vcc
	v_addc_co_u32_e32 v6, vcc, 0, v6, vcc
	v_mul_lo_u32 v5, v4, v5
	v_add_co_u32_e32 v5, vcc, v7, v5
	v_addc_co_u32_e32 v6, vcc, 0, v6, vcc
	v_add_co_u32_e32 v3, vcc, v3, v5
	v_addc_co_u32_e32 v6, vcc, v4, v6, vcc
	v_ashrrev_i32_e32 v8, 31, v1
	v_add_co_u32_e32 v4, vcc, v0, v8
	v_addc_co_u32_e32 v5, vcc, v1, v8, vcc
	v_xor_b32_e32 v10, v4, v8
	v_xor_b32_e32 v9, v5, v8
	v_mad_u64_u32 v[4:5], s[0:1], v10, v6, 0
	v_mul_hi_u32 v7, v10, v3
	v_add_co_u32_e32 v11, vcc, v7, v4
	v_addc_co_u32_e32 v13, vcc, 0, v5, vcc
	v_mad_u64_u32 v[4:5], s[0:1], v9, v6, 0
	v_mad_u64_u32 v[6:7], s[0:1], v9, v3, 0
	v_add_co_u32_e32 v3, vcc, v11, v6
	v_addc_co_u32_e32 v3, vcc, v13, v7, vcc
	v_addc_co_u32_e32 v5, vcc, 0, v5, vcc
	v_add_co_u32_e32 v3, vcc, v3, v4
	v_addc_co_u32_e32 v6, vcc, 0, v5, vcc
	v_mul_lo_u32 v7, s35, v3
	v_mul_lo_u32 v11, s34, v6
	v_mad_u64_u32 v[4:5], s[0:1], s34, v3, 0
	v_add3_u32 v5, v5, v11, v7
	v_sub_u32_e32 v7, v9, v5
	v_mov_b32_e32 v11, s35
	v_sub_co_u32_e32 v4, vcc, v10, v4
	v_subb_co_u32_e64 v7, s[0:1], v7, v11, vcc
	v_subrev_co_u32_e64 v10, s[0:1], s34, v4
	v_subbrev_co_u32_e64 v7, s[0:1], 0, v7, s[0:1]
	v_cmp_le_u32_e64 s[0:1], s35, v7
	v_cndmask_b32_e64 v11, 0, -1, s[0:1]
	v_cmp_le_u32_e64 s[0:1], s34, v10
	v_cndmask_b32_e64 v10, 0, -1, s[0:1]
	v_cmp_eq_u32_e64 s[0:1], s35, v7
	v_cndmask_b32_e64 v7, v11, v10, s[0:1]
	v_add_co_u32_e64 v10, s[0:1], 2, v3
	v_subb_co_u32_e32 v5, vcc, v9, v5, vcc
	v_addc_co_u32_e64 v11, s[0:1], 0, v6, s[0:1]
	v_cmp_le_u32_e32 vcc, s35, v5
	v_add_co_u32_e64 v13, s[0:1], 1, v3
	v_cndmask_b32_e64 v9, 0, -1, vcc
	v_cmp_le_u32_e32 vcc, s34, v4
	v_addc_co_u32_e64 v14, s[0:1], 0, v6, s[0:1]
	v_cndmask_b32_e64 v4, 0, -1, vcc
	v_cmp_eq_u32_e32 vcc, s35, v5
	v_cmp_ne_u32_e64 s[0:1], 0, v7
	v_cndmask_b32_e32 v4, v9, v4, vcc
	v_cmp_ne_u32_e32 vcc, 0, v4
	v_cndmask_b32_e64 v5, v13, v10, s[0:1]
	v_cndmask_b32_e64 v7, v14, v11, s[0:1]
	v_cndmask_b32_e32 v3, v3, v5, vcc
	v_xor_b32_e32 v5, s30, v8
	v_cndmask_b32_e32 v4, v6, v7, vcc
	v_xor_b32_e32 v3, v3, v5
	v_xor_b32_e32 v4, v4, v5
	v_sub_co_u32_e32 v8, vcc, v3, v5
	v_subb_co_u32_e32 v9, vcc, v4, v5, vcc
.LBB70_5:                               ;   in Loop: Header=BB70_3 Depth=1
	s_andn2_saveexec_b64 s[0:1], s[28:29]
	s_cbranch_execz .LBB70_7
; %bb.6:                                ;   in Loop: Header=BB70_3 Depth=1
	s_sub_i32 s28, 0, s2
	v_mul_lo_u32 v3, s28, v12
	v_mul_hi_u32 v3, v12, v3
	v_add_u32_e32 v3, v12, v3
	v_mul_hi_u32 v3, v0, v3
	v_mul_lo_u32 v4, v3, s2
	v_sub_u32_e32 v4, v0, v4
	v_subrev_u32_e32 v5, s2, v4
	v_cmp_le_u32_e32 vcc, s2, v4
	v_cndmask_b32_e32 v4, v4, v5, vcc
	v_add_u32_e32 v5, 1, v3
	v_cndmask_b32_e32 v3, v3, v5, vcc
	v_add_u32_e32 v5, 1, v3
	v_cmp_le_u32_e32 vcc, s2, v4
	v_cndmask_b32_e32 v8, v3, v5, vcc
	v_mov_b32_e32 v9, v2
.LBB70_7:                               ;   in Loop: Header=BB70_3 Depth=1
	s_or_b64 exec, exec, s[0:1]
	s_waitcnt lgkmcnt(0)
	v_or_b32_e32 v3, s15, v9
	v_cmp_ne_u64_e32 vcc, 0, v[2:3]
                                        ; implicit-def: $vgpr6_vgpr7
	s_and_saveexec_b64 s[0:1], vcc
	s_xor_b64 s[28:29], exec, s[0:1]
	s_cbranch_execz .LBB70_9
; %bb.8:                                ;   in Loop: Header=BB70_3 Depth=1
	s_ashr_i32 s30, s15, 31
	s_add_u32 s0, s14, s30
	s_mov_b32 s31, s30
	s_addc_u32 s1, s15, s30
	s_xor_b64 s[34:35], s[0:1], s[30:31]
	v_cvt_f32_u32_e32 v3, s34
	v_cvt_f32_u32_e32 v4, s35
	s_sub_u32 s0, 0, s34
	s_subb_u32 s1, 0, s35
	v_mac_f32_e32 v3, 0x4f800000, v4
	v_rcp_f32_e32 v3, v3
	v_mul_f32_e32 v3, 0x5f7ffffc, v3
	v_mul_f32_e32 v4, 0x2f800000, v3
	v_trunc_f32_e32 v4, v4
	v_mac_f32_e32 v3, 0xcf800000, v4
	v_cvt_u32_f32_e32 v4, v4
	v_cvt_u32_f32_e32 v3, v3
	v_mul_lo_u32 v5, s0, v4
	v_mul_hi_u32 v7, s0, v3
	v_mul_lo_u32 v6, s1, v3
	v_add_u32_e32 v5, v7, v5
	v_mul_lo_u32 v10, s0, v3
	v_add_u32_e32 v5, v5, v6
	v_mul_lo_u32 v7, v3, v5
	v_mul_hi_u32 v11, v3, v10
	v_mul_hi_u32 v6, v3, v5
	v_add_co_u32_e32 v7, vcc, v11, v7
	v_addc_co_u32_e32 v6, vcc, 0, v6, vcc
	v_mul_hi_u32 v13, v4, v10
	v_mul_lo_u32 v10, v4, v10
	v_add_co_u32_e32 v7, vcc, v7, v10
	v_mul_hi_u32 v11, v4, v5
	v_addc_co_u32_e32 v6, vcc, v6, v13, vcc
	v_addc_co_u32_e32 v7, vcc, 0, v11, vcc
	v_mul_lo_u32 v5, v4, v5
	v_add_co_u32_e32 v5, vcc, v6, v5
	v_addc_co_u32_e32 v6, vcc, 0, v7, vcc
	v_add_co_u32_e32 v3, vcc, v3, v5
	v_addc_co_u32_e32 v4, vcc, v4, v6, vcc
	v_mul_lo_u32 v5, s0, v4
	v_mul_hi_u32 v6, s0, v3
	v_add_u32_e32 v5, v6, v5
	v_mul_lo_u32 v6, s1, v3
	v_add_u32_e32 v5, v5, v6
	v_mul_lo_u32 v7, s0, v3
	v_mul_hi_u32 v10, v4, v7
	v_mul_lo_u32 v11, v4, v7
	v_mul_lo_u32 v14, v3, v5
	v_mul_hi_u32 v7, v3, v7
	v_mul_hi_u32 v13, v3, v5
	v_add_co_u32_e32 v7, vcc, v7, v14
	v_addc_co_u32_e32 v13, vcc, 0, v13, vcc
	v_add_co_u32_e32 v7, vcc, v7, v11
	v_mul_hi_u32 v6, v4, v5
	v_addc_co_u32_e32 v7, vcc, v13, v10, vcc
	v_addc_co_u32_e32 v6, vcc, 0, v6, vcc
	v_mul_lo_u32 v5, v4, v5
	v_add_co_u32_e32 v5, vcc, v7, v5
	v_addc_co_u32_e32 v6, vcc, 0, v6, vcc
	v_add_co_u32_e32 v3, vcc, v3, v5
	v_addc_co_u32_e32 v6, vcc, v4, v6, vcc
	v_ashrrev_i32_e32 v10, 31, v9
	v_add_co_u32_e32 v4, vcc, v8, v10
	v_addc_co_u32_e32 v5, vcc, v9, v10, vcc
	v_xor_b32_e32 v13, v4, v10
	v_xor_b32_e32 v11, v5, v10
	v_mad_u64_u32 v[4:5], s[0:1], v13, v6, 0
	v_mul_hi_u32 v7, v13, v3
	v_add_co_u32_e32 v14, vcc, v7, v4
	v_addc_co_u32_e32 v15, vcc, 0, v5, vcc
	v_mad_u64_u32 v[4:5], s[0:1], v11, v6, 0
	v_mad_u64_u32 v[6:7], s[0:1], v11, v3, 0
	v_add_co_u32_e32 v3, vcc, v14, v6
	v_addc_co_u32_e32 v3, vcc, v15, v7, vcc
	v_addc_co_u32_e32 v5, vcc, 0, v5, vcc
	v_add_co_u32_e32 v3, vcc, v3, v4
	v_addc_co_u32_e32 v6, vcc, 0, v5, vcc
	v_mul_lo_u32 v7, s35, v3
	v_mul_lo_u32 v14, s34, v6
	v_mad_u64_u32 v[4:5], s[0:1], s34, v3, 0
	v_add3_u32 v5, v5, v14, v7
	v_sub_u32_e32 v7, v11, v5
	v_mov_b32_e32 v14, s35
	v_sub_co_u32_e32 v4, vcc, v13, v4
	v_subb_co_u32_e64 v7, s[0:1], v7, v14, vcc
	v_subrev_co_u32_e64 v13, s[0:1], s34, v4
	v_subbrev_co_u32_e64 v7, s[0:1], 0, v7, s[0:1]
	v_cmp_le_u32_e64 s[0:1], s35, v7
	v_cndmask_b32_e64 v14, 0, -1, s[0:1]
	v_cmp_le_u32_e64 s[0:1], s34, v13
	v_cndmask_b32_e64 v13, 0, -1, s[0:1]
	v_cmp_eq_u32_e64 s[0:1], s35, v7
	v_cndmask_b32_e64 v7, v14, v13, s[0:1]
	v_add_co_u32_e64 v13, s[0:1], 2, v3
	v_subb_co_u32_e32 v5, vcc, v11, v5, vcc
	v_addc_co_u32_e64 v14, s[0:1], 0, v6, s[0:1]
	v_cmp_le_u32_e32 vcc, s35, v5
	v_add_co_u32_e64 v15, s[0:1], 1, v3
	v_cndmask_b32_e64 v11, 0, -1, vcc
	v_cmp_le_u32_e32 vcc, s34, v4
	v_addc_co_u32_e64 v16, s[0:1], 0, v6, s[0:1]
	v_cndmask_b32_e64 v4, 0, -1, vcc
	v_cmp_eq_u32_e32 vcc, s35, v5
	v_cmp_ne_u32_e64 s[0:1], 0, v7
	v_cndmask_b32_e32 v4, v11, v4, vcc
	v_cmp_ne_u32_e32 vcc, 0, v4
	v_cndmask_b32_e64 v5, v15, v13, s[0:1]
	v_cndmask_b32_e64 v7, v16, v14, s[0:1]
	v_cndmask_b32_e32 v3, v3, v5, vcc
	v_xor_b32_e32 v5, s30, v10
	v_cndmask_b32_e32 v4, v6, v7, vcc
	v_xor_b32_e32 v3, v3, v5
	v_xor_b32_e32 v4, v4, v5
	v_sub_co_u32_e32 v6, vcc, v3, v5
	v_subb_co_u32_e32 v7, vcc, v4, v5, vcc
.LBB70_9:                               ;   in Loop: Header=BB70_3 Depth=1
	s_andn2_saveexec_b64 s[0:1], s[28:29]
	s_cbranch_execz .LBB70_11
; %bb.10:                               ;   in Loop: Header=BB70_3 Depth=1
	v_cvt_f32_u32_e32 v3, s14
	s_sub_i32 s28, 0, s14
	v_mov_b32_e32 v7, v2
	v_rcp_iflag_f32_e32 v3, v3
	v_mul_f32_e32 v3, 0x4f7ffffe, v3
	v_cvt_u32_f32_e32 v3, v3
	v_mul_lo_u32 v4, s28, v3
	v_mul_hi_u32 v4, v3, v4
	v_add_u32_e32 v3, v3, v4
	v_mul_hi_u32 v3, v8, v3
	v_mul_lo_u32 v4, v3, s14
	v_sub_u32_e32 v4, v8, v4
	v_add_u32_e32 v5, 1, v3
	v_subrev_u32_e32 v6, s14, v4
	v_cmp_le_u32_e32 vcc, s14, v4
	v_cndmask_b32_e32 v4, v4, v6, vcc
	v_cndmask_b32_e32 v3, v3, v5, vcc
	v_add_u32_e32 v5, 1, v3
	v_cmp_le_u32_e32 vcc, s14, v4
	v_cndmask_b32_e32 v6, v3, v5, vcc
.LBB70_11:                              ;   in Loop: Header=BB70_3 Depth=1
	s_or_b64 exec, exec, s[0:1]
	v_mul_lo_u32 v3, v9, s2
	v_mul_lo_u32 v10, v8, s3
	v_mad_u64_u32 v[4:5], s[0:1], v8, s2, 0
	v_add3_u32 v3, v5, v10, v3
	v_sub_co_u32_e32 v4, vcc, v0, v4
	v_subb_co_u32_e32 v5, vcc, v1, v3, vcc
	v_mul_lo_u32 v3, v7, s14
	v_mul_lo_u32 v13, v6, s15
	v_mad_u64_u32 v[10:11], s[0:1], v6, s14, 0
	v_add3_u32 v3, v11, v13, v3
	v_sub_co_u32_e32 v13, vcc, v8, v10
	v_subb_co_u32_e32 v14, vcc, v9, v3, vcc
	v_sub_co_u32_e32 v8, vcc, v4, v13
	v_subb_co_u32_e32 v9, vcc, v5, v14, vcc
	v_cmp_gt_i64_e32 vcc, s[8:9], v[8:9]
	s_and_saveexec_b64 s[28:29], vcc
	s_cbranch_execz .LBB70_2
; %bb.12:                               ;   in Loop: Header=BB70_3 Depth=1
	s_load_dwordx2 s[30:31], s[4:5], 0x0
	s_load_dwordx2 s[0:1], s[16:17], 0x0
	s_and_b64 vcc, exec, s[12:13]
	s_mov_b64 s[36:37], s[22:23]
	s_mov_b64 s[38:39], s[20:21]
	s_waitcnt lgkmcnt(0)
	v_mul_lo_u32 v3, s31, v4
	v_mul_lo_u32 v10, s30, v5
	v_mad_u64_u32 v[8:9], s[34:35], s30, v4, 0
	v_add3_u32 v9, v9, v10, v3
	v_mad_u64_u32 v[8:9], s[34:35], s0, v13, v[8:9]
	v_mul_lo_u32 v3, s0, v14
	v_mul_lo_u32 v10, s1, v13
	v_add3_u32 v9, v10, v9, v3
	s_mov_b64 s[34:35], s[24:25]
	s_cbranch_vccnz .LBB70_23
.LBB70_13:                              ;   in Loop: Header=BB70_3 Depth=1
	s_load_dwordx2 s[0:1], s[18:19], 0x0
	s_waitcnt lgkmcnt(0)
	v_cmp_gt_i64_e32 vcc, s[0:1], v[4:5]
	s_and_b64 exec, exec, vcc
	s_cbranch_execz .LBB70_2
; %bb.14:                               ;   in Loop: Header=BB70_3 Depth=1
	v_lshlrev_b64 v[6:7], 1, v[8:9]
	v_mov_b32_e32 v3, s7
	v_add_co_u32_e32 v6, vcc, s6, v6
	v_addc_co_u32_e32 v7, vcc, v3, v7, vcc
	v_add_co_u32_e32 v8, vcc, 1, v4
	v_addc_co_u32_e32 v9, vcc, 0, v5, vcc
	v_cmp_gt_i64_e32 vcc, s[0:1], v[8:9]
	global_store_short v[6:7], v2, off
	s_and_b64 exec, exec, vcc
	s_cbranch_execz .LBB70_2
; %bb.15:                               ;   in Loop: Header=BB70_3 Depth=1
	v_sub_co_u32_e32 v8, vcc, v8, v13
	v_subb_co_u32_e32 v9, vcc, v9, v14, vcc
	v_cmp_gt_i64_e32 vcc, s[8:9], v[8:9]
	s_and_saveexec_b64 s[34:35], vcc
	s_cbranch_execz .LBB70_17
; %bb.16:                               ;   in Loop: Header=BB70_3 Depth=1
	s_lshl_b64 s[36:37], s[30:31], 1
	v_mov_b32_e32 v3, s37
	v_add_co_u32_e32 v8, vcc, s36, v6
	v_addc_co_u32_e32 v9, vcc, v7, v3, vcc
	global_store_short v[8:9], v2, off
.LBB70_17:                              ;   in Loop: Header=BB70_3 Depth=1
	s_or_b64 exec, exec, s[34:35]
	v_add_co_u32_e32 v8, vcc, 2, v4
	v_addc_co_u32_e32 v9, vcc, 0, v5, vcc
	v_cmp_gt_i64_e32 vcc, s[0:1], v[8:9]
	s_and_b64 exec, exec, vcc
	s_cbranch_execz .LBB70_2
; %bb.18:                               ;   in Loop: Header=BB70_3 Depth=1
	v_sub_co_u32_e32 v8, vcc, v8, v13
	v_subb_co_u32_e32 v9, vcc, v9, v14, vcc
	v_cmp_gt_i64_e32 vcc, s[8:9], v[8:9]
	s_and_saveexec_b64 s[34:35], vcc
	s_cbranch_execz .LBB70_20
; %bb.19:                               ;   in Loop: Header=BB70_3 Depth=1
	s_lshl_b64 s[36:37], s[30:31], 2
	v_mov_b32_e32 v3, s37
	v_add_co_u32_e32 v8, vcc, s36, v6
	v_addc_co_u32_e32 v9, vcc, v7, v3, vcc
	global_store_short v[8:9], v2, off
.LBB70_20:                              ;   in Loop: Header=BB70_3 Depth=1
	s_or_b64 exec, exec, s[34:35]
	v_add_co_u32_e32 v4, vcc, 3, v4
	v_addc_co_u32_e32 v5, vcc, 0, v5, vcc
	v_cmp_gt_i64_e32 vcc, s[0:1], v[4:5]
	v_sub_co_u32_e64 v4, s[0:1], v4, v13
	v_subb_co_u32_e64 v5, s[0:1], v5, v14, s[0:1]
	v_cmp_gt_i64_e64 s[0:1], s[8:9], v[4:5]
	s_and_b64 s[0:1], vcc, s[0:1]
	s_and_b64 exec, exec, s[0:1]
	s_cbranch_execz .LBB70_2
; %bb.21:                               ;   in Loop: Header=BB70_3 Depth=1
	v_mad_u64_u32 v[4:5], s[0:1], s30, 6, v[6:7]
	v_mov_b32_e32 v6, v5
	v_mad_u64_u32 v[6:7], s[0:1], s31, 6, v[6:7]
	v_mov_b32_e32 v5, v6
	global_store_short v[4:5], v2, off
	s_branch .LBB70_2
.LBB70_22:                              ;   in Loop: Header=BB70_23 Depth=2
	s_or_b64 exec, exec, s[0:1]
	v_mad_u64_u32 v[16:17], s[0:1], v10, s40, 0
	s_load_dwordx2 s[0:1], s[38:39], 0x0
	s_add_u32 s38, s38, -8
	s_addc_u32 s39, s39, -1
	v_mul_lo_u32 v3, v11, s40
	v_mul_lo_u32 v15, v10, s41
	s_add_u32 s36, s36, -8
	v_add3_u32 v3, v17, v15, v3
	v_sub_co_u32_e32 v6, vcc, v6, v16
	s_addc_u32 s37, s37, -1
	v_subb_co_u32_e32 v3, vcc, v7, v3, vcc
	s_add_u32 s34, s34, -1
	s_waitcnt lgkmcnt(0)
	v_mul_lo_u32 v3, s0, v3
	v_mul_lo_u32 v7, s1, v6
	v_mad_u64_u32 v[8:9], s[0:1], s0, v6, v[8:9]
	s_addc_u32 s35, s35, -1
	v_cmp_lt_i64_e64 s[0:1], s[34:35], 1
	v_add3_u32 v9, v7, v9, v3
	s_and_b64 vcc, exec, s[0:1]
	v_pk_mov_b32 v[6:7], v[10:11], v[10:11] op_sel:[0,1]
	s_cbranch_vccnz .LBB70_13
.LBB70_23:                              ;   Parent Loop BB70_3 Depth=1
                                        ; =>  This Inner Loop Header: Depth=2
	s_load_dwordx2 s[40:41], s[36:37], 0x0
                                        ; implicit-def: $vgpr10_vgpr11
	s_waitcnt lgkmcnt(0)
	v_or_b32_e32 v3, s41, v7
	v_cmp_ne_u64_e32 vcc, 0, v[2:3]
	s_and_saveexec_b64 s[0:1], vcc
	s_xor_b64 s[42:43], exec, s[0:1]
	s_cbranch_execz .LBB70_25
; %bb.24:                               ;   in Loop: Header=BB70_23 Depth=2
	s_ashr_i32 s44, s41, 31
	s_add_u32 s0, s40, s44
	s_mov_b32 s45, s44
	s_addc_u32 s1, s41, s44
	s_xor_b64 s[46:47], s[0:1], s[44:45]
	v_cvt_f32_u32_e32 v3, s46
	v_cvt_f32_u32_e32 v10, s47
	s_sub_u32 s0, 0, s46
	s_subb_u32 s1, 0, s47
	v_mac_f32_e32 v3, 0x4f800000, v10
	v_rcp_f32_e32 v3, v3
	v_mul_f32_e32 v3, 0x5f7ffffc, v3
	v_mul_f32_e32 v10, 0x2f800000, v3
	v_trunc_f32_e32 v10, v10
	v_mac_f32_e32 v3, 0xcf800000, v10
	v_cvt_u32_f32_e32 v10, v10
	v_cvt_u32_f32_e32 v3, v3
	v_mul_lo_u32 v11, s0, v10
	v_mul_hi_u32 v16, s0, v3
	v_mul_lo_u32 v15, s1, v3
	v_add_u32_e32 v11, v16, v11
	v_mul_lo_u32 v17, s0, v3
	v_add_u32_e32 v11, v11, v15
	v_mul_lo_u32 v16, v3, v11
	v_mul_hi_u32 v18, v3, v17
	v_mul_hi_u32 v15, v3, v11
	v_add_co_u32_e32 v16, vcc, v18, v16
	v_addc_co_u32_e32 v15, vcc, 0, v15, vcc
	v_mul_hi_u32 v19, v10, v17
	v_mul_lo_u32 v17, v10, v17
	v_add_co_u32_e32 v16, vcc, v16, v17
	v_mul_hi_u32 v18, v10, v11
	v_addc_co_u32_e32 v15, vcc, v15, v19, vcc
	v_addc_co_u32_e32 v16, vcc, 0, v18, vcc
	v_mul_lo_u32 v11, v10, v11
	v_add_co_u32_e32 v11, vcc, v15, v11
	v_addc_co_u32_e32 v15, vcc, 0, v16, vcc
	v_add_co_u32_e32 v3, vcc, v3, v11
	v_addc_co_u32_e32 v10, vcc, v10, v15, vcc
	v_mul_lo_u32 v11, s0, v10
	v_mul_hi_u32 v15, s0, v3
	v_add_u32_e32 v11, v15, v11
	v_mul_lo_u32 v15, s1, v3
	v_add_u32_e32 v11, v11, v15
	v_mul_lo_u32 v16, s0, v3
	v_mul_hi_u32 v17, v10, v16
	v_mul_lo_u32 v18, v10, v16
	v_mul_lo_u32 v20, v3, v11
	v_mul_hi_u32 v16, v3, v16
	v_mul_hi_u32 v19, v3, v11
	v_add_co_u32_e32 v16, vcc, v16, v20
	v_addc_co_u32_e32 v19, vcc, 0, v19, vcc
	v_add_co_u32_e32 v16, vcc, v16, v18
	v_mul_hi_u32 v15, v10, v11
	v_addc_co_u32_e32 v16, vcc, v19, v17, vcc
	v_addc_co_u32_e32 v15, vcc, 0, v15, vcc
	v_mul_lo_u32 v11, v10, v11
	v_add_co_u32_e32 v11, vcc, v16, v11
	v_addc_co_u32_e32 v15, vcc, 0, v15, vcc
	v_add_co_u32_e32 v3, vcc, v3, v11
	v_addc_co_u32_e32 v15, vcc, v10, v15, vcc
	v_ashrrev_i32_e32 v18, 31, v7
	v_add_co_u32_e32 v10, vcc, v6, v18
	v_addc_co_u32_e32 v11, vcc, v7, v18, vcc
	v_xor_b32_e32 v20, v10, v18
	v_xor_b32_e32 v19, v11, v18
	v_mad_u64_u32 v[10:11], s[0:1], v20, v15, 0
	v_mul_hi_u32 v16, v20, v3
	v_add_co_u32_e32 v21, vcc, v16, v10
	v_addc_co_u32_e32 v22, vcc, 0, v11, vcc
	v_mad_u64_u32 v[16:17], s[0:1], v19, v3, 0
	v_add_co_u32_e32 v3, vcc, v21, v16
	v_mad_u64_u32 v[10:11], s[0:1], v19, v15, 0
	v_addc_co_u32_e32 v3, vcc, v22, v17, vcc
	v_addc_co_u32_e32 v11, vcc, 0, v11, vcc
	v_add_co_u32_e32 v3, vcc, v3, v10
	v_addc_co_u32_e32 v15, vcc, 0, v11, vcc
	v_mul_lo_u32 v16, s47, v3
	v_mul_lo_u32 v17, s46, v15
	v_mad_u64_u32 v[10:11], s[0:1], s46, v3, 0
	v_add3_u32 v11, v11, v17, v16
	v_sub_u32_e32 v16, v19, v11
	v_mov_b32_e32 v17, s47
	v_sub_co_u32_e32 v10, vcc, v20, v10
	v_subb_co_u32_e64 v16, s[0:1], v16, v17, vcc
	v_subrev_co_u32_e64 v17, s[0:1], s46, v10
	v_subbrev_co_u32_e64 v16, s[0:1], 0, v16, s[0:1]
	v_cmp_le_u32_e64 s[0:1], s47, v16
	v_cndmask_b32_e64 v20, 0, -1, s[0:1]
	v_cmp_le_u32_e64 s[0:1], s46, v17
	v_cndmask_b32_e64 v17, 0, -1, s[0:1]
	v_cmp_eq_u32_e64 s[0:1], s47, v16
	v_cndmask_b32_e64 v16, v20, v17, s[0:1]
	v_add_co_u32_e64 v17, s[0:1], 2, v3
	v_subb_co_u32_e32 v11, vcc, v19, v11, vcc
	v_addc_co_u32_e64 v20, s[0:1], 0, v15, s[0:1]
	v_cmp_le_u32_e32 vcc, s47, v11
	v_add_co_u32_e64 v21, s[0:1], 1, v3
	v_cndmask_b32_e64 v19, 0, -1, vcc
	v_cmp_le_u32_e32 vcc, s46, v10
	v_addc_co_u32_e64 v22, s[0:1], 0, v15, s[0:1]
	v_cndmask_b32_e64 v10, 0, -1, vcc
	v_cmp_eq_u32_e32 vcc, s47, v11
	v_cmp_ne_u32_e64 s[0:1], 0, v16
	v_cndmask_b32_e32 v10, v19, v10, vcc
	v_cmp_ne_u32_e32 vcc, 0, v10
	v_cndmask_b32_e64 v11, v21, v17, s[0:1]
	v_cndmask_b32_e64 v16, v22, v20, s[0:1]
	v_cndmask_b32_e32 v3, v3, v11, vcc
	v_xor_b32_e32 v11, s44, v18
	v_cndmask_b32_e32 v10, v15, v16, vcc
	v_xor_b32_e32 v3, v3, v11
	v_xor_b32_e32 v15, v10, v11
	v_sub_co_u32_e32 v10, vcc, v3, v11
	v_subb_co_u32_e32 v11, vcc, v15, v11, vcc
.LBB70_25:                              ;   in Loop: Header=BB70_23 Depth=2
	s_andn2_saveexec_b64 s[0:1], s[42:43]
	s_cbranch_execz .LBB70_22
; %bb.26:                               ;   in Loop: Header=BB70_23 Depth=2
	v_cvt_f32_u32_e32 v3, s40
	s_sub_i32 s42, 0, s40
	v_rcp_iflag_f32_e32 v3, v3
	v_mul_f32_e32 v3, 0x4f7ffffe, v3
	v_cvt_u32_f32_e32 v3, v3
	v_mul_lo_u32 v10, s42, v3
	v_mul_hi_u32 v10, v3, v10
	v_add_u32_e32 v3, v3, v10
	v_mul_hi_u32 v3, v6, v3
	v_mul_lo_u32 v10, v3, s40
	v_sub_u32_e32 v10, v6, v10
	v_add_u32_e32 v11, 1, v3
	v_subrev_u32_e32 v15, s40, v10
	v_cmp_le_u32_e32 vcc, s40, v10
	v_cndmask_b32_e32 v10, v10, v15, vcc
	v_cndmask_b32_e32 v3, v3, v11, vcc
	v_add_u32_e32 v11, 1, v3
	v_cmp_le_u32_e32 vcc, s40, v10
	v_cndmask_b32_e32 v10, v3, v11, vcc
	v_mov_b32_e32 v11, v2
	s_branch .LBB70_22
.LBB70_27:
	s_endpgm
	.section	.rodata,"a",@progbits
	.p2align	6, 0x0
	.amdhsa_kernel _ZN2at6native16triu_tril_kernelIslLb1ELi4ELb1EEEvNS_4cuda6detail10TensorInfoIT_T0_EENS4_IKS5_S6_EEllS6_
		.amdhsa_group_segment_fixed_size 0
		.amdhsa_private_segment_fixed_size 0
		.amdhsa_kernarg_size 1112
		.amdhsa_user_sgpr_count 6
		.amdhsa_user_sgpr_private_segment_buffer 1
		.amdhsa_user_sgpr_dispatch_ptr 0
		.amdhsa_user_sgpr_queue_ptr 0
		.amdhsa_user_sgpr_kernarg_segment_ptr 1
		.amdhsa_user_sgpr_dispatch_id 0
		.amdhsa_user_sgpr_flat_scratch_init 0
		.amdhsa_user_sgpr_kernarg_preload_length 0
		.amdhsa_user_sgpr_kernarg_preload_offset 0
		.amdhsa_user_sgpr_private_segment_size 0
		.amdhsa_uses_dynamic_stack 0
		.amdhsa_system_sgpr_private_segment_wavefront_offset 0
		.amdhsa_system_sgpr_workgroup_id_x 1
		.amdhsa_system_sgpr_workgroup_id_y 0
		.amdhsa_system_sgpr_workgroup_id_z 0
		.amdhsa_system_sgpr_workgroup_info 0
		.amdhsa_system_vgpr_workitem_id 0
		.amdhsa_next_free_vgpr 23
		.amdhsa_next_free_sgpr 49
		.amdhsa_accum_offset 24
		.amdhsa_reserve_vcc 1
		.amdhsa_reserve_flat_scratch 0
		.amdhsa_float_round_mode_32 0
		.amdhsa_float_round_mode_16_64 0
		.amdhsa_float_denorm_mode_32 3
		.amdhsa_float_denorm_mode_16_64 3
		.amdhsa_dx10_clamp 1
		.amdhsa_ieee_mode 1
		.amdhsa_fp16_overflow 0
		.amdhsa_tg_split 0
		.amdhsa_exception_fp_ieee_invalid_op 0
		.amdhsa_exception_fp_denorm_src 0
		.amdhsa_exception_fp_ieee_div_zero 0
		.amdhsa_exception_fp_ieee_overflow 0
		.amdhsa_exception_fp_ieee_underflow 0
		.amdhsa_exception_fp_ieee_inexact 0
		.amdhsa_exception_int_div_zero 0
	.end_amdhsa_kernel
	.section	.text._ZN2at6native16triu_tril_kernelIslLb1ELi4ELb1EEEvNS_4cuda6detail10TensorInfoIT_T0_EENS4_IKS5_S6_EEllS6_,"axG",@progbits,_ZN2at6native16triu_tril_kernelIslLb1ELi4ELb1EEEvNS_4cuda6detail10TensorInfoIT_T0_EENS4_IKS5_S6_EEllS6_,comdat
.Lfunc_end70:
	.size	_ZN2at6native16triu_tril_kernelIslLb1ELi4ELb1EEEvNS_4cuda6detail10TensorInfoIT_T0_EENS4_IKS5_S6_EEllS6_, .Lfunc_end70-_ZN2at6native16triu_tril_kernelIslLb1ELi4ELb1EEEvNS_4cuda6detail10TensorInfoIT_T0_EENS4_IKS5_S6_EEllS6_
                                        ; -- End function
	.section	.AMDGPU.csdata,"",@progbits
; Kernel info:
; codeLenInByte = 3332
; NumSgprs: 53
; NumVgprs: 23
; NumAgprs: 0
; TotalNumVgprs: 23
; ScratchSize: 0
; MemoryBound: 0
; FloatMode: 240
; IeeeMode: 1
; LDSByteSize: 0 bytes/workgroup (compile time only)
; SGPRBlocks: 6
; VGPRBlocks: 2
; NumSGPRsForWavesPerEU: 53
; NumVGPRsForWavesPerEU: 23
; AccumOffset: 24
; Occupancy: 8
; WaveLimiterHint : 0
; COMPUTE_PGM_RSRC2:SCRATCH_EN: 0
; COMPUTE_PGM_RSRC2:USER_SGPR: 6
; COMPUTE_PGM_RSRC2:TRAP_HANDLER: 0
; COMPUTE_PGM_RSRC2:TGID_X_EN: 1
; COMPUTE_PGM_RSRC2:TGID_Y_EN: 0
; COMPUTE_PGM_RSRC2:TGID_Z_EN: 0
; COMPUTE_PGM_RSRC2:TIDIG_COMP_CNT: 0
; COMPUTE_PGM_RSRC3_GFX90A:ACCUM_OFFSET: 5
; COMPUTE_PGM_RSRC3_GFX90A:TG_SPLIT: 0
	.section	.text._ZN2at6native16triu_tril_kernelIslLb1ELi4ELb0EEEvNS_4cuda6detail10TensorInfoIT_T0_EENS4_IKS5_S6_EEllS6_,"axG",@progbits,_ZN2at6native16triu_tril_kernelIslLb1ELi4ELb0EEEvNS_4cuda6detail10TensorInfoIT_T0_EENS4_IKS5_S6_EEllS6_,comdat
	.protected	_ZN2at6native16triu_tril_kernelIslLb1ELi4ELb0EEEvNS_4cuda6detail10TensorInfoIT_T0_EENS4_IKS5_S6_EEllS6_ ; -- Begin function _ZN2at6native16triu_tril_kernelIslLb1ELi4ELb0EEEvNS_4cuda6detail10TensorInfoIT_T0_EENS4_IKS5_S6_EEllS6_
	.globl	_ZN2at6native16triu_tril_kernelIslLb1ELi4ELb0EEEvNS_4cuda6detail10TensorInfoIT_T0_EENS4_IKS5_S6_EEllS6_
	.p2align	8
	.type	_ZN2at6native16triu_tril_kernelIslLb1ELi4ELb0EEEvNS_4cuda6detail10TensorInfoIT_T0_EENS4_IKS5_S6_EEllS6_,@function
_ZN2at6native16triu_tril_kernelIslLb1ELi4ELb0EEEvNS_4cuda6detail10TensorInfoIT_T0_EENS4_IKS5_S6_EEllS6_: ; @_ZN2at6native16triu_tril_kernelIslLb1ELi4ELb0EEEvNS_4cuda6detail10TensorInfoIT_T0_EENS4_IKS5_S6_EEllS6_
; %bb.0:
	s_load_dword s2, s[4:5], 0x364
	s_load_dwordx4 s[8:11], s[4:5], 0x340
	s_add_u32 s0, s4, 0x358
	v_mov_b32_e32 v2, 0
	s_addc_u32 s1, s5, 0
	s_waitcnt lgkmcnt(0)
	s_and_b32 s7, s2, 0xffff
	v_mov_b32_e32 v1, v2
	v_mov_b32_e32 v3, s6
	v_mad_u64_u32 v[0:1], s[2:3], s7, v3, v[0:1]
	v_lshlrev_b64 v[0:1], 2, v[0:1]
	s_mov_b32 s33, 0xffff
	v_cmp_gt_i64_e32 vcc, s[10:11], v[0:1]
	s_and_saveexec_b64 s[2:3], vcc
	s_cbranch_execz .LBB71_32
; %bb.1:
	s_load_dword s6, s[0:1], 0x0
	s_load_dwordx2 s[2:3], s[4:5], 0x350
	s_load_dword s26, s[4:5], 0x338
	s_add_u32 s12, s4, 0x1a0
	s_addc_u32 s13, s5, 0
	s_waitcnt lgkmcnt(0)
	s_mul_i32 s28, s6, s7
	v_cvt_f32_u32_e32 v3, s2
	s_ashr_i32 s27, s26, 31
	s_add_u32 s44, s4, 0x1a8
	s_addc_u32 s45, s5, 0
	s_lshl_b64 s[0:1], s[26:27], 3
	s_add_u32 s22, s0, -16
	s_addc_u32 s23, s1, -1
	s_add_u32 s0, s44, s22
	s_addc_u32 s1, s45, s23
	s_add_u32 s20, s12, s22
	s_addc_u32 s21, s13, s23
	;; [unrolled: 2-line block ×3, first 2 shown]
	s_load_dwordx4 s[12:15], s[0:1], 0x0
	s_load_dwordx4 s[16:19], s[20:21], 0xd0
	s_add_u32 s0, s40, s22
	s_addc_u32 s1, s41, s23
	s_load_dwordx4 s[20:23], s[0:1], 0x0
	s_load_dwordx2 s[6:7], s[4:5], 0x1a0
	v_rcp_iflag_f32_e32 v3, v3
	s_load_dwordx2 s[4:5], s[4:5], 0x0
	s_add_i32 s0, s26, -3
	s_ashr_i32 s1, s0, 31
	s_lshl_b32 s62, s28, 2
	s_waitcnt lgkmcnt(0)
	s_mul_i32 s28, s19, 6
	s_mul_hi_u32 s29, s18, 6
	s_mul_i32 s30, s23, 6
	s_mul_hi_u32 s31, s22, 6
	v_cmp_gt_i64_e64 s[24:25], s[26:27], 2
	s_lshl_b64 s[26:27], s[18:19], 2
	s_add_i32 s64, s29, s28
	s_lshl_b64 s[28:29], s[22:23], 2
	s_add_i32 s66, s31, s30
	s_lshl_b64 s[42:43], s[0:1], 3
	s_add_u32 s40, s40, s42
	s_addc_u32 s41, s41, s43
	v_mul_f32_e32 v3, 0x4f7ffffe, v3
	s_add_u32 s42, s44, s42
	v_cvt_u32_f32_e32 v14, v3
	s_addc_u32 s43, s45, s43
	s_add_u32 s44, s0, 1
	s_mov_b32 s63, 0
	s_mul_i32 s65, s18, 6
	s_mul_i32 s67, s22, 6
	s_mov_b32 s30, s8
	s_mov_b32 s31, s9
	;; [unrolled: 1-line block ×8, first 2 shown]
	s_addc_u32 s45, s1, 0
	s_mov_b64 s[46:47], 0
	s_mov_b32 s68, 0x5040100
	s_branch .LBB71_3
.LBB71_2:                               ;   in Loop: Header=BB71_3 Depth=1
	s_or_b64 exec, exec, s[0:1]
	v_mov_b32_e32 v3, s63
	v_add_co_u32_e32 v0, vcc, s62, v0
	v_addc_co_u32_e32 v1, vcc, v1, v3, vcc
	v_cmp_le_i64_e32 vcc, s[10:11], v[0:1]
	s_or_b64 s[46:47], vcc, s[46:47]
	s_andn2_b64 exec, exec, s[46:47]
	s_cbranch_execz .LBB71_32
.LBB71_3:                               ; =>This Loop Header: Depth=1
                                        ;     Child Loop BB71_28 Depth 2
	v_or_b32_e32 v3, s3, v1
	v_cmp_ne_u64_e32 vcc, 0, v[2:3]
                                        ; implicit-def: $vgpr6_vgpr7
	s_and_saveexec_b64 s[0:1], vcc
	s_xor_b64 s[48:49], exec, s[0:1]
	s_cbranch_execz .LBB71_5
; %bb.4:                                ;   in Loop: Header=BB71_3 Depth=1
	s_ashr_i32 s50, s3, 31
	s_add_u32 s0, s2, s50
	s_mov_b32 s51, s50
	s_addc_u32 s1, s3, s50
	s_xor_b64 s[52:53], s[0:1], s[50:51]
	v_cvt_f32_u32_e32 v3, s52
	v_cvt_f32_u32_e32 v4, s53
	s_sub_u32 s0, 0, s52
	s_subb_u32 s1, 0, s53
	v_mac_f32_e32 v3, 0x4f800000, v4
	v_rcp_f32_e32 v3, v3
	v_mul_f32_e32 v3, 0x5f7ffffc, v3
	v_mul_f32_e32 v4, 0x2f800000, v3
	v_trunc_f32_e32 v4, v4
	v_mac_f32_e32 v3, 0xcf800000, v4
	v_cvt_u32_f32_e32 v4, v4
	v_cvt_u32_f32_e32 v3, v3
	v_mul_lo_u32 v5, s0, v4
	v_mul_hi_u32 v7, s0, v3
	v_mul_lo_u32 v6, s1, v3
	v_add_u32_e32 v5, v7, v5
	v_mul_lo_u32 v8, s0, v3
	v_add_u32_e32 v5, v5, v6
	v_mul_lo_u32 v7, v3, v5
	v_mul_hi_u32 v9, v3, v8
	v_mul_hi_u32 v6, v3, v5
	v_add_co_u32_e32 v7, vcc, v9, v7
	v_addc_co_u32_e32 v6, vcc, 0, v6, vcc
	v_mul_hi_u32 v10, v4, v8
	v_mul_lo_u32 v8, v4, v8
	v_add_co_u32_e32 v7, vcc, v7, v8
	v_mul_hi_u32 v9, v4, v5
	v_addc_co_u32_e32 v6, vcc, v6, v10, vcc
	v_addc_co_u32_e32 v7, vcc, 0, v9, vcc
	v_mul_lo_u32 v5, v4, v5
	v_add_co_u32_e32 v5, vcc, v6, v5
	v_addc_co_u32_e32 v6, vcc, 0, v7, vcc
	v_add_co_u32_e32 v3, vcc, v3, v5
	v_addc_co_u32_e32 v4, vcc, v4, v6, vcc
	v_mul_lo_u32 v5, s0, v4
	v_mul_hi_u32 v6, s0, v3
	v_add_u32_e32 v5, v6, v5
	v_mul_lo_u32 v6, s1, v3
	v_add_u32_e32 v5, v5, v6
	v_mul_lo_u32 v7, s0, v3
	v_mul_hi_u32 v8, v4, v7
	v_mul_lo_u32 v9, v4, v7
	v_mul_lo_u32 v11, v3, v5
	v_mul_hi_u32 v7, v3, v7
	v_mul_hi_u32 v10, v3, v5
	v_add_co_u32_e32 v7, vcc, v7, v11
	v_addc_co_u32_e32 v10, vcc, 0, v10, vcc
	v_add_co_u32_e32 v7, vcc, v7, v9
	v_mul_hi_u32 v6, v4, v5
	v_addc_co_u32_e32 v7, vcc, v10, v8, vcc
	v_addc_co_u32_e32 v6, vcc, 0, v6, vcc
	v_mul_lo_u32 v5, v4, v5
	v_add_co_u32_e32 v5, vcc, v7, v5
	v_addc_co_u32_e32 v6, vcc, 0, v6, vcc
	v_add_co_u32_e32 v3, vcc, v3, v5
	v_addc_co_u32_e32 v6, vcc, v4, v6, vcc
	v_ashrrev_i32_e32 v8, 31, v1
	v_add_co_u32_e32 v4, vcc, v0, v8
	v_addc_co_u32_e32 v5, vcc, v1, v8, vcc
	v_xor_b32_e32 v10, v4, v8
	v_xor_b32_e32 v9, v5, v8
	v_mad_u64_u32 v[4:5], s[0:1], v10, v6, 0
	v_mul_hi_u32 v7, v10, v3
	v_add_co_u32_e32 v11, vcc, v7, v4
	v_addc_co_u32_e32 v12, vcc, 0, v5, vcc
	v_mad_u64_u32 v[4:5], s[0:1], v9, v6, 0
	v_mad_u64_u32 v[6:7], s[0:1], v9, v3, 0
	v_add_co_u32_e32 v3, vcc, v11, v6
	v_addc_co_u32_e32 v3, vcc, v12, v7, vcc
	v_addc_co_u32_e32 v5, vcc, 0, v5, vcc
	v_add_co_u32_e32 v3, vcc, v3, v4
	v_addc_co_u32_e32 v6, vcc, 0, v5, vcc
	v_mul_lo_u32 v7, s53, v3
	v_mul_lo_u32 v11, s52, v6
	v_mad_u64_u32 v[4:5], s[0:1], s52, v3, 0
	v_add3_u32 v5, v5, v11, v7
	v_sub_u32_e32 v7, v9, v5
	v_mov_b32_e32 v11, s53
	v_sub_co_u32_e32 v4, vcc, v10, v4
	v_subb_co_u32_e64 v7, s[0:1], v7, v11, vcc
	v_subrev_co_u32_e64 v10, s[0:1], s52, v4
	v_subbrev_co_u32_e64 v7, s[0:1], 0, v7, s[0:1]
	v_cmp_le_u32_e64 s[0:1], s53, v7
	v_cndmask_b32_e64 v11, 0, -1, s[0:1]
	v_cmp_le_u32_e64 s[0:1], s52, v10
	v_cndmask_b32_e64 v10, 0, -1, s[0:1]
	v_cmp_eq_u32_e64 s[0:1], s53, v7
	v_cndmask_b32_e64 v7, v11, v10, s[0:1]
	v_add_co_u32_e64 v10, s[0:1], 2, v3
	v_subb_co_u32_e32 v5, vcc, v9, v5, vcc
	v_addc_co_u32_e64 v11, s[0:1], 0, v6, s[0:1]
	v_cmp_le_u32_e32 vcc, s53, v5
	v_add_co_u32_e64 v12, s[0:1], 1, v3
	v_cndmask_b32_e64 v9, 0, -1, vcc
	v_cmp_le_u32_e32 vcc, s52, v4
	v_addc_co_u32_e64 v13, s[0:1], 0, v6, s[0:1]
	v_cndmask_b32_e64 v4, 0, -1, vcc
	v_cmp_eq_u32_e32 vcc, s53, v5
	v_cmp_ne_u32_e64 s[0:1], 0, v7
	v_cndmask_b32_e32 v4, v9, v4, vcc
	v_cmp_ne_u32_e32 vcc, 0, v4
	v_cndmask_b32_e64 v5, v12, v10, s[0:1]
	v_cndmask_b32_e64 v7, v13, v11, s[0:1]
	v_cndmask_b32_e32 v3, v3, v5, vcc
	v_xor_b32_e32 v5, s50, v8
	v_cndmask_b32_e32 v4, v6, v7, vcc
	v_xor_b32_e32 v3, v3, v5
	v_xor_b32_e32 v4, v4, v5
	v_sub_co_u32_e32 v6, vcc, v3, v5
	v_subb_co_u32_e32 v7, vcc, v4, v5, vcc
.LBB71_5:                               ;   in Loop: Header=BB71_3 Depth=1
	s_andn2_saveexec_b64 s[0:1], s[48:49]
	s_cbranch_execz .LBB71_7
; %bb.6:                                ;   in Loop: Header=BB71_3 Depth=1
	s_sub_i32 s48, 0, s2
	v_mul_lo_u32 v3, s48, v14
	v_mul_hi_u32 v3, v14, v3
	v_add_u32_e32 v3, v14, v3
	v_mul_hi_u32 v3, v0, v3
	v_mul_lo_u32 v4, v3, s2
	v_sub_u32_e32 v4, v0, v4
	v_subrev_u32_e32 v5, s2, v4
	v_cmp_le_u32_e32 vcc, s2, v4
	v_cndmask_b32_e32 v4, v4, v5, vcc
	v_add_u32_e32 v5, 1, v3
	v_cndmask_b32_e32 v3, v3, v5, vcc
	v_add_u32_e32 v5, 1, v3
	v_cmp_le_u32_e32 vcc, s2, v4
	v_cndmask_b32_e32 v6, v3, v5, vcc
	v_mov_b32_e32 v7, v2
.LBB71_7:                               ;   in Loop: Header=BB71_3 Depth=1
	s_or_b64 exec, exec, s[0:1]
	v_or_b32_e32 v3, s13, v7
	v_cmp_ne_u64_e32 vcc, 0, v[2:3]
                                        ; implicit-def: $vgpr10_vgpr11
	s_and_saveexec_b64 s[0:1], vcc
	s_xor_b64 s[48:49], exec, s[0:1]
	s_cbranch_execz .LBB71_9
; %bb.8:                                ;   in Loop: Header=BB71_3 Depth=1
	s_ashr_i32 s50, s13, 31
	s_add_u32 s0, s12, s50
	s_mov_b32 s51, s50
	s_addc_u32 s1, s13, s50
	s_xor_b64 s[52:53], s[0:1], s[50:51]
	v_cvt_f32_u32_e32 v3, s52
	v_cvt_f32_u32_e32 v4, s53
	s_sub_u32 s0, 0, s52
	s_subb_u32 s1, 0, s53
	v_mac_f32_e32 v3, 0x4f800000, v4
	v_rcp_f32_e32 v3, v3
	v_mul_f32_e32 v3, 0x5f7ffffc, v3
	v_mul_f32_e32 v4, 0x2f800000, v3
	v_trunc_f32_e32 v4, v4
	v_mac_f32_e32 v3, 0xcf800000, v4
	v_cvt_u32_f32_e32 v4, v4
	v_cvt_u32_f32_e32 v3, v3
	v_mul_lo_u32 v5, s0, v4
	v_mul_hi_u32 v9, s0, v3
	v_mul_lo_u32 v8, s1, v3
	v_add_u32_e32 v5, v9, v5
	v_mul_lo_u32 v10, s0, v3
	v_add_u32_e32 v5, v5, v8
	v_mul_lo_u32 v9, v3, v5
	v_mul_hi_u32 v11, v3, v10
	v_mul_hi_u32 v8, v3, v5
	v_add_co_u32_e32 v9, vcc, v11, v9
	v_addc_co_u32_e32 v8, vcc, 0, v8, vcc
	v_mul_hi_u32 v12, v4, v10
	v_mul_lo_u32 v10, v4, v10
	v_add_co_u32_e32 v9, vcc, v9, v10
	v_mul_hi_u32 v11, v4, v5
	v_addc_co_u32_e32 v8, vcc, v8, v12, vcc
	v_addc_co_u32_e32 v9, vcc, 0, v11, vcc
	v_mul_lo_u32 v5, v4, v5
	v_add_co_u32_e32 v5, vcc, v8, v5
	v_addc_co_u32_e32 v8, vcc, 0, v9, vcc
	v_add_co_u32_e32 v3, vcc, v3, v5
	v_addc_co_u32_e32 v4, vcc, v4, v8, vcc
	v_mul_lo_u32 v5, s0, v4
	v_mul_hi_u32 v8, s0, v3
	v_add_u32_e32 v5, v8, v5
	v_mul_lo_u32 v8, s1, v3
	v_add_u32_e32 v5, v5, v8
	v_mul_lo_u32 v9, s0, v3
	v_mul_hi_u32 v10, v4, v9
	v_mul_lo_u32 v11, v4, v9
	v_mul_lo_u32 v13, v3, v5
	v_mul_hi_u32 v9, v3, v9
	v_mul_hi_u32 v12, v3, v5
	v_add_co_u32_e32 v9, vcc, v9, v13
	v_addc_co_u32_e32 v12, vcc, 0, v12, vcc
	v_add_co_u32_e32 v9, vcc, v9, v11
	v_mul_hi_u32 v8, v4, v5
	v_addc_co_u32_e32 v9, vcc, v12, v10, vcc
	v_addc_co_u32_e32 v8, vcc, 0, v8, vcc
	v_mul_lo_u32 v5, v4, v5
	v_add_co_u32_e32 v5, vcc, v9, v5
	v_addc_co_u32_e32 v8, vcc, 0, v8, vcc
	v_add_co_u32_e32 v3, vcc, v3, v5
	v_addc_co_u32_e32 v8, vcc, v4, v8, vcc
	v_ashrrev_i32_e32 v10, 31, v7
	v_add_co_u32_e32 v4, vcc, v6, v10
	v_addc_co_u32_e32 v5, vcc, v7, v10, vcc
	v_xor_b32_e32 v12, v4, v10
	v_xor_b32_e32 v11, v5, v10
	v_mad_u64_u32 v[4:5], s[0:1], v12, v8, 0
	v_mul_hi_u32 v9, v12, v3
	v_add_co_u32_e32 v13, vcc, v9, v4
	v_addc_co_u32_e32 v15, vcc, 0, v5, vcc
	v_mad_u64_u32 v[4:5], s[0:1], v11, v8, 0
	v_mad_u64_u32 v[8:9], s[0:1], v11, v3, 0
	v_add_co_u32_e32 v3, vcc, v13, v8
	v_addc_co_u32_e32 v3, vcc, v15, v9, vcc
	v_addc_co_u32_e32 v5, vcc, 0, v5, vcc
	v_add_co_u32_e32 v3, vcc, v3, v4
	v_addc_co_u32_e32 v8, vcc, 0, v5, vcc
	v_mul_lo_u32 v9, s53, v3
	v_mul_lo_u32 v13, s52, v8
	v_mad_u64_u32 v[4:5], s[0:1], s52, v3, 0
	v_add3_u32 v5, v5, v13, v9
	v_sub_u32_e32 v9, v11, v5
	v_mov_b32_e32 v13, s53
	v_sub_co_u32_e32 v4, vcc, v12, v4
	v_subb_co_u32_e64 v9, s[0:1], v9, v13, vcc
	v_subrev_co_u32_e64 v12, s[0:1], s52, v4
	v_subbrev_co_u32_e64 v9, s[0:1], 0, v9, s[0:1]
	v_cmp_le_u32_e64 s[0:1], s53, v9
	v_cndmask_b32_e64 v13, 0, -1, s[0:1]
	v_cmp_le_u32_e64 s[0:1], s52, v12
	v_cndmask_b32_e64 v12, 0, -1, s[0:1]
	v_cmp_eq_u32_e64 s[0:1], s53, v9
	v_cndmask_b32_e64 v9, v13, v12, s[0:1]
	v_add_co_u32_e64 v12, s[0:1], 2, v3
	v_subb_co_u32_e32 v5, vcc, v11, v5, vcc
	v_addc_co_u32_e64 v13, s[0:1], 0, v8, s[0:1]
	v_cmp_le_u32_e32 vcc, s53, v5
	v_add_co_u32_e64 v15, s[0:1], 1, v3
	v_cndmask_b32_e64 v11, 0, -1, vcc
	v_cmp_le_u32_e32 vcc, s52, v4
	v_addc_co_u32_e64 v16, s[0:1], 0, v8, s[0:1]
	v_cndmask_b32_e64 v4, 0, -1, vcc
	v_cmp_eq_u32_e32 vcc, s53, v5
	v_cmp_ne_u32_e64 s[0:1], 0, v9
	v_cndmask_b32_e32 v4, v11, v4, vcc
	v_cmp_ne_u32_e32 vcc, 0, v4
	v_cndmask_b32_e64 v5, v15, v12, s[0:1]
	v_cndmask_b32_e64 v9, v16, v13, s[0:1]
	v_cndmask_b32_e32 v3, v3, v5, vcc
	v_xor_b32_e32 v5, s50, v10
	v_cndmask_b32_e32 v4, v8, v9, vcc
	v_xor_b32_e32 v3, v3, v5
	v_xor_b32_e32 v4, v4, v5
	v_sub_co_u32_e32 v10, vcc, v3, v5
	v_subb_co_u32_e32 v11, vcc, v4, v5, vcc
.LBB71_9:                               ;   in Loop: Header=BB71_3 Depth=1
	s_andn2_saveexec_b64 s[0:1], s[48:49]
	s_cbranch_execz .LBB71_11
; %bb.10:                               ;   in Loop: Header=BB71_3 Depth=1
	v_cvt_f32_u32_e32 v3, s12
	s_sub_i32 s48, 0, s12
	v_mov_b32_e32 v11, v2
	v_rcp_iflag_f32_e32 v3, v3
	v_mul_f32_e32 v3, 0x4f7ffffe, v3
	v_cvt_u32_f32_e32 v3, v3
	v_mul_lo_u32 v4, s48, v3
	v_mul_hi_u32 v4, v3, v4
	v_add_u32_e32 v3, v3, v4
	v_mul_hi_u32 v3, v6, v3
	v_mul_lo_u32 v4, v3, s12
	v_sub_u32_e32 v4, v6, v4
	v_add_u32_e32 v5, 1, v3
	v_subrev_u32_e32 v8, s12, v4
	v_cmp_le_u32_e32 vcc, s12, v4
	v_cndmask_b32_e32 v4, v4, v8, vcc
	v_cndmask_b32_e32 v3, v3, v5, vcc
	v_add_u32_e32 v5, 1, v3
	v_cmp_le_u32_e32 vcc, s12, v4
	v_cndmask_b32_e32 v10, v3, v5, vcc
.LBB71_11:                              ;   in Loop: Header=BB71_3 Depth=1
	s_or_b64 exec, exec, s[0:1]
	v_mul_lo_u32 v3, v7, s2
	v_mul_lo_u32 v8, v6, s3
	v_mad_u64_u32 v[4:5], s[0:1], v6, s2, 0
	v_add3_u32 v3, v5, v8, v3
	v_sub_co_u32_e32 v4, vcc, v0, v4
	v_subb_co_u32_e32 v5, vcc, v1, v3, vcc
	v_mul_lo_u32 v3, v11, s12
	v_mul_lo_u32 v12, v10, s13
	v_mad_u64_u32 v[8:9], s[0:1], v10, s12, 0
	v_add3_u32 v3, v9, v12, v3
	v_sub_co_u32_e32 v15, vcc, v6, v8
	v_subb_co_u32_e32 v16, vcc, v7, v3, vcc
	v_mul_lo_u32 v3, s19, v4
	v_mul_lo_u32 v8, s18, v5
	v_mad_u64_u32 v[6:7], s[0:1], s18, v4, 0
	v_add3_u32 v7, v7, v8, v3
	v_mul_lo_u32 v3, s23, v4
	v_mul_lo_u32 v8, s22, v5
	v_mad_u64_u32 v[12:13], s[0:1], s22, v4, 0
	v_add3_u32 v13, v13, v8, v3
	v_mad_u64_u32 v[8:9], s[0:1], s16, v15, v[6:7]
	v_mul_lo_u32 v3, s16, v16
	v_mul_lo_u32 v6, s17, v15
	v_add3_u32 v9, v6, v9, v3
	v_mad_u64_u32 v[6:7], s[0:1], s20, v15, v[12:13]
	v_mul_lo_u32 v3, s20, v16
	v_mul_lo_u32 v12, s21, v15
	v_add3_u32 v7, v12, v7, v3
	s_and_b64 vcc, exec, s[24:25]
	s_mov_b64 s[48:49], s[44:45]
	s_mov_b64 s[50:51], s[42:43]
	;; [unrolled: 1-line block ×3, first 2 shown]
	s_cbranch_vccnz .LBB71_28
.LBB71_12:                              ;   in Loop: Header=BB71_3 Depth=1
	v_sub_co_u32_e32 v10, vcc, v4, v15
	v_subb_co_u32_e32 v11, vcc, v5, v16, vcc
	v_add_co_u32_e32 v12, vcc, 4, v10
	v_addc_co_u32_e32 v13, vcc, 0, v11, vcc
	v_cmp_le_i64_e32 vcc, s[8:9], v[12:13]
	v_mov_b32_e32 v3, 0
	v_mov_b32_e32 v12, 0
	s_and_saveexec_b64 s[0:1], vcc
	s_cbranch_execz .LBB71_22
; %bb.13:                               ;   in Loop: Header=BB71_3 Depth=1
	v_cmp_gt_i64_e32 vcc, s[14:15], v[4:5]
	v_mov_b32_e32 v3, 0
	v_mov_b32_e32 v12, 0
	s_and_saveexec_b64 s[48:49], vcc
	s_cbranch_execz .LBB71_21
; %bb.14:                               ;   in Loop: Header=BB71_3 Depth=1
	v_lshlrev_b64 v[8:9], 1, v[8:9]
	v_mov_b32_e32 v3, s7
	v_add_co_u32_e32 v8, vcc, s6, v8
	v_addc_co_u32_e32 v9, vcc, v3, v9, vcc
	global_load_ushort v3, v[8:9], off
	v_add_co_u32_e32 v16, vcc, 1, v4
	v_addc_co_u32_e32 v17, vcc, 0, v5, vcc
	v_mov_b32_e32 v12, 0
	v_cmp_gt_i64_e32 vcc, s[14:15], v[16:17]
	s_waitcnt vmcnt(0)
	v_and_b32_e32 v3, 0xffff, v3
	s_and_saveexec_b64 s[50:51], vcc
	s_xor_b64 s[50:51], exec, s[50:51]
	s_cbranch_execz .LBB71_20
; %bb.15:                               ;   in Loop: Header=BB71_3 Depth=1
	s_lshl_b64 s[52:53], s[18:19], 1
	v_mov_b32_e32 v13, s53
	v_add_co_u32_e32 v12, vcc, s52, v8
	v_addc_co_u32_e32 v13, vcc, v9, v13, vcc
	global_load_ushort v13, v[12:13], off
	v_add_co_u32_e32 v16, vcc, 2, v4
	v_addc_co_u32_e32 v17, vcc, 0, v5, vcc
	v_mov_b32_e32 v12, 0
	v_cmp_gt_i64_e32 vcc, s[14:15], v[16:17]
	s_waitcnt vmcnt(0)
	v_perm_b32 v3, v13, v3, s68
	s_and_saveexec_b64 s[52:53], vcc
	s_xor_b64 s[52:53], exec, s[52:53]
	s_cbranch_execz .LBB71_19
; %bb.16:                               ;   in Loop: Header=BB71_3 Depth=1
	v_mov_b32_e32 v13, s27
	v_add_co_u32_e32 v12, vcc, s26, v8
	v_addc_co_u32_e32 v13, vcc, v9, v13, vcc
	global_load_ushort v12, v[12:13], off
	v_add_co_u32_e32 v16, vcc, 3, v4
	v_addc_co_u32_e32 v17, vcc, 0, v5, vcc
	v_cmp_gt_i64_e32 vcc, s[14:15], v[16:17]
	s_waitcnt vmcnt(0)
	v_bfi_b32 v12, s33, v12, 0
	s_and_saveexec_b64 s[54:55], vcc
	s_xor_b64 s[54:55], exec, s[54:55]
	s_cbranch_execz .LBB71_18
; %bb.17:                               ;   in Loop: Header=BB71_3 Depth=1
	v_mov_b32_e32 v13, s64
	v_add_co_u32_e32 v8, vcc, s65, v8
	v_addc_co_u32_e32 v9, vcc, v9, v13, vcc
	global_load_ushort v8, v[8:9], off
	s_waitcnt vmcnt(0)
	v_perm_b32 v12, v8, v12, s68
.LBB71_18:                              ;   in Loop: Header=BB71_3 Depth=1
	s_or_b64 exec, exec, s[54:55]
.LBB71_19:                              ;   in Loop: Header=BB71_3 Depth=1
	s_or_b64 exec, exec, s[52:53]
.LBB71_20:                              ;   in Loop: Header=BB71_3 Depth=1
	s_or_b64 exec, exec, s[50:51]
.LBB71_21:                              ;   in Loop: Header=BB71_3 Depth=1
	s_or_b64 exec, exec, s[48:49]
	v_add_co_u32_e32 v8, vcc, 1, v10
	v_addc_co_u32_e32 v9, vcc, 0, v11, vcc
	v_add_co_u32_e32 v16, vcc, 3, v10
	v_addc_co_u32_e32 v17, vcc, 0, v11, vcc
	;; [unrolled: 2-line block ×3, first 2 shown]
	v_cmp_le_i64_e32 vcc, s[36:37], v[18:19]
	v_cndmask_b32_e32 v13, 0, v12, vcc
	v_lshrrev_b32_e32 v12, 16, v12
	v_cmp_le_i64_e32 vcc, s[38:39], v[16:17]
	v_cndmask_b32_e32 v15, 0, v12, vcc
	v_cmp_le_i64_e32 vcc, s[30:31], v[10:11]
	v_cndmask_b32_e32 v10, 0, v3, vcc
	v_lshrrev_b32_e32 v3, 16, v3
	v_cmp_le_i64_e32 vcc, s[34:35], v[8:9]
	v_cndmask_b32_e32 v3, 0, v3, vcc
	v_perm_b32 v12, v3, v10, s68
	v_perm_b32 v3, v15, v13, s68
.LBB71_22:                              ;   in Loop: Header=BB71_3 Depth=1
	s_or_b64 exec, exec, s[0:1]
	v_cmp_gt_i64_e32 vcc, s[14:15], v[4:5]
	s_and_saveexec_b64 s[0:1], vcc
	s_cbranch_execz .LBB71_2
; %bb.23:                               ;   in Loop: Header=BB71_3 Depth=1
	v_lshlrev_b64 v[6:7], 1, v[6:7]
	v_mov_b32_e32 v8, s5
	v_add_co_u32_e32 v6, vcc, s4, v6
	v_addc_co_u32_e32 v7, vcc, v8, v7, vcc
	v_add_co_u32_e32 v8, vcc, 1, v4
	v_addc_co_u32_e32 v9, vcc, 0, v5, vcc
	v_cmp_gt_i64_e32 vcc, s[14:15], v[8:9]
	global_store_short v[6:7], v12, off
	s_and_saveexec_b64 s[48:49], vcc
	s_xor_b64 s[48:49], exec, s[48:49]
	s_cbranch_execz .LBB71_2
; %bb.24:                               ;   in Loop: Header=BB71_3 Depth=1
	s_lshl_b64 s[48:49], s[22:23], 1
	v_mov_b32_e32 v9, s49
	v_add_co_u32_e32 v8, vcc, s48, v6
	v_addc_co_u32_e32 v9, vcc, v7, v9, vcc
	global_store_short_d16_hi v[8:9], v12, off
	v_add_co_u32_e32 v8, vcc, 2, v4
	v_addc_co_u32_e32 v9, vcc, 0, v5, vcc
	v_cmp_gt_i64_e32 vcc, s[14:15], v[8:9]
	s_and_saveexec_b64 s[48:49], vcc
	s_xor_b64 s[48:49], exec, s[48:49]
	s_cbranch_execz .LBB71_2
; %bb.25:                               ;   in Loop: Header=BB71_3 Depth=1
	v_mov_b32_e32 v9, s29
	v_add_co_u32_e32 v8, vcc, s28, v6
	v_addc_co_u32_e32 v9, vcc, v7, v9, vcc
	v_add_co_u32_e32 v4, vcc, 3, v4
	v_addc_co_u32_e32 v5, vcc, 0, v5, vcc
	v_cmp_gt_i64_e32 vcc, s[14:15], v[4:5]
	global_store_short v[8:9], v3, off
	s_and_saveexec_b64 s[48:49], vcc
	s_xor_b64 s[48:49], exec, s[48:49]
	s_cbranch_execz .LBB71_2
; %bb.26:                               ;   in Loop: Header=BB71_3 Depth=1
	v_mov_b32_e32 v5, s66
	v_add_co_u32_e32 v4, vcc, s67, v6
	v_addc_co_u32_e32 v5, vcc, v7, v5, vcc
	global_store_short_d16_hi v[4:5], v3, off
	s_branch .LBB71_2
.LBB71_27:                              ;   in Loop: Header=BB71_28 Depth=2
	s_or_b64 exec, exec, s[0:1]
	v_mad_u64_u32 v[18:19], s[0:1], v12, s54, 0
	v_mul_lo_u32 v3, v13, s54
	v_mul_lo_u32 v17, v12, s55
	s_load_dwordx2 s[0:1], s[50:51], 0xc8
	s_load_dwordx2 s[54:55], s[52:53], 0x0
	s_add_u32 s52, s52, -8
	s_addc_u32 s53, s53, -1
	s_add_u32 s50, s50, -8
	v_add3_u32 v3, v19, v17, v3
	v_sub_co_u32_e32 v10, vcc, v10, v18
	s_addc_u32 s51, s51, -1
	v_subb_co_u32_e32 v3, vcc, v11, v3, vcc
	s_add_u32 s48, s48, -1
	s_waitcnt lgkmcnt(0)
	v_mul_lo_u32 v11, s0, v3
	v_mul_lo_u32 v17, s1, v10
	v_mad_u64_u32 v[8:9], s[0:1], s0, v10, v[8:9]
	v_mad_u64_u32 v[6:7], s[0:1], s54, v10, v[6:7]
	s_addc_u32 s49, s49, -1
	v_add3_u32 v9, v17, v9, v11
	v_mul_lo_u32 v3, s54, v3
	v_mul_lo_u32 v11, s55, v10
	v_cmp_lt_i64_e64 s[0:1], s[48:49], 1
	v_add3_u32 v7, v11, v7, v3
	s_and_b64 vcc, exec, s[0:1]
	v_pk_mov_b32 v[10:11], v[12:13], v[12:13] op_sel:[0,1]
	s_cbranch_vccnz .LBB71_12
.LBB71_28:                              ;   Parent Loop BB71_3 Depth=1
                                        ; =>  This Inner Loop Header: Depth=2
	s_load_dwordx2 s[54:55], s[50:51], 0x0
                                        ; implicit-def: $vgpr12_vgpr13
	s_waitcnt lgkmcnt(0)
	v_or_b32_e32 v3, s55, v11
	v_cmp_ne_u64_e32 vcc, 0, v[2:3]
	s_and_saveexec_b64 s[0:1], vcc
	s_xor_b64 s[56:57], exec, s[0:1]
	s_cbranch_execz .LBB71_30
; %bb.29:                               ;   in Loop: Header=BB71_28 Depth=2
	s_ashr_i32 s58, s55, 31
	s_add_u32 s0, s54, s58
	s_mov_b32 s59, s58
	s_addc_u32 s1, s55, s58
	s_xor_b64 s[60:61], s[0:1], s[58:59]
	v_cvt_f32_u32_e32 v3, s60
	v_cvt_f32_u32_e32 v12, s61
	s_sub_u32 s0, 0, s60
	s_subb_u32 s1, 0, s61
	v_mac_f32_e32 v3, 0x4f800000, v12
	v_rcp_f32_e32 v3, v3
	v_mul_f32_e32 v3, 0x5f7ffffc, v3
	v_mul_f32_e32 v12, 0x2f800000, v3
	v_trunc_f32_e32 v12, v12
	v_mac_f32_e32 v3, 0xcf800000, v12
	v_cvt_u32_f32_e32 v12, v12
	v_cvt_u32_f32_e32 v3, v3
	v_mul_lo_u32 v13, s0, v12
	v_mul_hi_u32 v18, s0, v3
	v_mul_lo_u32 v17, s1, v3
	v_add_u32_e32 v13, v18, v13
	v_mul_lo_u32 v19, s0, v3
	v_add_u32_e32 v13, v13, v17
	v_mul_lo_u32 v18, v3, v13
	v_mul_hi_u32 v20, v3, v19
	v_mul_hi_u32 v17, v3, v13
	v_add_co_u32_e32 v18, vcc, v20, v18
	v_addc_co_u32_e32 v17, vcc, 0, v17, vcc
	v_mul_hi_u32 v21, v12, v19
	v_mul_lo_u32 v19, v12, v19
	v_add_co_u32_e32 v18, vcc, v18, v19
	v_mul_hi_u32 v20, v12, v13
	v_addc_co_u32_e32 v17, vcc, v17, v21, vcc
	v_addc_co_u32_e32 v18, vcc, 0, v20, vcc
	v_mul_lo_u32 v13, v12, v13
	v_add_co_u32_e32 v13, vcc, v17, v13
	v_addc_co_u32_e32 v17, vcc, 0, v18, vcc
	v_add_co_u32_e32 v3, vcc, v3, v13
	v_addc_co_u32_e32 v12, vcc, v12, v17, vcc
	v_mul_lo_u32 v13, s0, v12
	v_mul_hi_u32 v17, s0, v3
	v_add_u32_e32 v13, v17, v13
	v_mul_lo_u32 v17, s1, v3
	v_add_u32_e32 v13, v13, v17
	v_mul_lo_u32 v18, s0, v3
	v_mul_hi_u32 v19, v12, v18
	v_mul_lo_u32 v20, v12, v18
	v_mul_lo_u32 v22, v3, v13
	v_mul_hi_u32 v18, v3, v18
	v_mul_hi_u32 v21, v3, v13
	v_add_co_u32_e32 v18, vcc, v18, v22
	v_addc_co_u32_e32 v21, vcc, 0, v21, vcc
	v_add_co_u32_e32 v18, vcc, v18, v20
	v_mul_hi_u32 v17, v12, v13
	v_addc_co_u32_e32 v18, vcc, v21, v19, vcc
	v_addc_co_u32_e32 v17, vcc, 0, v17, vcc
	v_mul_lo_u32 v13, v12, v13
	v_add_co_u32_e32 v13, vcc, v18, v13
	v_addc_co_u32_e32 v17, vcc, 0, v17, vcc
	v_add_co_u32_e32 v3, vcc, v3, v13
	v_addc_co_u32_e32 v17, vcc, v12, v17, vcc
	v_ashrrev_i32_e32 v20, 31, v11
	v_add_co_u32_e32 v12, vcc, v10, v20
	v_addc_co_u32_e32 v13, vcc, v11, v20, vcc
	v_xor_b32_e32 v22, v12, v20
	v_xor_b32_e32 v21, v13, v20
	v_mad_u64_u32 v[12:13], s[0:1], v22, v17, 0
	v_mul_hi_u32 v18, v22, v3
	v_add_co_u32_e32 v23, vcc, v18, v12
	v_addc_co_u32_e32 v24, vcc, 0, v13, vcc
	v_mad_u64_u32 v[18:19], s[0:1], v21, v3, 0
	v_add_co_u32_e32 v3, vcc, v23, v18
	v_mad_u64_u32 v[12:13], s[0:1], v21, v17, 0
	v_addc_co_u32_e32 v3, vcc, v24, v19, vcc
	v_addc_co_u32_e32 v13, vcc, 0, v13, vcc
	v_add_co_u32_e32 v3, vcc, v3, v12
	v_addc_co_u32_e32 v17, vcc, 0, v13, vcc
	v_mul_lo_u32 v18, s61, v3
	v_mul_lo_u32 v19, s60, v17
	v_mad_u64_u32 v[12:13], s[0:1], s60, v3, 0
	v_add3_u32 v13, v13, v19, v18
	v_sub_u32_e32 v18, v21, v13
	v_mov_b32_e32 v19, s61
	v_sub_co_u32_e32 v12, vcc, v22, v12
	v_subb_co_u32_e64 v18, s[0:1], v18, v19, vcc
	v_subrev_co_u32_e64 v19, s[0:1], s60, v12
	v_subbrev_co_u32_e64 v18, s[0:1], 0, v18, s[0:1]
	v_cmp_le_u32_e64 s[0:1], s61, v18
	v_cndmask_b32_e64 v22, 0, -1, s[0:1]
	v_cmp_le_u32_e64 s[0:1], s60, v19
	v_cndmask_b32_e64 v19, 0, -1, s[0:1]
	v_cmp_eq_u32_e64 s[0:1], s61, v18
	v_cndmask_b32_e64 v18, v22, v19, s[0:1]
	v_add_co_u32_e64 v19, s[0:1], 2, v3
	v_subb_co_u32_e32 v13, vcc, v21, v13, vcc
	v_addc_co_u32_e64 v22, s[0:1], 0, v17, s[0:1]
	v_cmp_le_u32_e32 vcc, s61, v13
	v_add_co_u32_e64 v23, s[0:1], 1, v3
	v_cndmask_b32_e64 v21, 0, -1, vcc
	v_cmp_le_u32_e32 vcc, s60, v12
	v_addc_co_u32_e64 v24, s[0:1], 0, v17, s[0:1]
	v_cndmask_b32_e64 v12, 0, -1, vcc
	v_cmp_eq_u32_e32 vcc, s61, v13
	v_cmp_ne_u32_e64 s[0:1], 0, v18
	v_cndmask_b32_e32 v12, v21, v12, vcc
	v_cmp_ne_u32_e32 vcc, 0, v12
	v_cndmask_b32_e64 v13, v23, v19, s[0:1]
	v_cndmask_b32_e64 v18, v24, v22, s[0:1]
	v_cndmask_b32_e32 v3, v3, v13, vcc
	v_xor_b32_e32 v13, s58, v20
	v_cndmask_b32_e32 v12, v17, v18, vcc
	v_xor_b32_e32 v3, v3, v13
	v_xor_b32_e32 v17, v12, v13
	v_sub_co_u32_e32 v12, vcc, v3, v13
	v_subb_co_u32_e32 v13, vcc, v17, v13, vcc
.LBB71_30:                              ;   in Loop: Header=BB71_28 Depth=2
	s_andn2_saveexec_b64 s[0:1], s[56:57]
	s_cbranch_execz .LBB71_27
; %bb.31:                               ;   in Loop: Header=BB71_28 Depth=2
	v_cvt_f32_u32_e32 v3, s54
	s_sub_i32 s56, 0, s54
	v_rcp_iflag_f32_e32 v3, v3
	v_mul_f32_e32 v3, 0x4f7ffffe, v3
	v_cvt_u32_f32_e32 v3, v3
	v_mul_lo_u32 v12, s56, v3
	v_mul_hi_u32 v12, v3, v12
	v_add_u32_e32 v3, v3, v12
	v_mul_hi_u32 v3, v10, v3
	v_mul_lo_u32 v12, v3, s54
	v_sub_u32_e32 v12, v10, v12
	v_add_u32_e32 v13, 1, v3
	v_subrev_u32_e32 v17, s54, v12
	v_cmp_le_u32_e32 vcc, s54, v12
	v_cndmask_b32_e32 v12, v12, v17, vcc
	v_cndmask_b32_e32 v3, v3, v13, vcc
	v_add_u32_e32 v13, 1, v3
	v_cmp_le_u32_e32 vcc, s54, v12
	v_cndmask_b32_e32 v12, v3, v13, vcc
	v_mov_b32_e32 v13, v2
	s_branch .LBB71_27
.LBB71_32:
	s_endpgm
	.section	.rodata,"a",@progbits
	.p2align	6, 0x0
	.amdhsa_kernel _ZN2at6native16triu_tril_kernelIslLb1ELi4ELb0EEEvNS_4cuda6detail10TensorInfoIT_T0_EENS4_IKS5_S6_EEllS6_
		.amdhsa_group_segment_fixed_size 0
		.amdhsa_private_segment_fixed_size 0
		.amdhsa_kernarg_size 1112
		.amdhsa_user_sgpr_count 6
		.amdhsa_user_sgpr_private_segment_buffer 1
		.amdhsa_user_sgpr_dispatch_ptr 0
		.amdhsa_user_sgpr_queue_ptr 0
		.amdhsa_user_sgpr_kernarg_segment_ptr 1
		.amdhsa_user_sgpr_dispatch_id 0
		.amdhsa_user_sgpr_flat_scratch_init 0
		.amdhsa_user_sgpr_kernarg_preload_length 0
		.amdhsa_user_sgpr_kernarg_preload_offset 0
		.amdhsa_user_sgpr_private_segment_size 0
		.amdhsa_uses_dynamic_stack 0
		.amdhsa_system_sgpr_private_segment_wavefront_offset 0
		.amdhsa_system_sgpr_workgroup_id_x 1
		.amdhsa_system_sgpr_workgroup_id_y 0
		.amdhsa_system_sgpr_workgroup_id_z 0
		.amdhsa_system_sgpr_workgroup_info 0
		.amdhsa_system_vgpr_workitem_id 0
		.amdhsa_next_free_vgpr 25
		.amdhsa_next_free_sgpr 69
		.amdhsa_accum_offset 28
		.amdhsa_reserve_vcc 1
		.amdhsa_reserve_flat_scratch 0
		.amdhsa_float_round_mode_32 0
		.amdhsa_float_round_mode_16_64 0
		.amdhsa_float_denorm_mode_32 3
		.amdhsa_float_denorm_mode_16_64 3
		.amdhsa_dx10_clamp 1
		.amdhsa_ieee_mode 1
		.amdhsa_fp16_overflow 0
		.amdhsa_tg_split 0
		.amdhsa_exception_fp_ieee_invalid_op 0
		.amdhsa_exception_fp_denorm_src 0
		.amdhsa_exception_fp_ieee_div_zero 0
		.amdhsa_exception_fp_ieee_overflow 0
		.amdhsa_exception_fp_ieee_underflow 0
		.amdhsa_exception_fp_ieee_inexact 0
		.amdhsa_exception_int_div_zero 0
	.end_amdhsa_kernel
	.section	.text._ZN2at6native16triu_tril_kernelIslLb1ELi4ELb0EEEvNS_4cuda6detail10TensorInfoIT_T0_EENS4_IKS5_S6_EEllS6_,"axG",@progbits,_ZN2at6native16triu_tril_kernelIslLb1ELi4ELb0EEEvNS_4cuda6detail10TensorInfoIT_T0_EENS4_IKS5_S6_EEllS6_,comdat
.Lfunc_end71:
	.size	_ZN2at6native16triu_tril_kernelIslLb1ELi4ELb0EEEvNS_4cuda6detail10TensorInfoIT_T0_EENS4_IKS5_S6_EEllS6_, .Lfunc_end71-_ZN2at6native16triu_tril_kernelIslLb1ELi4ELb0EEEvNS_4cuda6detail10TensorInfoIT_T0_EENS4_IKS5_S6_EEllS6_
                                        ; -- End function
	.section	.AMDGPU.csdata,"",@progbits
; Kernel info:
; codeLenInByte = 3788
; NumSgprs: 73
; NumVgprs: 25
; NumAgprs: 0
; TotalNumVgprs: 25
; ScratchSize: 0
; MemoryBound: 0
; FloatMode: 240
; IeeeMode: 1
; LDSByteSize: 0 bytes/workgroup (compile time only)
; SGPRBlocks: 9
; VGPRBlocks: 3
; NumSGPRsForWavesPerEU: 73
; NumVGPRsForWavesPerEU: 25
; AccumOffset: 28
; Occupancy: 8
; WaveLimiterHint : 0
; COMPUTE_PGM_RSRC2:SCRATCH_EN: 0
; COMPUTE_PGM_RSRC2:USER_SGPR: 6
; COMPUTE_PGM_RSRC2:TRAP_HANDLER: 0
; COMPUTE_PGM_RSRC2:TGID_X_EN: 1
; COMPUTE_PGM_RSRC2:TGID_Y_EN: 0
; COMPUTE_PGM_RSRC2:TGID_Z_EN: 0
; COMPUTE_PGM_RSRC2:TIDIG_COMP_CNT: 0
; COMPUTE_PGM_RSRC3_GFX90A:ACCUM_OFFSET: 6
; COMPUTE_PGM_RSRC3_GFX90A:TG_SPLIT: 0
	.section	.text._ZN2at6native16triu_tril_kernelIdiLb1ELi2ELb1EEEvNS_4cuda6detail10TensorInfoIT_T0_EENS4_IKS5_S6_EEllS6_,"axG",@progbits,_ZN2at6native16triu_tril_kernelIdiLb1ELi2ELb1EEEvNS_4cuda6detail10TensorInfoIT_T0_EENS4_IKS5_S6_EEllS6_,comdat
	.protected	_ZN2at6native16triu_tril_kernelIdiLb1ELi2ELb1EEEvNS_4cuda6detail10TensorInfoIT_T0_EENS4_IKS5_S6_EEllS6_ ; -- Begin function _ZN2at6native16triu_tril_kernelIdiLb1ELi2ELb1EEEvNS_4cuda6detail10TensorInfoIT_T0_EENS4_IKS5_S6_EEllS6_
	.globl	_ZN2at6native16triu_tril_kernelIdiLb1ELi2ELb1EEEvNS_4cuda6detail10TensorInfoIT_T0_EENS4_IKS5_S6_EEllS6_
	.p2align	8
	.type	_ZN2at6native16triu_tril_kernelIdiLb1ELi2ELb1EEEvNS_4cuda6detail10TensorInfoIT_T0_EENS4_IKS5_S6_EEllS6_,@function
_ZN2at6native16triu_tril_kernelIdiLb1ELi2ELb1EEEvNS_4cuda6detail10TensorInfoIT_T0_EENS4_IKS5_S6_EEllS6_: ; @_ZN2at6native16triu_tril_kernelIdiLb1ELi2ELb1EEEvNS_4cuda6detail10TensorInfoIT_T0_EENS4_IKS5_S6_EEllS6_
; %bb.0:
	s_load_dword s2, s[4:5], 0x1d4
	s_load_dwordx4 s[8:11], s[4:5], 0x1b0
	s_add_u32 s0, s4, 0x1c8
	v_mov_b32_e32 v2, 0
	s_addc_u32 s1, s5, 0
	s_waitcnt lgkmcnt(0)
	s_and_b32 s7, s2, 0xffff
	v_mov_b32_e32 v1, v2
	v_mov_b32_e32 v3, s6
	v_mad_u64_u32 v[0:1], s[2:3], s7, v3, v[0:1]
	v_lshlrev_b64 v[0:1], 1, v[0:1]
	v_cmp_gt_i64_e32 vcc, s[10:11], v[0:1]
	s_and_saveexec_b64 s[2:3], vcc
	s_cbranch_execz .LBB72_61
; %bb.1:
	s_load_dword s33, s[4:5], 0x1c0
	s_load_dword s14, s[4:5], 0x1a8
	;; [unrolled: 1-line block ×3, first 2 shown]
	s_load_dwordx2 s[2:3], s[4:5], 0x0
	s_mov_b64 s[22:23], 0
	s_waitcnt lgkmcnt(0)
	s_ashr_i32 s38, s33, 31
	s_ashr_i32 s15, s14, 31
	s_add_u32 s39, s4, 0xe0
	s_addc_u32 s40, s5, 0
	s_add_i32 s0, s14, -2
	s_ashr_i32 s1, s0, 31
	s_lshl_b64 s[12:13], s[0:1], 2
	s_add_u32 s16, s39, s12
	s_addc_u32 s17, s40, s13
	s_load_dword s41, s[16:17], 0x0
	s_lshl_b64 s[16:17], s[14:15], 2
	s_mul_i32 s1, s6, s7
	v_cmp_gt_i64_e64 s[6:7], s[14:15], 2
	v_cvt_f32_u32_e32 v3, s33
	s_waitcnt lgkmcnt(0)
	s_ashr_i32 s42, s41, 31
	s_add_u32 s15, s16, -4
	s_addc_u32 s16, s17, -1
	s_add_u32 s43, s4, 0x6c
	s_addc_u32 s44, s5, 0
	s_add_u32 s4, s43, s15
	v_rcp_iflag_f32_e32 v3, v3
	s_addc_u32 s5, s44, s16
	s_add_u32 s12, s43, s12
	s_addc_u32 s13, s44, s13
	s_add_i32 s45, s14, -3
	s_add_u32 s14, s39, s15
	v_mul_f32_e32 v3, 0x4f7ffffe, v3
	s_addc_u32 s15, s40, s16
	s_lshl_b32 s46, s1, 1
	s_and_b32 s48, s0, 7
	v_cvt_u32_f32_e32 v24, v3
	s_cmp_lg_u32 s48, 0
	s_mov_b32 s17, 0
	s_cselect_b64 s[18:19], -1, 0
	s_cmp_gt_u32 s45, 6
	s_mov_b32 s47, s17
	s_cselect_b64 s[20:21], -1, 0
	s_branch .LBB72_3
.LBB72_2:                               ;   in Loop: Header=BB72_3 Depth=1
	s_or_b64 exec, exec, s[24:25]
	v_mov_b32_e32 v3, s47
	v_add_co_u32_e32 v0, vcc, s46, v0
	v_addc_co_u32_e32 v1, vcc, v1, v3, vcc
	v_cmp_le_i64_e32 vcc, s[10:11], v[0:1]
	s_or_b64 s[22:23], vcc, s[22:23]
	s_andn2_b64 exec, exec, s[22:23]
	s_cbranch_execz .LBB72_61
.LBB72_3:                               ; =>This Loop Header: Depth=1
                                        ;     Child Loop BB72_16 Depth 2
                                        ;     Child Loop BB72_23 Depth 2
	v_or_b32_e32 v3, s38, v1
	v_cmp_ne_u64_e32 vcc, 0, v[2:3]
                                        ; implicit-def: $vgpr4_vgpr5
	s_and_saveexec_b64 s[0:1], vcc
	s_xor_b64 s[24:25], exec, s[0:1]
	s_cbranch_execz .LBB72_5
; %bb.4:                                ;   in Loop: Header=BB72_3 Depth=1
	s_add_u32 s0, s33, s38
	s_mov_b32 s26, s38
	s_mov_b32 s27, s38
	s_addc_u32 s1, s38, s38
	s_xor_b64 s[28:29], s[0:1], s[26:27]
	v_cvt_f32_u32_e32 v3, s28
	v_cvt_f32_u32_e32 v4, s29
	s_sub_u32 s0, 0, s28
	s_subb_u32 s1, 0, s29
	v_mac_f32_e32 v3, 0x4f800000, v4
	v_rcp_f32_e32 v3, v3
	v_mul_f32_e32 v3, 0x5f7ffffc, v3
	v_mul_f32_e32 v4, 0x2f800000, v3
	v_trunc_f32_e32 v4, v4
	v_mac_f32_e32 v3, 0xcf800000, v4
	v_cvt_u32_f32_e32 v4, v4
	v_cvt_u32_f32_e32 v3, v3
	v_mul_lo_u32 v5, s0, v4
	v_mul_hi_u32 v7, s0, v3
	v_mul_lo_u32 v6, s1, v3
	v_add_u32_e32 v5, v7, v5
	v_mul_lo_u32 v8, s0, v3
	v_add_u32_e32 v5, v5, v6
	v_mul_lo_u32 v7, v3, v5
	v_mul_hi_u32 v9, v3, v8
	v_mul_hi_u32 v6, v3, v5
	v_add_co_u32_e32 v7, vcc, v9, v7
	v_addc_co_u32_e32 v6, vcc, 0, v6, vcc
	v_mul_hi_u32 v10, v4, v8
	v_mul_lo_u32 v8, v4, v8
	v_add_co_u32_e32 v7, vcc, v7, v8
	v_mul_hi_u32 v9, v4, v5
	v_addc_co_u32_e32 v6, vcc, v6, v10, vcc
	v_addc_co_u32_e32 v7, vcc, 0, v9, vcc
	v_mul_lo_u32 v5, v4, v5
	v_add_co_u32_e32 v5, vcc, v6, v5
	v_addc_co_u32_e32 v6, vcc, 0, v7, vcc
	v_add_co_u32_e32 v3, vcc, v3, v5
	v_addc_co_u32_e32 v4, vcc, v4, v6, vcc
	v_mul_lo_u32 v5, s0, v4
	v_mul_hi_u32 v6, s0, v3
	v_add_u32_e32 v5, v6, v5
	v_mul_lo_u32 v6, s1, v3
	v_add_u32_e32 v5, v5, v6
	v_mul_lo_u32 v7, s0, v3
	v_mul_hi_u32 v8, v4, v7
	v_mul_lo_u32 v9, v4, v7
	v_mul_lo_u32 v11, v3, v5
	v_mul_hi_u32 v7, v3, v7
	v_mul_hi_u32 v10, v3, v5
	v_add_co_u32_e32 v7, vcc, v7, v11
	v_addc_co_u32_e32 v10, vcc, 0, v10, vcc
	v_add_co_u32_e32 v7, vcc, v7, v9
	v_mul_hi_u32 v6, v4, v5
	v_addc_co_u32_e32 v7, vcc, v10, v8, vcc
	v_addc_co_u32_e32 v6, vcc, 0, v6, vcc
	v_mul_lo_u32 v5, v4, v5
	v_add_co_u32_e32 v5, vcc, v7, v5
	v_addc_co_u32_e32 v6, vcc, 0, v6, vcc
	v_add_co_u32_e32 v3, vcc, v3, v5
	v_addc_co_u32_e32 v6, vcc, v4, v6, vcc
	v_ashrrev_i32_e32 v8, 31, v1
	v_add_co_u32_e32 v4, vcc, v0, v8
	v_addc_co_u32_e32 v5, vcc, v1, v8, vcc
	v_xor_b32_e32 v10, v4, v8
	v_xor_b32_e32 v9, v5, v8
	v_mad_u64_u32 v[4:5], s[0:1], v10, v6, 0
	v_mul_hi_u32 v7, v10, v3
	v_add_co_u32_e32 v11, vcc, v7, v4
	v_addc_co_u32_e32 v12, vcc, 0, v5, vcc
	v_mad_u64_u32 v[4:5], s[0:1], v9, v6, 0
	v_mad_u64_u32 v[6:7], s[0:1], v9, v3, 0
	v_add_co_u32_e32 v3, vcc, v11, v6
	v_addc_co_u32_e32 v3, vcc, v12, v7, vcc
	v_addc_co_u32_e32 v5, vcc, 0, v5, vcc
	v_add_co_u32_e32 v3, vcc, v3, v4
	v_addc_co_u32_e32 v6, vcc, 0, v5, vcc
	v_mul_lo_u32 v7, s29, v3
	v_mul_lo_u32 v11, s28, v6
	v_mad_u64_u32 v[4:5], s[0:1], s28, v3, 0
	v_add3_u32 v5, v5, v11, v7
	v_sub_u32_e32 v7, v9, v5
	v_mov_b32_e32 v11, s29
	v_sub_co_u32_e32 v4, vcc, v10, v4
	v_subb_co_u32_e64 v7, s[0:1], v7, v11, vcc
	v_subrev_co_u32_e64 v10, s[0:1], s28, v4
	v_subbrev_co_u32_e64 v7, s[0:1], 0, v7, s[0:1]
	v_cmp_le_u32_e64 s[0:1], s29, v7
	v_cndmask_b32_e64 v11, 0, -1, s[0:1]
	v_cmp_le_u32_e64 s[0:1], s28, v10
	v_cndmask_b32_e64 v10, 0, -1, s[0:1]
	v_cmp_eq_u32_e64 s[0:1], s29, v7
	v_cndmask_b32_e64 v7, v11, v10, s[0:1]
	v_add_co_u32_e64 v10, s[0:1], 2, v3
	v_subb_co_u32_e32 v5, vcc, v9, v5, vcc
	v_addc_co_u32_e64 v11, s[0:1], 0, v6, s[0:1]
	v_cmp_le_u32_e32 vcc, s29, v5
	v_add_co_u32_e64 v12, s[0:1], 1, v3
	v_cndmask_b32_e64 v9, 0, -1, vcc
	v_cmp_le_u32_e32 vcc, s28, v4
	v_addc_co_u32_e64 v13, s[0:1], 0, v6, s[0:1]
	v_cndmask_b32_e64 v4, 0, -1, vcc
	v_cmp_eq_u32_e32 vcc, s29, v5
	v_cmp_ne_u32_e64 s[0:1], 0, v7
	v_cndmask_b32_e32 v4, v9, v4, vcc
	v_cndmask_b32_e64 v7, v13, v11, s[0:1]
	v_cmp_ne_u32_e32 vcc, 0, v4
	v_cndmask_b32_e64 v5, v12, v10, s[0:1]
	v_cndmask_b32_e32 v4, v6, v7, vcc
	v_cndmask_b32_e32 v3, v3, v5, vcc
	v_xor_b32_e32 v6, s26, v8
	v_xor_b32_e32 v5, s27, v8
	;; [unrolled: 1-line block ×4, first 2 shown]
	v_sub_co_u32_e32 v4, vcc, v3, v6
	v_subb_co_u32_e32 v5, vcc, v7, v5, vcc
.LBB72_5:                               ;   in Loop: Header=BB72_3 Depth=1
	s_andn2_saveexec_b64 s[0:1], s[24:25]
	s_cbranch_execz .LBB72_7
; %bb.6:                                ;   in Loop: Header=BB72_3 Depth=1
	s_sub_i32 s16, 0, s33
	v_mul_lo_u32 v3, s16, v24
	v_mul_hi_u32 v3, v24, v3
	v_add_u32_e32 v3, v24, v3
	v_mul_hi_u32 v3, v0, v3
	v_mul_lo_u32 v4, v3, s33
	v_sub_u32_e32 v4, v0, v4
	v_subrev_u32_e32 v5, s33, v4
	v_cmp_le_u32_e32 vcc, s33, v4
	v_cndmask_b32_e32 v4, v4, v5, vcc
	v_add_u32_e32 v5, 1, v3
	v_cndmask_b32_e32 v3, v3, v5, vcc
	v_add_u32_e32 v5, 1, v3
	v_cmp_le_u32_e32 vcc, s33, v4
	v_cndmask_b32_e32 v4, v3, v5, vcc
	v_mov_b32_e32 v5, v2
.LBB72_7:                               ;   in Loop: Header=BB72_3 Depth=1
	s_or_b64 exec, exec, s[0:1]
	v_or_b32_e32 v3, s42, v5
	v_cmp_ne_u64_e32 vcc, 0, v[2:3]
                                        ; implicit-def: $vgpr6_vgpr7
	s_and_saveexec_b64 s[0:1], vcc
	s_xor_b64 s[24:25], exec, s[0:1]
	s_cbranch_execz .LBB72_9
; %bb.8:                                ;   in Loop: Header=BB72_3 Depth=1
	s_add_u32 s0, s41, s42
	s_mov_b32 s26, s42
	s_mov_b32 s27, s42
	s_addc_u32 s1, s42, s42
	s_xor_b64 s[28:29], s[0:1], s[26:27]
	v_cvt_f32_u32_e32 v3, s28
	v_cvt_f32_u32_e32 v6, s29
	s_sub_u32 s0, 0, s28
	s_subb_u32 s1, 0, s29
	v_mac_f32_e32 v3, 0x4f800000, v6
	v_rcp_f32_e32 v3, v3
	v_mul_f32_e32 v3, 0x5f7ffffc, v3
	v_mul_f32_e32 v6, 0x2f800000, v3
	v_trunc_f32_e32 v6, v6
	v_mac_f32_e32 v3, 0xcf800000, v6
	v_cvt_u32_f32_e32 v6, v6
	v_cvt_u32_f32_e32 v3, v3
	v_mul_lo_u32 v7, s0, v6
	v_mul_hi_u32 v9, s0, v3
	v_mul_lo_u32 v8, s1, v3
	v_add_u32_e32 v7, v9, v7
	v_mul_lo_u32 v10, s0, v3
	v_add_u32_e32 v7, v7, v8
	v_mul_lo_u32 v9, v3, v7
	v_mul_hi_u32 v11, v3, v10
	v_mul_hi_u32 v8, v3, v7
	v_add_co_u32_e32 v9, vcc, v11, v9
	v_addc_co_u32_e32 v8, vcc, 0, v8, vcc
	v_mul_hi_u32 v12, v6, v10
	v_mul_lo_u32 v10, v6, v10
	v_add_co_u32_e32 v9, vcc, v9, v10
	v_mul_hi_u32 v11, v6, v7
	v_addc_co_u32_e32 v8, vcc, v8, v12, vcc
	v_addc_co_u32_e32 v9, vcc, 0, v11, vcc
	v_mul_lo_u32 v7, v6, v7
	v_add_co_u32_e32 v7, vcc, v8, v7
	v_addc_co_u32_e32 v8, vcc, 0, v9, vcc
	v_add_co_u32_e32 v3, vcc, v3, v7
	v_addc_co_u32_e32 v6, vcc, v6, v8, vcc
	v_mul_lo_u32 v7, s0, v6
	v_mul_hi_u32 v8, s0, v3
	v_add_u32_e32 v7, v8, v7
	v_mul_lo_u32 v8, s1, v3
	v_add_u32_e32 v7, v7, v8
	v_mul_lo_u32 v9, s0, v3
	v_mul_hi_u32 v10, v6, v9
	v_mul_lo_u32 v11, v6, v9
	v_mul_lo_u32 v13, v3, v7
	v_mul_hi_u32 v9, v3, v9
	v_mul_hi_u32 v12, v3, v7
	v_add_co_u32_e32 v9, vcc, v9, v13
	v_addc_co_u32_e32 v12, vcc, 0, v12, vcc
	v_add_co_u32_e32 v9, vcc, v9, v11
	v_mul_hi_u32 v8, v6, v7
	v_addc_co_u32_e32 v9, vcc, v12, v10, vcc
	v_addc_co_u32_e32 v8, vcc, 0, v8, vcc
	v_mul_lo_u32 v7, v6, v7
	v_add_co_u32_e32 v7, vcc, v9, v7
	v_addc_co_u32_e32 v8, vcc, 0, v8, vcc
	v_add_co_u32_e32 v3, vcc, v3, v7
	v_addc_co_u32_e32 v8, vcc, v6, v8, vcc
	v_ashrrev_i32_e32 v10, 31, v5
	v_add_co_u32_e32 v6, vcc, v4, v10
	v_xor_b32_e32 v11, v6, v10
	v_addc_co_u32_e32 v5, vcc, v5, v10, vcc
	v_mad_u64_u32 v[6:7], s[0:1], v11, v8, 0
	v_mul_hi_u32 v9, v11, v3
	v_xor_b32_e32 v5, v5, v10
	v_add_co_u32_e32 v12, vcc, v9, v6
	v_addc_co_u32_e32 v13, vcc, 0, v7, vcc
	v_mad_u64_u32 v[6:7], s[0:1], v5, v8, 0
	v_mad_u64_u32 v[8:9], s[0:1], v5, v3, 0
	v_add_co_u32_e32 v3, vcc, v12, v8
	v_addc_co_u32_e32 v3, vcc, v13, v9, vcc
	v_addc_co_u32_e32 v7, vcc, 0, v7, vcc
	v_add_co_u32_e32 v3, vcc, v3, v6
	v_addc_co_u32_e32 v8, vcc, 0, v7, vcc
	v_mul_lo_u32 v9, s29, v3
	v_mul_lo_u32 v12, s28, v8
	v_mad_u64_u32 v[6:7], s[0:1], s28, v3, 0
	v_add3_u32 v7, v7, v12, v9
	v_sub_u32_e32 v9, v5, v7
	v_mov_b32_e32 v12, s29
	v_sub_co_u32_e32 v6, vcc, v11, v6
	v_subb_co_u32_e64 v9, s[0:1], v9, v12, vcc
	v_subrev_co_u32_e64 v11, s[0:1], s28, v6
	v_subbrev_co_u32_e64 v9, s[0:1], 0, v9, s[0:1]
	v_cmp_le_u32_e64 s[0:1], s29, v9
	v_cndmask_b32_e64 v12, 0, -1, s[0:1]
	v_cmp_le_u32_e64 s[0:1], s28, v11
	v_cndmask_b32_e64 v11, 0, -1, s[0:1]
	v_cmp_eq_u32_e64 s[0:1], s29, v9
	v_cndmask_b32_e64 v9, v12, v11, s[0:1]
	v_add_co_u32_e64 v11, s[0:1], 2, v3
	v_subb_co_u32_e32 v5, vcc, v5, v7, vcc
	v_addc_co_u32_e64 v12, s[0:1], 0, v8, s[0:1]
	v_cmp_le_u32_e32 vcc, s29, v5
	v_add_co_u32_e64 v13, s[0:1], 1, v3
	v_cndmask_b32_e64 v7, 0, -1, vcc
	v_cmp_le_u32_e32 vcc, s28, v6
	v_addc_co_u32_e64 v14, s[0:1], 0, v8, s[0:1]
	v_cndmask_b32_e64 v6, 0, -1, vcc
	v_cmp_eq_u32_e32 vcc, s29, v5
	v_cmp_ne_u32_e64 s[0:1], 0, v9
	v_cndmask_b32_e32 v5, v7, v6, vcc
	v_cmp_ne_u32_e32 vcc, 0, v5
	v_cndmask_b32_e64 v6, v13, v11, s[0:1]
	v_cndmask_b32_e64 v9, v14, v12, s[0:1]
	v_cndmask_b32_e32 v3, v3, v6, vcc
	v_xor_b32_e32 v6, s26, v10
	v_cndmask_b32_e32 v5, v8, v9, vcc
	v_xor_b32_e32 v7, s27, v10
	v_xor_b32_e32 v3, v3, v6
	;; [unrolled: 1-line block ×3, first 2 shown]
	v_sub_co_u32_e32 v6, vcc, v3, v6
	v_subb_co_u32_e32 v7, vcc, v5, v7, vcc
.LBB72_9:                               ;   in Loop: Header=BB72_3 Depth=1
	s_andn2_saveexec_b64 s[0:1], s[24:25]
	s_cbranch_execz .LBB72_11
; %bb.10:                               ;   in Loop: Header=BB72_3 Depth=1
	v_cvt_f32_u32_e32 v3, s41
	s_sub_i32 s16, 0, s41
	v_rcp_iflag_f32_e32 v3, v3
	v_mul_f32_e32 v3, 0x4f7ffffe, v3
	v_cvt_u32_f32_e32 v3, v3
	v_mul_lo_u32 v5, s16, v3
	v_mul_hi_u32 v5, v3, v5
	v_add_u32_e32 v3, v3, v5
	v_mul_hi_u32 v3, v4, v3
	v_mul_lo_u32 v5, v3, s41
	v_sub_u32_e32 v5, v4, v5
	v_add_u32_e32 v6, 1, v3
	v_subrev_u32_e32 v7, s41, v5
	v_cmp_le_u32_e32 vcc, s41, v5
	v_cndmask_b32_e32 v5, v5, v7, vcc
	v_cndmask_b32_e32 v3, v3, v6, vcc
	v_add_u32_e32 v6, 1, v3
	v_cmp_le_u32_e32 vcc, s41, v5
	v_cndmask_b32_e32 v6, v3, v6, vcc
	v_mov_b32_e32 v7, v2
.LBB72_11:                              ;   in Loop: Header=BB72_3 Depth=1
	s_or_b64 exec, exec, s[0:1]
	v_mad_u64_u32 v[8:9], s[0:1], v4, s33, 0
	v_sub_co_u32_e32 v26, vcc, v0, v8
	v_mad_u64_u32 v[8:9], s[0:1], v6, s41, 0
	v_sub_co_u32_e32 v25, vcc, v4, v8
	v_sub_u32_e32 v4, v26, v25
	v_ashrrev_i32_e32 v5, 31, v4
	v_cmp_gt_i64_e32 vcc, s[8:9], v[4:5]
	s_and_saveexec_b64 s[24:25], vcc
	s_cbranch_execz .LBB72_2
; %bb.12:                               ;   in Loop: Header=BB72_3 Depth=1
	s_load_dword s49, s[4:5], 0x0
	s_load_dword s0, s[12:13], 0x0
	s_andn2_b64 vcc, exec, s[6:7]
	s_waitcnt lgkmcnt(0)
	v_mul_lo_u32 v4, s49, v26
	v_mad_u64_u32 v[4:5], s[0:1], s0, v25, v[4:5]
	s_cbranch_vccnz .LBB72_57
; %bb.13:                               ;   in Loop: Header=BB72_3 Depth=1
	s_andn2_b64 vcc, exec, s[18:19]
	s_cbranch_vccnz .LBB72_20
; %bb.14:                               ;   in Loop: Header=BB72_3 Depth=1
	s_mov_b32 s36, s48
	s_mov_b32 s16, s45
	s_branch .LBB72_16
.LBB72_15:                              ;   in Loop: Header=BB72_16 Depth=2
	s_or_b64 exec, exec, s[0:1]
	s_add_u32 s0, s43, s26
	s_addc_u32 s1, s44, s27
	s_load_dword s0, s[0:1], 0x0
	v_mul_lo_u32 v3, v6, s37
	v_sub_u32_e32 v3, v8, v3
	s_add_i32 s16, s16, -1
	s_add_i32 s36, s36, -1
	s_cmp_lg_u32 s36, 0
	s_waitcnt lgkmcnt(0)
	v_mad_u64_u32 v[4:5], s[0:1], s0, v3, v[4:5]
	s_cbranch_scc0 .LBB72_21
.LBB72_16:                              ;   Parent Loop BB72_3 Depth=1
                                        ; =>  This Inner Loop Header: Depth=2
	s_lshl_b64 s[26:27], s[16:17], 2
	s_add_u32 s0, s39, s26
	s_addc_u32 s1, s40, s27
	s_load_dword s37, s[0:1], 0x0
	v_pk_mov_b32 v[8:9], v[6:7], v[6:7] op_sel:[0,1]
                                        ; implicit-def: $vgpr6_vgpr7
	s_waitcnt lgkmcnt(0)
	s_ashr_i32 s0, s37, 31
	v_or_b32_e32 v3, s0, v9
	v_cmp_ne_u64_e32 vcc, 0, v[2:3]
	s_and_saveexec_b64 s[28:29], vcc
	s_xor_b64 s[28:29], exec, s[28:29]
	s_cbranch_execz .LBB72_18
; %bb.17:                               ;   in Loop: Header=BB72_16 Depth=2
	s_add_u32 s34, s37, s0
	s_mov_b32 s30, s0
	s_mov_b32 s31, s0
	s_addc_u32 s35, s0, s0
	s_xor_b64 s[34:35], s[34:35], s[30:31]
	v_cvt_f32_u32_e32 v3, s34
	v_cvt_f32_u32_e32 v5, s35
	s_sub_u32 s0, 0, s34
	s_subb_u32 s1, 0, s35
	v_mac_f32_e32 v3, 0x4f800000, v5
	v_rcp_f32_e32 v3, v3
	v_mul_f32_e32 v3, 0x5f7ffffc, v3
	v_mul_f32_e32 v5, 0x2f800000, v3
	v_trunc_f32_e32 v5, v5
	v_mac_f32_e32 v3, 0xcf800000, v5
	v_cvt_u32_f32_e32 v5, v5
	v_cvt_u32_f32_e32 v3, v3
	v_mul_lo_u32 v6, s0, v5
	v_mul_hi_u32 v10, s0, v3
	v_mul_lo_u32 v7, s1, v3
	v_add_u32_e32 v6, v10, v6
	v_mul_lo_u32 v11, s0, v3
	v_add_u32_e32 v6, v6, v7
	v_mul_lo_u32 v10, v3, v6
	v_mul_hi_u32 v12, v3, v11
	v_mul_hi_u32 v7, v3, v6
	v_add_co_u32_e32 v10, vcc, v12, v10
	v_addc_co_u32_e32 v7, vcc, 0, v7, vcc
	v_mul_hi_u32 v13, v5, v11
	v_mul_lo_u32 v11, v5, v11
	v_add_co_u32_e32 v10, vcc, v10, v11
	v_mul_hi_u32 v12, v5, v6
	v_addc_co_u32_e32 v7, vcc, v7, v13, vcc
	v_addc_co_u32_e32 v10, vcc, 0, v12, vcc
	v_mul_lo_u32 v6, v5, v6
	v_add_co_u32_e32 v6, vcc, v7, v6
	v_addc_co_u32_e32 v7, vcc, 0, v10, vcc
	v_add_co_u32_e32 v3, vcc, v3, v6
	v_addc_co_u32_e32 v5, vcc, v5, v7, vcc
	v_mul_lo_u32 v6, s0, v5
	v_mul_hi_u32 v7, s0, v3
	v_add_u32_e32 v6, v7, v6
	v_mul_lo_u32 v7, s1, v3
	v_add_u32_e32 v6, v6, v7
	v_mul_lo_u32 v10, s0, v3
	v_mul_hi_u32 v11, v5, v10
	v_mul_lo_u32 v12, v5, v10
	v_mul_lo_u32 v14, v3, v6
	v_mul_hi_u32 v10, v3, v10
	v_mul_hi_u32 v13, v3, v6
	v_add_co_u32_e32 v10, vcc, v10, v14
	v_addc_co_u32_e32 v13, vcc, 0, v13, vcc
	v_add_co_u32_e32 v10, vcc, v10, v12
	v_mul_hi_u32 v7, v5, v6
	v_addc_co_u32_e32 v10, vcc, v13, v11, vcc
	v_addc_co_u32_e32 v7, vcc, 0, v7, vcc
	v_mul_lo_u32 v6, v5, v6
	v_add_co_u32_e32 v6, vcc, v10, v6
	v_addc_co_u32_e32 v7, vcc, 0, v7, vcc
	v_add_co_u32_e32 v3, vcc, v3, v6
	v_addc_co_u32_e32 v5, vcc, v5, v7, vcc
	v_ashrrev_i32_e32 v12, 31, v9
	v_add_co_u32_e32 v6, vcc, v8, v12
	v_addc_co_u32_e32 v7, vcc, v9, v12, vcc
	v_xor_b32_e32 v13, v6, v12
	v_xor_b32_e32 v9, v7, v12
	v_mad_u64_u32 v[6:7], s[0:1], v13, v5, 0
	v_mul_hi_u32 v10, v13, v3
	v_add_co_u32_e32 v14, vcc, v10, v6
	v_addc_co_u32_e32 v15, vcc, 0, v7, vcc
	v_mad_u64_u32 v[10:11], s[0:1], v9, v3, 0
	v_add_co_u32_e32 v3, vcc, v14, v10
	v_mad_u64_u32 v[6:7], s[0:1], v9, v5, 0
	v_addc_co_u32_e32 v3, vcc, v15, v11, vcc
	v_addc_co_u32_e32 v5, vcc, 0, v7, vcc
	v_add_co_u32_e32 v3, vcc, v3, v6
	v_addc_co_u32_e32 v5, vcc, 0, v5, vcc
	v_mul_lo_u32 v10, s35, v3
	v_mul_lo_u32 v11, s34, v5
	v_mad_u64_u32 v[6:7], s[0:1], s34, v3, 0
	v_add3_u32 v7, v7, v11, v10
	v_sub_u32_e32 v10, v9, v7
	v_mov_b32_e32 v11, s35
	v_sub_co_u32_e32 v6, vcc, v13, v6
	v_subb_co_u32_e64 v10, s[0:1], v10, v11, vcc
	v_subrev_co_u32_e64 v11, s[0:1], s34, v6
	v_subbrev_co_u32_e64 v10, s[0:1], 0, v10, s[0:1]
	v_cmp_le_u32_e64 s[0:1], s35, v10
	v_cndmask_b32_e64 v13, 0, -1, s[0:1]
	v_cmp_le_u32_e64 s[0:1], s34, v11
	v_cndmask_b32_e64 v11, 0, -1, s[0:1]
	v_cmp_eq_u32_e64 s[0:1], s35, v10
	v_cndmask_b32_e64 v10, v13, v11, s[0:1]
	v_add_co_u32_e64 v11, s[0:1], 2, v3
	v_subb_co_u32_e32 v7, vcc, v9, v7, vcc
	v_addc_co_u32_e64 v13, s[0:1], 0, v5, s[0:1]
	v_cmp_le_u32_e32 vcc, s35, v7
	v_add_co_u32_e64 v14, s[0:1], 1, v3
	v_cndmask_b32_e64 v9, 0, -1, vcc
	v_cmp_le_u32_e32 vcc, s34, v6
	v_addc_co_u32_e64 v15, s[0:1], 0, v5, s[0:1]
	v_cndmask_b32_e64 v6, 0, -1, vcc
	v_cmp_eq_u32_e32 vcc, s35, v7
	v_cmp_ne_u32_e64 s[0:1], 0, v10
	v_cndmask_b32_e32 v6, v9, v6, vcc
	v_cmp_ne_u32_e32 vcc, 0, v6
	v_cndmask_b32_e64 v6, v14, v11, s[0:1]
	v_cndmask_b32_e64 v10, v15, v13, s[0:1]
	v_cndmask_b32_e32 v3, v3, v6, vcc
	v_xor_b32_e32 v6, s30, v12
	v_cndmask_b32_e32 v5, v5, v10, vcc
	v_xor_b32_e32 v7, s31, v12
	v_xor_b32_e32 v3, v3, v6
	;; [unrolled: 1-line block ×3, first 2 shown]
	v_sub_co_u32_e32 v6, vcc, v3, v6
	v_subb_co_u32_e32 v7, vcc, v5, v7, vcc
.LBB72_18:                              ;   in Loop: Header=BB72_16 Depth=2
	s_andn2_saveexec_b64 s[0:1], s[28:29]
	s_cbranch_execz .LBB72_15
; %bb.19:                               ;   in Loop: Header=BB72_16 Depth=2
	v_cvt_f32_u32_e32 v3, s37
	s_sub_i32 s28, 0, s37
	v_rcp_iflag_f32_e32 v3, v3
	v_mul_f32_e32 v3, 0x4f7ffffe, v3
	v_cvt_u32_f32_e32 v3, v3
	v_mul_lo_u32 v5, s28, v3
	v_mul_hi_u32 v5, v3, v5
	v_add_u32_e32 v3, v3, v5
	v_mul_hi_u32 v3, v8, v3
	v_mul_lo_u32 v5, v3, s37
	v_sub_u32_e32 v5, v8, v5
	v_add_u32_e32 v6, 1, v3
	v_subrev_u32_e32 v7, s37, v5
	v_cmp_le_u32_e32 vcc, s37, v5
	v_cndmask_b32_e32 v5, v5, v7, vcc
	v_cndmask_b32_e32 v3, v3, v6, vcc
	v_add_u32_e32 v6, 1, v3
	v_cmp_le_u32_e32 vcc, s37, v5
	v_cndmask_b32_e32 v6, v3, v6, vcc
	v_mov_b32_e32 v7, v2
	s_branch .LBB72_15
.LBB72_20:                              ;   in Loop: Header=BB72_3 Depth=1
	s_mov_b32 s16, s45
.LBB72_21:                              ;   in Loop: Header=BB72_3 Depth=1
	s_andn2_b64 vcc, exec, s[20:21]
	s_cbranch_vccnz .LBB72_57
; %bb.22:                               ;   in Loop: Header=BB72_3 Depth=1
	s_add_i32 s26, s16, -7
.LBB72_23:                              ;   Parent Loop BB72_3 Depth=1
                                        ; =>  This Inner Loop Header: Depth=2
	s_add_i32 s16, s26, 7
	s_lshl_b64 s[28:29], s[16:17], 2
	s_add_u32 s0, s39, s28
	s_addc_u32 s1, s40, s29
	s_load_dword s50, s[0:1], 0x0
                                        ; implicit-def: $vgpr8_vgpr9
	s_waitcnt lgkmcnt(0)
	s_ashr_i32 s0, s50, 31
	v_or_b32_e32 v3, s0, v7
	v_cmp_ne_u64_e32 vcc, 0, v[2:3]
	s_and_saveexec_b64 s[30:31], vcc
	s_xor_b64 s[30:31], exec, s[30:31]
	s_cbranch_execz .LBB72_25
; %bb.24:                               ;   in Loop: Header=BB72_23 Depth=2
	s_add_u32 s36, s50, s0
	s_mov_b32 s34, s0
	s_mov_b32 s35, s0
	s_addc_u32 s37, s0, s0
	s_xor_b64 s[36:37], s[36:37], s[34:35]
	v_cvt_f32_u32_e32 v3, s36
	v_cvt_f32_u32_e32 v5, s37
	s_sub_u32 s0, 0, s36
	s_subb_u32 s1, 0, s37
	v_mac_f32_e32 v3, 0x4f800000, v5
	v_rcp_f32_e32 v3, v3
	v_mul_f32_e32 v3, 0x5f7ffffc, v3
	v_mul_f32_e32 v5, 0x2f800000, v3
	v_trunc_f32_e32 v5, v5
	v_mac_f32_e32 v3, 0xcf800000, v5
	v_cvt_u32_f32_e32 v5, v5
	v_cvt_u32_f32_e32 v3, v3
	v_mul_lo_u32 v8, s0, v5
	v_mul_hi_u32 v10, s0, v3
	v_mul_lo_u32 v9, s1, v3
	v_add_u32_e32 v8, v10, v8
	v_mul_lo_u32 v11, s0, v3
	v_add_u32_e32 v8, v8, v9
	v_mul_lo_u32 v10, v3, v8
	v_mul_hi_u32 v12, v3, v11
	v_mul_hi_u32 v9, v3, v8
	v_add_co_u32_e32 v10, vcc, v12, v10
	v_addc_co_u32_e32 v9, vcc, 0, v9, vcc
	v_mul_hi_u32 v13, v5, v11
	v_mul_lo_u32 v11, v5, v11
	v_add_co_u32_e32 v10, vcc, v10, v11
	v_mul_hi_u32 v12, v5, v8
	v_addc_co_u32_e32 v9, vcc, v9, v13, vcc
	v_addc_co_u32_e32 v10, vcc, 0, v12, vcc
	v_mul_lo_u32 v8, v5, v8
	v_add_co_u32_e32 v8, vcc, v9, v8
	v_addc_co_u32_e32 v9, vcc, 0, v10, vcc
	v_add_co_u32_e32 v3, vcc, v3, v8
	v_addc_co_u32_e32 v5, vcc, v5, v9, vcc
	v_mul_lo_u32 v8, s0, v5
	v_mul_hi_u32 v9, s0, v3
	v_add_u32_e32 v8, v9, v8
	v_mul_lo_u32 v9, s1, v3
	v_add_u32_e32 v8, v8, v9
	v_mul_lo_u32 v10, s0, v3
	v_mul_hi_u32 v11, v5, v10
	v_mul_lo_u32 v12, v5, v10
	v_mul_lo_u32 v14, v3, v8
	v_mul_hi_u32 v10, v3, v10
	v_mul_hi_u32 v13, v3, v8
	v_add_co_u32_e32 v10, vcc, v10, v14
	v_addc_co_u32_e32 v13, vcc, 0, v13, vcc
	v_add_co_u32_e32 v10, vcc, v10, v12
	v_mul_hi_u32 v9, v5, v8
	v_addc_co_u32_e32 v10, vcc, v13, v11, vcc
	v_addc_co_u32_e32 v9, vcc, 0, v9, vcc
	v_mul_lo_u32 v8, v5, v8
	v_add_co_u32_e32 v8, vcc, v10, v8
	v_addc_co_u32_e32 v9, vcc, 0, v9, vcc
	v_add_co_u32_e32 v3, vcc, v3, v8
	v_addc_co_u32_e32 v5, vcc, v5, v9, vcc
	v_ashrrev_i32_e32 v12, 31, v7
	v_add_co_u32_e32 v8, vcc, v6, v12
	v_xor_b32_e32 v13, v8, v12
	v_addc_co_u32_e32 v7, vcc, v7, v12, vcc
	v_mad_u64_u32 v[8:9], s[0:1], v13, v5, 0
	v_mul_hi_u32 v10, v13, v3
	v_xor_b32_e32 v7, v7, v12
	v_add_co_u32_e32 v14, vcc, v10, v8
	v_addc_co_u32_e32 v15, vcc, 0, v9, vcc
	v_mad_u64_u32 v[10:11], s[0:1], v7, v3, 0
	v_add_co_u32_e32 v3, vcc, v14, v10
	v_mad_u64_u32 v[8:9], s[0:1], v7, v5, 0
	v_addc_co_u32_e32 v3, vcc, v15, v11, vcc
	v_addc_co_u32_e32 v5, vcc, 0, v9, vcc
	v_add_co_u32_e32 v3, vcc, v3, v8
	v_addc_co_u32_e32 v5, vcc, 0, v5, vcc
	v_mul_lo_u32 v10, s37, v3
	v_mul_lo_u32 v11, s36, v5
	v_mad_u64_u32 v[8:9], s[0:1], s36, v3, 0
	v_add3_u32 v9, v9, v11, v10
	v_sub_u32_e32 v10, v7, v9
	v_mov_b32_e32 v11, s37
	v_sub_co_u32_e32 v8, vcc, v13, v8
	v_subb_co_u32_e64 v10, s[0:1], v10, v11, vcc
	v_subrev_co_u32_e64 v11, s[0:1], s36, v8
	v_subbrev_co_u32_e64 v10, s[0:1], 0, v10, s[0:1]
	v_cmp_le_u32_e64 s[0:1], s37, v10
	v_cndmask_b32_e64 v13, 0, -1, s[0:1]
	v_cmp_le_u32_e64 s[0:1], s36, v11
	v_cndmask_b32_e64 v11, 0, -1, s[0:1]
	v_cmp_eq_u32_e64 s[0:1], s37, v10
	v_cndmask_b32_e64 v10, v13, v11, s[0:1]
	v_add_co_u32_e64 v11, s[0:1], 2, v3
	v_subb_co_u32_e32 v7, vcc, v7, v9, vcc
	v_addc_co_u32_e64 v13, s[0:1], 0, v5, s[0:1]
	v_cmp_le_u32_e32 vcc, s37, v7
	v_add_co_u32_e64 v14, s[0:1], 1, v3
	v_cndmask_b32_e64 v9, 0, -1, vcc
	v_cmp_le_u32_e32 vcc, s36, v8
	v_addc_co_u32_e64 v15, s[0:1], 0, v5, s[0:1]
	v_cndmask_b32_e64 v8, 0, -1, vcc
	v_cmp_eq_u32_e32 vcc, s37, v7
	v_cmp_ne_u32_e64 s[0:1], 0, v10
	v_cndmask_b32_e32 v7, v9, v8, vcc
	v_cmp_ne_u32_e32 vcc, 0, v7
	v_cndmask_b32_e64 v7, v14, v11, s[0:1]
	v_cndmask_b32_e64 v10, v15, v13, s[0:1]
	v_cndmask_b32_e32 v3, v3, v7, vcc
	v_xor_b32_e32 v8, s34, v12
	v_cndmask_b32_e32 v5, v5, v10, vcc
	v_xor_b32_e32 v7, s35, v12
	v_xor_b32_e32 v3, v3, v8
	;; [unrolled: 1-line block ×3, first 2 shown]
	v_sub_co_u32_e32 v8, vcc, v3, v8
	v_subb_co_u32_e32 v9, vcc, v5, v7, vcc
.LBB72_25:                              ;   in Loop: Header=BB72_23 Depth=2
	s_andn2_saveexec_b64 s[0:1], s[30:31]
	s_cbranch_execz .LBB72_27
; %bb.26:                               ;   in Loop: Header=BB72_23 Depth=2
	v_cvt_f32_u32_e32 v3, s50
	s_sub_i32 s16, 0, s50
	v_mov_b32_e32 v9, v2
	v_rcp_iflag_f32_e32 v3, v3
	v_mul_f32_e32 v3, 0x4f7ffffe, v3
	v_cvt_u32_f32_e32 v3, v3
	v_mul_lo_u32 v5, s16, v3
	v_mul_hi_u32 v5, v3, v5
	v_add_u32_e32 v3, v3, v5
	v_mul_hi_u32 v3, v6, v3
	v_mul_lo_u32 v5, v3, s50
	v_sub_u32_e32 v5, v6, v5
	v_add_u32_e32 v7, 1, v3
	v_subrev_u32_e32 v8, s50, v5
	v_cmp_le_u32_e32 vcc, s50, v5
	v_cndmask_b32_e32 v5, v5, v8, vcc
	v_cndmask_b32_e32 v3, v3, v7, vcc
	v_add_u32_e32 v7, 1, v3
	v_cmp_le_u32_e32 vcc, s50, v5
	v_cndmask_b32_e32 v8, v3, v7, vcc
.LBB72_27:                              ;   in Loop: Header=BB72_23 Depth=2
	s_or_b64 exec, exec, s[0:1]
	s_add_u32 s0, s43, s28
	s_addc_u32 s1, s44, s29
	s_add_i32 s16, s26, 6
	s_lshl_b64 s[28:29], s[16:17], 2
	s_add_u32 s30, s39, s28
	s_addc_u32 s31, s40, s29
	s_load_dword s51, s[30:31], 0x0
	s_load_dword s52, s[0:1], 0x0
                                        ; implicit-def: $vgpr10_vgpr11
	s_waitcnt lgkmcnt(0)
	s_ashr_i32 s0, s51, 31
	v_or_b32_e32 v3, s0, v9
	v_cmp_ne_u64_e32 vcc, 0, v[2:3]
	s_and_saveexec_b64 s[30:31], vcc
	s_xor_b64 s[30:31], exec, s[30:31]
	s_cbranch_execz .LBB72_29
; %bb.28:                               ;   in Loop: Header=BB72_23 Depth=2
	s_add_u32 s36, s51, s0
	s_mov_b32 s34, s0
	s_mov_b32 s35, s0
	s_addc_u32 s37, s0, s0
	s_xor_b64 s[36:37], s[36:37], s[34:35]
	v_cvt_f32_u32_e32 v3, s36
	v_cvt_f32_u32_e32 v5, s37
	s_sub_u32 s0, 0, s36
	s_subb_u32 s1, 0, s37
	v_mac_f32_e32 v3, 0x4f800000, v5
	v_rcp_f32_e32 v3, v3
	v_mul_f32_e32 v3, 0x5f7ffffc, v3
	v_mul_f32_e32 v5, 0x2f800000, v3
	v_trunc_f32_e32 v5, v5
	v_mac_f32_e32 v3, 0xcf800000, v5
	v_cvt_u32_f32_e32 v5, v5
	v_cvt_u32_f32_e32 v3, v3
	v_mul_lo_u32 v7, s0, v5
	v_mul_hi_u32 v11, s0, v3
	v_mul_lo_u32 v10, s1, v3
	v_add_u32_e32 v7, v11, v7
	v_mul_lo_u32 v12, s0, v3
	v_add_u32_e32 v7, v7, v10
	v_mul_lo_u32 v11, v3, v7
	v_mul_hi_u32 v13, v3, v12
	v_mul_hi_u32 v10, v3, v7
	v_add_co_u32_e32 v11, vcc, v13, v11
	v_addc_co_u32_e32 v10, vcc, 0, v10, vcc
	v_mul_hi_u32 v14, v5, v12
	v_mul_lo_u32 v12, v5, v12
	v_add_co_u32_e32 v11, vcc, v11, v12
	v_mul_hi_u32 v13, v5, v7
	v_addc_co_u32_e32 v10, vcc, v10, v14, vcc
	v_addc_co_u32_e32 v11, vcc, 0, v13, vcc
	v_mul_lo_u32 v7, v5, v7
	v_add_co_u32_e32 v7, vcc, v10, v7
	v_addc_co_u32_e32 v10, vcc, 0, v11, vcc
	v_add_co_u32_e32 v3, vcc, v3, v7
	v_addc_co_u32_e32 v5, vcc, v5, v10, vcc
	v_mul_lo_u32 v7, s0, v5
	v_mul_hi_u32 v10, s0, v3
	v_add_u32_e32 v7, v10, v7
	v_mul_lo_u32 v10, s1, v3
	v_add_u32_e32 v7, v7, v10
	v_mul_lo_u32 v11, s0, v3
	v_mul_hi_u32 v12, v5, v11
	v_mul_lo_u32 v13, v5, v11
	v_mul_lo_u32 v15, v3, v7
	v_mul_hi_u32 v11, v3, v11
	v_mul_hi_u32 v14, v3, v7
	v_add_co_u32_e32 v11, vcc, v11, v15
	v_addc_co_u32_e32 v14, vcc, 0, v14, vcc
	v_add_co_u32_e32 v11, vcc, v11, v13
	v_mul_hi_u32 v10, v5, v7
	v_addc_co_u32_e32 v11, vcc, v14, v12, vcc
	v_addc_co_u32_e32 v10, vcc, 0, v10, vcc
	v_mul_lo_u32 v7, v5, v7
	v_add_co_u32_e32 v7, vcc, v11, v7
	v_addc_co_u32_e32 v10, vcc, 0, v10, vcc
	v_add_co_u32_e32 v3, vcc, v3, v7
	v_addc_co_u32_e32 v5, vcc, v5, v10, vcc
	v_ashrrev_i32_e32 v7, 31, v9
	v_add_co_u32_e32 v10, vcc, v8, v7
	v_xor_b32_e32 v14, v10, v7
	v_addc_co_u32_e32 v9, vcc, v9, v7, vcc
	v_mad_u64_u32 v[10:11], s[0:1], v14, v5, 0
	v_mul_hi_u32 v12, v14, v3
	v_xor_b32_e32 v9, v9, v7
	v_add_co_u32_e32 v15, vcc, v12, v10
	v_addc_co_u32_e32 v16, vcc, 0, v11, vcc
	v_mad_u64_u32 v[12:13], s[0:1], v9, v3, 0
	v_add_co_u32_e32 v3, vcc, v15, v12
	v_mad_u64_u32 v[10:11], s[0:1], v9, v5, 0
	v_addc_co_u32_e32 v3, vcc, v16, v13, vcc
	v_addc_co_u32_e32 v5, vcc, 0, v11, vcc
	v_add_co_u32_e32 v3, vcc, v3, v10
	v_addc_co_u32_e32 v5, vcc, 0, v5, vcc
	v_mul_lo_u32 v12, s37, v3
	v_mul_lo_u32 v13, s36, v5
	v_mad_u64_u32 v[10:11], s[0:1], s36, v3, 0
	v_add3_u32 v11, v11, v13, v12
	v_sub_u32_e32 v12, v9, v11
	v_mov_b32_e32 v13, s37
	v_sub_co_u32_e32 v10, vcc, v14, v10
	v_subb_co_u32_e64 v12, s[0:1], v12, v13, vcc
	v_subrev_co_u32_e64 v13, s[0:1], s36, v10
	v_subbrev_co_u32_e64 v12, s[0:1], 0, v12, s[0:1]
	v_cmp_le_u32_e64 s[0:1], s37, v12
	v_cndmask_b32_e64 v14, 0, -1, s[0:1]
	v_cmp_le_u32_e64 s[0:1], s36, v13
	v_cndmask_b32_e64 v13, 0, -1, s[0:1]
	v_cmp_eq_u32_e64 s[0:1], s37, v12
	v_cndmask_b32_e64 v12, v14, v13, s[0:1]
	v_add_co_u32_e64 v13, s[0:1], 2, v3
	v_subb_co_u32_e32 v9, vcc, v9, v11, vcc
	v_addc_co_u32_e64 v14, s[0:1], 0, v5, s[0:1]
	v_cmp_le_u32_e32 vcc, s37, v9
	v_add_co_u32_e64 v15, s[0:1], 1, v3
	v_cndmask_b32_e64 v11, 0, -1, vcc
	v_cmp_le_u32_e32 vcc, s36, v10
	v_addc_co_u32_e64 v16, s[0:1], 0, v5, s[0:1]
	v_cndmask_b32_e64 v10, 0, -1, vcc
	v_cmp_eq_u32_e32 vcc, s37, v9
	v_cmp_ne_u32_e64 s[0:1], 0, v12
	v_cndmask_b32_e32 v9, v11, v10, vcc
	v_cmp_ne_u32_e32 vcc, 0, v9
	v_cndmask_b32_e64 v9, v15, v13, s[0:1]
	v_cndmask_b32_e64 v12, v16, v14, s[0:1]
	v_cndmask_b32_e32 v3, v3, v9, vcc
	v_xor_b32_e32 v9, s35, v7
	v_xor_b32_e32 v7, s34, v7
	v_cndmask_b32_e32 v5, v5, v12, vcc
	v_xor_b32_e32 v3, v3, v7
	v_xor_b32_e32 v5, v5, v9
	v_sub_co_u32_e32 v10, vcc, v3, v7
	v_subb_co_u32_e32 v11, vcc, v5, v9, vcc
.LBB72_29:                              ;   in Loop: Header=BB72_23 Depth=2
	s_andn2_saveexec_b64 s[0:1], s[30:31]
	s_cbranch_execz .LBB72_31
; %bb.30:                               ;   in Loop: Header=BB72_23 Depth=2
	v_cvt_f32_u32_e32 v3, s51
	s_sub_i32 s16, 0, s51
	v_mov_b32_e32 v11, v2
	v_rcp_iflag_f32_e32 v3, v3
	v_mul_f32_e32 v3, 0x4f7ffffe, v3
	v_cvt_u32_f32_e32 v3, v3
	v_mul_lo_u32 v5, s16, v3
	v_mul_hi_u32 v5, v3, v5
	v_add_u32_e32 v3, v3, v5
	v_mul_hi_u32 v3, v8, v3
	v_mul_lo_u32 v5, v3, s51
	v_sub_u32_e32 v5, v8, v5
	v_add_u32_e32 v7, 1, v3
	v_subrev_u32_e32 v9, s51, v5
	v_cmp_le_u32_e32 vcc, s51, v5
	v_cndmask_b32_e32 v5, v5, v9, vcc
	v_cndmask_b32_e32 v3, v3, v7, vcc
	v_add_u32_e32 v7, 1, v3
	v_cmp_le_u32_e32 vcc, s51, v5
	v_cndmask_b32_e32 v10, v3, v7, vcc
.LBB72_31:                              ;   in Loop: Header=BB72_23 Depth=2
	s_or_b64 exec, exec, s[0:1]
	s_add_u32 s0, s43, s28
	s_addc_u32 s1, s44, s29
	s_add_i32 s16, s26, 5
	s_lshl_b64 s[28:29], s[16:17], 2
	s_add_u32 s30, s39, s28
	s_addc_u32 s31, s40, s29
	s_load_dword s53, s[30:31], 0x0
	s_load_dword s54, s[0:1], 0x0
                                        ; implicit-def: $vgpr12_vgpr13
	s_waitcnt lgkmcnt(0)
	s_ashr_i32 s0, s53, 31
	v_or_b32_e32 v3, s0, v11
	v_cmp_ne_u64_e32 vcc, 0, v[2:3]
	s_and_saveexec_b64 s[30:31], vcc
	s_xor_b64 s[30:31], exec, s[30:31]
	s_cbranch_execz .LBB72_33
; %bb.32:                               ;   in Loop: Header=BB72_23 Depth=2
	s_add_u32 s36, s53, s0
	s_mov_b32 s34, s0
	s_mov_b32 s35, s0
	s_addc_u32 s37, s0, s0
	s_xor_b64 s[36:37], s[36:37], s[34:35]
	v_cvt_f32_u32_e32 v3, s36
	v_cvt_f32_u32_e32 v5, s37
	s_sub_u32 s0, 0, s36
	s_subb_u32 s1, 0, s37
	v_mac_f32_e32 v3, 0x4f800000, v5
	v_rcp_f32_e32 v3, v3
	v_mul_f32_e32 v3, 0x5f7ffffc, v3
	v_mul_f32_e32 v5, 0x2f800000, v3
	v_trunc_f32_e32 v5, v5
	v_mac_f32_e32 v3, 0xcf800000, v5
	v_cvt_u32_f32_e32 v5, v5
	v_cvt_u32_f32_e32 v3, v3
	v_mul_lo_u32 v7, s0, v5
	v_mul_hi_u32 v12, s0, v3
	v_mul_lo_u32 v9, s1, v3
	v_add_u32_e32 v7, v12, v7
	v_mul_lo_u32 v13, s0, v3
	v_add_u32_e32 v7, v7, v9
	v_mul_lo_u32 v12, v3, v7
	v_mul_hi_u32 v14, v3, v13
	v_mul_hi_u32 v9, v3, v7
	v_add_co_u32_e32 v12, vcc, v14, v12
	v_addc_co_u32_e32 v9, vcc, 0, v9, vcc
	v_mul_hi_u32 v15, v5, v13
	v_mul_lo_u32 v13, v5, v13
	v_add_co_u32_e32 v12, vcc, v12, v13
	v_mul_hi_u32 v14, v5, v7
	v_addc_co_u32_e32 v9, vcc, v9, v15, vcc
	v_addc_co_u32_e32 v12, vcc, 0, v14, vcc
	v_mul_lo_u32 v7, v5, v7
	v_add_co_u32_e32 v7, vcc, v9, v7
	v_addc_co_u32_e32 v9, vcc, 0, v12, vcc
	v_add_co_u32_e32 v3, vcc, v3, v7
	v_addc_co_u32_e32 v5, vcc, v5, v9, vcc
	v_mul_lo_u32 v7, s0, v5
	v_mul_hi_u32 v9, s0, v3
	v_add_u32_e32 v7, v9, v7
	v_mul_lo_u32 v9, s1, v3
	v_add_u32_e32 v7, v7, v9
	v_mul_lo_u32 v12, s0, v3
	v_mul_hi_u32 v13, v5, v12
	v_mul_lo_u32 v14, v5, v12
	v_mul_lo_u32 v16, v3, v7
	v_mul_hi_u32 v12, v3, v12
	v_mul_hi_u32 v15, v3, v7
	v_add_co_u32_e32 v12, vcc, v12, v16
	v_addc_co_u32_e32 v15, vcc, 0, v15, vcc
	v_add_co_u32_e32 v12, vcc, v12, v14
	v_mul_hi_u32 v9, v5, v7
	v_addc_co_u32_e32 v12, vcc, v15, v13, vcc
	v_addc_co_u32_e32 v9, vcc, 0, v9, vcc
	v_mul_lo_u32 v7, v5, v7
	v_add_co_u32_e32 v7, vcc, v12, v7
	v_addc_co_u32_e32 v9, vcc, 0, v9, vcc
	v_add_co_u32_e32 v3, vcc, v3, v7
	v_addc_co_u32_e32 v5, vcc, v5, v9, vcc
	v_ashrrev_i32_e32 v7, 31, v11
	v_add_co_u32_e32 v9, vcc, v10, v7
	v_xor_b32_e32 v9, v9, v7
	v_addc_co_u32_e32 v11, vcc, v11, v7, vcc
	v_mad_u64_u32 v[12:13], s[0:1], v9, v5, 0
	v_mul_hi_u32 v14, v9, v3
	v_xor_b32_e32 v11, v11, v7
	v_add_co_u32_e32 v16, vcc, v14, v12
	v_addc_co_u32_e32 v17, vcc, 0, v13, vcc
	v_mad_u64_u32 v[14:15], s[0:1], v11, v3, 0
	v_add_co_u32_e32 v3, vcc, v16, v14
	v_mad_u64_u32 v[12:13], s[0:1], v11, v5, 0
	v_addc_co_u32_e32 v3, vcc, v17, v15, vcc
	v_addc_co_u32_e32 v5, vcc, 0, v13, vcc
	v_add_co_u32_e32 v3, vcc, v3, v12
	v_addc_co_u32_e32 v5, vcc, 0, v5, vcc
	v_mul_lo_u32 v14, s37, v3
	v_mul_lo_u32 v15, s36, v5
	v_mad_u64_u32 v[12:13], s[0:1], s36, v3, 0
	v_add3_u32 v13, v13, v15, v14
	v_sub_u32_e32 v14, v11, v13
	v_mov_b32_e32 v15, s37
	v_sub_co_u32_e32 v9, vcc, v9, v12
	v_subb_co_u32_e64 v12, s[0:1], v14, v15, vcc
	v_subrev_co_u32_e64 v14, s[0:1], s36, v9
	v_subbrev_co_u32_e64 v12, s[0:1], 0, v12, s[0:1]
	v_cmp_le_u32_e64 s[0:1], s37, v12
	v_cndmask_b32_e64 v15, 0, -1, s[0:1]
	v_cmp_le_u32_e64 s[0:1], s36, v14
	v_cndmask_b32_e64 v14, 0, -1, s[0:1]
	v_cmp_eq_u32_e64 s[0:1], s37, v12
	v_cndmask_b32_e64 v12, v15, v14, s[0:1]
	v_add_co_u32_e64 v14, s[0:1], 2, v3
	v_subb_co_u32_e32 v11, vcc, v11, v13, vcc
	v_addc_co_u32_e64 v15, s[0:1], 0, v5, s[0:1]
	v_cmp_le_u32_e32 vcc, s37, v11
	v_add_co_u32_e64 v16, s[0:1], 1, v3
	v_cndmask_b32_e64 v13, 0, -1, vcc
	v_cmp_le_u32_e32 vcc, s36, v9
	v_addc_co_u32_e64 v17, s[0:1], 0, v5, s[0:1]
	v_cndmask_b32_e64 v9, 0, -1, vcc
	v_cmp_eq_u32_e32 vcc, s37, v11
	v_cmp_ne_u32_e64 s[0:1], 0, v12
	v_cndmask_b32_e32 v9, v13, v9, vcc
	v_cmp_ne_u32_e32 vcc, 0, v9
	v_cndmask_b32_e64 v9, v16, v14, s[0:1]
	v_cndmask_b32_e64 v12, v17, v15, s[0:1]
	v_cndmask_b32_e32 v3, v3, v9, vcc
	v_xor_b32_e32 v9, s35, v7
	v_xor_b32_e32 v7, s34, v7
	v_cndmask_b32_e32 v5, v5, v12, vcc
	v_xor_b32_e32 v3, v3, v7
	v_xor_b32_e32 v5, v5, v9
	v_sub_co_u32_e32 v12, vcc, v3, v7
	v_subb_co_u32_e32 v13, vcc, v5, v9, vcc
.LBB72_33:                              ;   in Loop: Header=BB72_23 Depth=2
	s_andn2_saveexec_b64 s[0:1], s[30:31]
	s_cbranch_execz .LBB72_35
; %bb.34:                               ;   in Loop: Header=BB72_23 Depth=2
	v_cvt_f32_u32_e32 v3, s53
	s_sub_i32 s16, 0, s53
	v_mov_b32_e32 v13, v2
	v_rcp_iflag_f32_e32 v3, v3
	v_mul_f32_e32 v3, 0x4f7ffffe, v3
	v_cvt_u32_f32_e32 v3, v3
	v_mul_lo_u32 v5, s16, v3
	v_mul_hi_u32 v5, v3, v5
	v_add_u32_e32 v3, v3, v5
	v_mul_hi_u32 v3, v10, v3
	v_mul_lo_u32 v5, v3, s53
	v_sub_u32_e32 v5, v10, v5
	v_add_u32_e32 v7, 1, v3
	v_subrev_u32_e32 v9, s53, v5
	v_cmp_le_u32_e32 vcc, s53, v5
	v_cndmask_b32_e32 v5, v5, v9, vcc
	v_cndmask_b32_e32 v3, v3, v7, vcc
	v_add_u32_e32 v7, 1, v3
	v_cmp_le_u32_e32 vcc, s53, v5
	v_cndmask_b32_e32 v12, v3, v7, vcc
.LBB72_35:                              ;   in Loop: Header=BB72_23 Depth=2
	s_or_b64 exec, exec, s[0:1]
	s_add_u32 s0, s43, s28
	s_addc_u32 s1, s44, s29
	s_add_i32 s16, s26, 4
	s_lshl_b64 s[28:29], s[16:17], 2
	s_add_u32 s30, s39, s28
	s_addc_u32 s31, s40, s29
	s_load_dword s55, s[30:31], 0x0
	s_load_dword s56, s[0:1], 0x0
                                        ; implicit-def: $vgpr14_vgpr15
	s_waitcnt lgkmcnt(0)
	s_ashr_i32 s0, s55, 31
	v_or_b32_e32 v3, s0, v13
	v_cmp_ne_u64_e32 vcc, 0, v[2:3]
	s_and_saveexec_b64 s[30:31], vcc
	s_xor_b64 s[30:31], exec, s[30:31]
	s_cbranch_execz .LBB72_37
; %bb.36:                               ;   in Loop: Header=BB72_23 Depth=2
	s_add_u32 s36, s55, s0
	s_mov_b32 s34, s0
	s_mov_b32 s35, s0
	s_addc_u32 s37, s0, s0
	s_xor_b64 s[36:37], s[36:37], s[34:35]
	v_cvt_f32_u32_e32 v3, s36
	v_cvt_f32_u32_e32 v5, s37
	s_sub_u32 s0, 0, s36
	s_subb_u32 s1, 0, s37
	v_mac_f32_e32 v3, 0x4f800000, v5
	v_rcp_f32_e32 v3, v3
	v_mul_f32_e32 v3, 0x5f7ffffc, v3
	v_mul_f32_e32 v5, 0x2f800000, v3
	v_trunc_f32_e32 v5, v5
	v_mac_f32_e32 v3, 0xcf800000, v5
	v_cvt_u32_f32_e32 v5, v5
	v_cvt_u32_f32_e32 v3, v3
	v_mul_lo_u32 v7, s0, v5
	v_mul_hi_u32 v11, s0, v3
	v_mul_lo_u32 v9, s1, v3
	v_add_u32_e32 v7, v11, v7
	v_mul_lo_u32 v14, s0, v3
	v_add_u32_e32 v7, v7, v9
	v_mul_lo_u32 v11, v3, v7
	v_mul_hi_u32 v15, v3, v14
	v_mul_hi_u32 v9, v3, v7
	v_add_co_u32_e32 v11, vcc, v15, v11
	v_addc_co_u32_e32 v9, vcc, 0, v9, vcc
	v_mul_hi_u32 v16, v5, v14
	v_mul_lo_u32 v14, v5, v14
	v_add_co_u32_e32 v11, vcc, v11, v14
	v_mul_hi_u32 v15, v5, v7
	v_addc_co_u32_e32 v9, vcc, v9, v16, vcc
	v_addc_co_u32_e32 v11, vcc, 0, v15, vcc
	v_mul_lo_u32 v7, v5, v7
	v_add_co_u32_e32 v7, vcc, v9, v7
	v_addc_co_u32_e32 v9, vcc, 0, v11, vcc
	v_add_co_u32_e32 v3, vcc, v3, v7
	v_addc_co_u32_e32 v5, vcc, v5, v9, vcc
	v_mul_lo_u32 v7, s0, v5
	v_mul_hi_u32 v9, s0, v3
	v_add_u32_e32 v7, v9, v7
	v_mul_lo_u32 v9, s1, v3
	v_add_u32_e32 v7, v7, v9
	v_mul_lo_u32 v11, s0, v3
	v_mul_hi_u32 v14, v5, v11
	v_mul_lo_u32 v15, v5, v11
	v_mul_lo_u32 v17, v3, v7
	v_mul_hi_u32 v11, v3, v11
	v_mul_hi_u32 v16, v3, v7
	v_add_co_u32_e32 v11, vcc, v11, v17
	v_addc_co_u32_e32 v16, vcc, 0, v16, vcc
	v_add_co_u32_e32 v11, vcc, v11, v15
	v_mul_hi_u32 v9, v5, v7
	v_addc_co_u32_e32 v11, vcc, v16, v14, vcc
	v_addc_co_u32_e32 v9, vcc, 0, v9, vcc
	v_mul_lo_u32 v7, v5, v7
	v_add_co_u32_e32 v7, vcc, v11, v7
	v_addc_co_u32_e32 v9, vcc, 0, v9, vcc
	v_add_co_u32_e32 v3, vcc, v3, v7
	v_addc_co_u32_e32 v5, vcc, v5, v9, vcc
	v_ashrrev_i32_e32 v7, 31, v13
	v_add_co_u32_e32 v9, vcc, v12, v7
	v_xor_b32_e32 v9, v9, v7
	v_addc_co_u32_e32 v11, vcc, v13, v7, vcc
	v_mad_u64_u32 v[14:15], s[0:1], v9, v5, 0
	v_mul_hi_u32 v13, v9, v3
	v_xor_b32_e32 v11, v11, v7
	v_add_co_u32_e32 v13, vcc, v13, v14
	v_addc_co_u32_e32 v18, vcc, 0, v15, vcc
	v_mad_u64_u32 v[16:17], s[0:1], v11, v3, 0
	v_add_co_u32_e32 v3, vcc, v13, v16
	v_mad_u64_u32 v[14:15], s[0:1], v11, v5, 0
	v_addc_co_u32_e32 v3, vcc, v18, v17, vcc
	v_addc_co_u32_e32 v5, vcc, 0, v15, vcc
	v_add_co_u32_e32 v3, vcc, v3, v14
	v_addc_co_u32_e32 v5, vcc, 0, v5, vcc
	v_mul_lo_u32 v13, s37, v3
	v_mul_lo_u32 v16, s36, v5
	v_mad_u64_u32 v[14:15], s[0:1], s36, v3, 0
	v_add3_u32 v13, v15, v16, v13
	v_sub_u32_e32 v15, v11, v13
	v_mov_b32_e32 v16, s37
	v_sub_co_u32_e32 v9, vcc, v9, v14
	v_subb_co_u32_e64 v14, s[0:1], v15, v16, vcc
	v_subrev_co_u32_e64 v15, s[0:1], s36, v9
	v_subbrev_co_u32_e64 v14, s[0:1], 0, v14, s[0:1]
	v_cmp_le_u32_e64 s[0:1], s37, v14
	v_cndmask_b32_e64 v16, 0, -1, s[0:1]
	v_cmp_le_u32_e64 s[0:1], s36, v15
	v_cndmask_b32_e64 v15, 0, -1, s[0:1]
	v_cmp_eq_u32_e64 s[0:1], s37, v14
	v_cndmask_b32_e64 v14, v16, v15, s[0:1]
	v_add_co_u32_e64 v15, s[0:1], 2, v3
	v_subb_co_u32_e32 v11, vcc, v11, v13, vcc
	v_addc_co_u32_e64 v16, s[0:1], 0, v5, s[0:1]
	v_cmp_le_u32_e32 vcc, s37, v11
	v_add_co_u32_e64 v17, s[0:1], 1, v3
	v_cndmask_b32_e64 v13, 0, -1, vcc
	v_cmp_le_u32_e32 vcc, s36, v9
	v_addc_co_u32_e64 v18, s[0:1], 0, v5, s[0:1]
	v_cndmask_b32_e64 v9, 0, -1, vcc
	v_cmp_eq_u32_e32 vcc, s37, v11
	v_cmp_ne_u32_e64 s[0:1], 0, v14
	v_cndmask_b32_e32 v9, v13, v9, vcc
	v_cmp_ne_u32_e32 vcc, 0, v9
	v_cndmask_b32_e64 v9, v17, v15, s[0:1]
	v_cndmask_b32_e64 v14, v18, v16, s[0:1]
	v_cndmask_b32_e32 v3, v3, v9, vcc
	v_xor_b32_e32 v9, s35, v7
	v_xor_b32_e32 v7, s34, v7
	v_cndmask_b32_e32 v5, v5, v14, vcc
	v_xor_b32_e32 v3, v3, v7
	v_xor_b32_e32 v5, v5, v9
	v_sub_co_u32_e32 v14, vcc, v3, v7
	v_subb_co_u32_e32 v15, vcc, v5, v9, vcc
.LBB72_37:                              ;   in Loop: Header=BB72_23 Depth=2
	s_andn2_saveexec_b64 s[0:1], s[30:31]
	s_cbranch_execz .LBB72_39
; %bb.38:                               ;   in Loop: Header=BB72_23 Depth=2
	v_cvt_f32_u32_e32 v3, s55
	s_sub_i32 s16, 0, s55
	v_mov_b32_e32 v15, v2
	v_rcp_iflag_f32_e32 v3, v3
	v_mul_f32_e32 v3, 0x4f7ffffe, v3
	v_cvt_u32_f32_e32 v3, v3
	v_mul_lo_u32 v5, s16, v3
	v_mul_hi_u32 v5, v3, v5
	v_add_u32_e32 v3, v3, v5
	v_mul_hi_u32 v3, v12, v3
	v_mul_lo_u32 v5, v3, s55
	v_sub_u32_e32 v5, v12, v5
	v_add_u32_e32 v7, 1, v3
	v_subrev_u32_e32 v9, s55, v5
	v_cmp_le_u32_e32 vcc, s55, v5
	v_cndmask_b32_e32 v5, v5, v9, vcc
	v_cndmask_b32_e32 v3, v3, v7, vcc
	v_add_u32_e32 v7, 1, v3
	v_cmp_le_u32_e32 vcc, s55, v5
	v_cndmask_b32_e32 v14, v3, v7, vcc
.LBB72_39:                              ;   in Loop: Header=BB72_23 Depth=2
	s_or_b64 exec, exec, s[0:1]
	s_add_u32 s0, s43, s28
	s_addc_u32 s1, s44, s29
	s_add_i32 s16, s26, 3
	s_lshl_b64 s[28:29], s[16:17], 2
	s_add_u32 s30, s39, s28
	s_addc_u32 s31, s40, s29
	s_load_dword s57, s[30:31], 0x0
	s_load_dword s58, s[0:1], 0x0
                                        ; implicit-def: $vgpr16_vgpr17
	s_waitcnt lgkmcnt(0)
	s_ashr_i32 s0, s57, 31
	v_or_b32_e32 v3, s0, v15
	v_cmp_ne_u64_e32 vcc, 0, v[2:3]
	s_and_saveexec_b64 s[30:31], vcc
	s_xor_b64 s[30:31], exec, s[30:31]
	s_cbranch_execz .LBB72_41
; %bb.40:                               ;   in Loop: Header=BB72_23 Depth=2
	s_add_u32 s36, s57, s0
	s_mov_b32 s34, s0
	s_mov_b32 s35, s0
	s_addc_u32 s37, s0, s0
	s_xor_b64 s[36:37], s[36:37], s[34:35]
	v_cvt_f32_u32_e32 v3, s36
	v_cvt_f32_u32_e32 v5, s37
	s_sub_u32 s0, 0, s36
	s_subb_u32 s1, 0, s37
	v_mac_f32_e32 v3, 0x4f800000, v5
	v_rcp_f32_e32 v3, v3
	v_mul_f32_e32 v3, 0x5f7ffffc, v3
	v_mul_f32_e32 v5, 0x2f800000, v3
	v_trunc_f32_e32 v5, v5
	v_mac_f32_e32 v3, 0xcf800000, v5
	v_cvt_u32_f32_e32 v5, v5
	v_cvt_u32_f32_e32 v3, v3
	v_mul_lo_u32 v7, s0, v5
	v_mul_hi_u32 v11, s0, v3
	v_mul_lo_u32 v9, s1, v3
	v_add_u32_e32 v7, v11, v7
	v_mul_lo_u32 v13, s0, v3
	v_add_u32_e32 v7, v7, v9
	v_mul_lo_u32 v11, v3, v7
	v_mul_hi_u32 v16, v3, v13
	v_mul_hi_u32 v9, v3, v7
	v_add_co_u32_e32 v11, vcc, v16, v11
	v_addc_co_u32_e32 v9, vcc, 0, v9, vcc
	v_mul_hi_u32 v17, v5, v13
	v_mul_lo_u32 v13, v5, v13
	v_add_co_u32_e32 v11, vcc, v11, v13
	v_mul_hi_u32 v16, v5, v7
	v_addc_co_u32_e32 v9, vcc, v9, v17, vcc
	v_addc_co_u32_e32 v11, vcc, 0, v16, vcc
	v_mul_lo_u32 v7, v5, v7
	v_add_co_u32_e32 v7, vcc, v9, v7
	v_addc_co_u32_e32 v9, vcc, 0, v11, vcc
	v_add_co_u32_e32 v3, vcc, v3, v7
	v_addc_co_u32_e32 v5, vcc, v5, v9, vcc
	v_mul_lo_u32 v7, s0, v5
	v_mul_hi_u32 v9, s0, v3
	v_add_u32_e32 v7, v9, v7
	v_mul_lo_u32 v9, s1, v3
	v_add_u32_e32 v7, v7, v9
	v_mul_lo_u32 v11, s0, v3
	v_mul_hi_u32 v13, v5, v11
	v_mul_lo_u32 v16, v5, v11
	v_mul_lo_u32 v18, v3, v7
	v_mul_hi_u32 v11, v3, v11
	v_mul_hi_u32 v17, v3, v7
	v_add_co_u32_e32 v11, vcc, v11, v18
	v_addc_co_u32_e32 v17, vcc, 0, v17, vcc
	v_add_co_u32_e32 v11, vcc, v11, v16
	v_mul_hi_u32 v9, v5, v7
	v_addc_co_u32_e32 v11, vcc, v17, v13, vcc
	v_addc_co_u32_e32 v9, vcc, 0, v9, vcc
	v_mul_lo_u32 v7, v5, v7
	v_add_co_u32_e32 v7, vcc, v11, v7
	v_addc_co_u32_e32 v9, vcc, 0, v9, vcc
	v_add_co_u32_e32 v3, vcc, v3, v7
	v_addc_co_u32_e32 v5, vcc, v5, v9, vcc
	v_ashrrev_i32_e32 v7, 31, v15
	v_add_co_u32_e32 v9, vcc, v14, v7
	v_xor_b32_e32 v9, v9, v7
	v_addc_co_u32_e32 v11, vcc, v15, v7, vcc
	v_mad_u64_u32 v[16:17], s[0:1], v9, v5, 0
	v_mul_hi_u32 v13, v9, v3
	v_xor_b32_e32 v11, v11, v7
	v_add_co_u32_e32 v13, vcc, v13, v16
	v_addc_co_u32_e32 v15, vcc, 0, v17, vcc
	v_mad_u64_u32 v[18:19], s[0:1], v11, v3, 0
	v_add_co_u32_e32 v3, vcc, v13, v18
	v_mad_u64_u32 v[16:17], s[0:1], v11, v5, 0
	v_addc_co_u32_e32 v3, vcc, v15, v19, vcc
	v_addc_co_u32_e32 v5, vcc, 0, v17, vcc
	v_add_co_u32_e32 v3, vcc, v3, v16
	v_addc_co_u32_e32 v5, vcc, 0, v5, vcc
	v_mul_lo_u32 v13, s37, v3
	v_mul_lo_u32 v15, s36, v5
	v_mad_u64_u32 v[16:17], s[0:1], s36, v3, 0
	v_add3_u32 v13, v17, v15, v13
	v_sub_u32_e32 v15, v11, v13
	v_mov_b32_e32 v17, s37
	v_sub_co_u32_e32 v9, vcc, v9, v16
	v_subb_co_u32_e64 v15, s[0:1], v15, v17, vcc
	v_subrev_co_u32_e64 v16, s[0:1], s36, v9
	v_subbrev_co_u32_e64 v15, s[0:1], 0, v15, s[0:1]
	v_cmp_le_u32_e64 s[0:1], s37, v15
	v_cndmask_b32_e64 v17, 0, -1, s[0:1]
	v_cmp_le_u32_e64 s[0:1], s36, v16
	v_cndmask_b32_e64 v16, 0, -1, s[0:1]
	v_cmp_eq_u32_e64 s[0:1], s37, v15
	v_cndmask_b32_e64 v15, v17, v16, s[0:1]
	v_add_co_u32_e64 v16, s[0:1], 2, v3
	v_subb_co_u32_e32 v11, vcc, v11, v13, vcc
	v_addc_co_u32_e64 v17, s[0:1], 0, v5, s[0:1]
	v_cmp_le_u32_e32 vcc, s37, v11
	v_add_co_u32_e64 v18, s[0:1], 1, v3
	v_cndmask_b32_e64 v13, 0, -1, vcc
	v_cmp_le_u32_e32 vcc, s36, v9
	v_addc_co_u32_e64 v19, s[0:1], 0, v5, s[0:1]
	v_cndmask_b32_e64 v9, 0, -1, vcc
	v_cmp_eq_u32_e32 vcc, s37, v11
	v_cmp_ne_u32_e64 s[0:1], 0, v15
	v_cndmask_b32_e32 v9, v13, v9, vcc
	v_cmp_ne_u32_e32 vcc, 0, v9
	v_cndmask_b32_e64 v9, v18, v16, s[0:1]
	v_cndmask_b32_e64 v15, v19, v17, s[0:1]
	v_cndmask_b32_e32 v3, v3, v9, vcc
	v_xor_b32_e32 v9, s35, v7
	v_xor_b32_e32 v7, s34, v7
	v_cndmask_b32_e32 v5, v5, v15, vcc
	v_xor_b32_e32 v3, v3, v7
	v_xor_b32_e32 v5, v5, v9
	v_sub_co_u32_e32 v16, vcc, v3, v7
	v_subb_co_u32_e32 v17, vcc, v5, v9, vcc
.LBB72_41:                              ;   in Loop: Header=BB72_23 Depth=2
	s_andn2_saveexec_b64 s[0:1], s[30:31]
	s_cbranch_execz .LBB72_43
; %bb.42:                               ;   in Loop: Header=BB72_23 Depth=2
	v_cvt_f32_u32_e32 v3, s57
	s_sub_i32 s16, 0, s57
	v_mov_b32_e32 v17, v2
	v_rcp_iflag_f32_e32 v3, v3
	v_mul_f32_e32 v3, 0x4f7ffffe, v3
	v_cvt_u32_f32_e32 v3, v3
	v_mul_lo_u32 v5, s16, v3
	v_mul_hi_u32 v5, v3, v5
	v_add_u32_e32 v3, v3, v5
	v_mul_hi_u32 v3, v14, v3
	v_mul_lo_u32 v5, v3, s57
	v_sub_u32_e32 v5, v14, v5
	v_add_u32_e32 v7, 1, v3
	v_subrev_u32_e32 v9, s57, v5
	v_cmp_le_u32_e32 vcc, s57, v5
	v_cndmask_b32_e32 v5, v5, v9, vcc
	v_cndmask_b32_e32 v3, v3, v7, vcc
	v_add_u32_e32 v7, 1, v3
	v_cmp_le_u32_e32 vcc, s57, v5
	v_cndmask_b32_e32 v16, v3, v7, vcc
.LBB72_43:                              ;   in Loop: Header=BB72_23 Depth=2
	s_or_b64 exec, exec, s[0:1]
	s_add_u32 s0, s43, s28
	s_addc_u32 s1, s44, s29
	s_add_i32 s16, s26, 2
	s_lshl_b64 s[28:29], s[16:17], 2
	s_add_u32 s30, s39, s28
	s_addc_u32 s31, s40, s29
	s_load_dword s59, s[30:31], 0x0
	s_load_dword s60, s[0:1], 0x0
                                        ; implicit-def: $vgpr18_vgpr19
	s_waitcnt lgkmcnt(0)
	s_ashr_i32 s0, s59, 31
	v_or_b32_e32 v3, s0, v17
	v_cmp_ne_u64_e32 vcc, 0, v[2:3]
	s_and_saveexec_b64 s[30:31], vcc
	s_xor_b64 s[30:31], exec, s[30:31]
	s_cbranch_execz .LBB72_45
; %bb.44:                               ;   in Loop: Header=BB72_23 Depth=2
	s_add_u32 s36, s59, s0
	s_mov_b32 s34, s0
	s_mov_b32 s35, s0
	s_addc_u32 s37, s0, s0
	s_xor_b64 s[36:37], s[36:37], s[34:35]
	v_cvt_f32_u32_e32 v3, s36
	v_cvt_f32_u32_e32 v5, s37
	s_sub_u32 s0, 0, s36
	s_subb_u32 s1, 0, s37
	v_mac_f32_e32 v3, 0x4f800000, v5
	v_rcp_f32_e32 v3, v3
	v_mul_f32_e32 v3, 0x5f7ffffc, v3
	v_mul_f32_e32 v5, 0x2f800000, v3
	v_trunc_f32_e32 v5, v5
	v_mac_f32_e32 v3, 0xcf800000, v5
	v_cvt_u32_f32_e32 v5, v5
	v_cvt_u32_f32_e32 v3, v3
	v_mul_lo_u32 v7, s0, v5
	v_mul_hi_u32 v11, s0, v3
	v_mul_lo_u32 v9, s1, v3
	v_add_u32_e32 v7, v11, v7
	v_mul_lo_u32 v13, s0, v3
	v_add_u32_e32 v7, v7, v9
	v_mul_lo_u32 v11, v3, v7
	v_mul_hi_u32 v15, v3, v13
	v_mul_hi_u32 v9, v3, v7
	v_add_co_u32_e32 v11, vcc, v15, v11
	v_addc_co_u32_e32 v9, vcc, 0, v9, vcc
	v_mul_hi_u32 v18, v5, v13
	v_mul_lo_u32 v13, v5, v13
	v_add_co_u32_e32 v11, vcc, v11, v13
	v_mul_hi_u32 v15, v5, v7
	v_addc_co_u32_e32 v9, vcc, v9, v18, vcc
	v_addc_co_u32_e32 v11, vcc, 0, v15, vcc
	v_mul_lo_u32 v7, v5, v7
	v_add_co_u32_e32 v7, vcc, v9, v7
	v_addc_co_u32_e32 v9, vcc, 0, v11, vcc
	v_add_co_u32_e32 v3, vcc, v3, v7
	v_addc_co_u32_e32 v5, vcc, v5, v9, vcc
	v_mul_lo_u32 v7, s0, v5
	v_mul_hi_u32 v9, s0, v3
	v_add_u32_e32 v7, v9, v7
	v_mul_lo_u32 v9, s1, v3
	v_add_u32_e32 v7, v7, v9
	v_mul_lo_u32 v11, s0, v3
	v_mul_hi_u32 v13, v5, v11
	v_mul_lo_u32 v15, v5, v11
	v_mul_lo_u32 v19, v3, v7
	v_mul_hi_u32 v11, v3, v11
	v_mul_hi_u32 v18, v3, v7
	v_add_co_u32_e32 v11, vcc, v11, v19
	v_addc_co_u32_e32 v18, vcc, 0, v18, vcc
	v_add_co_u32_e32 v11, vcc, v11, v15
	v_mul_hi_u32 v9, v5, v7
	v_addc_co_u32_e32 v11, vcc, v18, v13, vcc
	v_addc_co_u32_e32 v9, vcc, 0, v9, vcc
	v_mul_lo_u32 v7, v5, v7
	v_add_co_u32_e32 v7, vcc, v11, v7
	v_addc_co_u32_e32 v9, vcc, 0, v9, vcc
	v_add_co_u32_e32 v3, vcc, v3, v7
	v_addc_co_u32_e32 v5, vcc, v5, v9, vcc
	v_ashrrev_i32_e32 v7, 31, v17
	v_add_co_u32_e32 v9, vcc, v16, v7
	v_xor_b32_e32 v9, v9, v7
	v_addc_co_u32_e32 v11, vcc, v17, v7, vcc
	v_mad_u64_u32 v[18:19], s[0:1], v9, v5, 0
	v_mul_hi_u32 v13, v9, v3
	v_xor_b32_e32 v11, v11, v7
	v_add_co_u32_e32 v13, vcc, v13, v18
	v_addc_co_u32_e32 v15, vcc, 0, v19, vcc
	v_mad_u64_u32 v[20:21], s[0:1], v11, v3, 0
	v_add_co_u32_e32 v3, vcc, v13, v20
	v_mad_u64_u32 v[18:19], s[0:1], v11, v5, 0
	v_addc_co_u32_e32 v3, vcc, v15, v21, vcc
	v_addc_co_u32_e32 v5, vcc, 0, v19, vcc
	v_add_co_u32_e32 v3, vcc, v3, v18
	v_addc_co_u32_e32 v5, vcc, 0, v5, vcc
	v_mul_lo_u32 v13, s37, v3
	v_mul_lo_u32 v15, s36, v5
	v_mad_u64_u32 v[18:19], s[0:1], s36, v3, 0
	v_add3_u32 v13, v19, v15, v13
	v_sub_u32_e32 v15, v11, v13
	v_mov_b32_e32 v17, s37
	v_sub_co_u32_e32 v9, vcc, v9, v18
	v_subb_co_u32_e64 v15, s[0:1], v15, v17, vcc
	v_subrev_co_u32_e64 v17, s[0:1], s36, v9
	v_subbrev_co_u32_e64 v15, s[0:1], 0, v15, s[0:1]
	v_cmp_le_u32_e64 s[0:1], s37, v15
	v_cndmask_b32_e64 v18, 0, -1, s[0:1]
	v_cmp_le_u32_e64 s[0:1], s36, v17
	v_cndmask_b32_e64 v17, 0, -1, s[0:1]
	v_cmp_eq_u32_e64 s[0:1], s37, v15
	v_cndmask_b32_e64 v15, v18, v17, s[0:1]
	v_add_co_u32_e64 v17, s[0:1], 2, v3
	v_subb_co_u32_e32 v11, vcc, v11, v13, vcc
	v_addc_co_u32_e64 v18, s[0:1], 0, v5, s[0:1]
	v_cmp_le_u32_e32 vcc, s37, v11
	v_add_co_u32_e64 v19, s[0:1], 1, v3
	v_cndmask_b32_e64 v13, 0, -1, vcc
	v_cmp_le_u32_e32 vcc, s36, v9
	v_addc_co_u32_e64 v20, s[0:1], 0, v5, s[0:1]
	v_cndmask_b32_e64 v9, 0, -1, vcc
	v_cmp_eq_u32_e32 vcc, s37, v11
	v_cmp_ne_u32_e64 s[0:1], 0, v15
	v_cndmask_b32_e32 v9, v13, v9, vcc
	v_cmp_ne_u32_e32 vcc, 0, v9
	v_cndmask_b32_e64 v9, v19, v17, s[0:1]
	v_cndmask_b32_e64 v15, v20, v18, s[0:1]
	v_cndmask_b32_e32 v3, v3, v9, vcc
	v_xor_b32_e32 v9, s35, v7
	v_xor_b32_e32 v7, s34, v7
	v_cndmask_b32_e32 v5, v5, v15, vcc
	v_xor_b32_e32 v3, v3, v7
	v_xor_b32_e32 v5, v5, v9
	v_sub_co_u32_e32 v18, vcc, v3, v7
	v_subb_co_u32_e32 v19, vcc, v5, v9, vcc
.LBB72_45:                              ;   in Loop: Header=BB72_23 Depth=2
	s_andn2_saveexec_b64 s[0:1], s[30:31]
	s_cbranch_execz .LBB72_47
; %bb.46:                               ;   in Loop: Header=BB72_23 Depth=2
	v_cvt_f32_u32_e32 v3, s59
	s_sub_i32 s16, 0, s59
	v_mov_b32_e32 v19, v2
	v_rcp_iflag_f32_e32 v3, v3
	v_mul_f32_e32 v3, 0x4f7ffffe, v3
	v_cvt_u32_f32_e32 v3, v3
	v_mul_lo_u32 v5, s16, v3
	v_mul_hi_u32 v5, v3, v5
	v_add_u32_e32 v3, v3, v5
	v_mul_hi_u32 v3, v16, v3
	v_mul_lo_u32 v5, v3, s59
	v_sub_u32_e32 v5, v16, v5
	v_add_u32_e32 v7, 1, v3
	v_subrev_u32_e32 v9, s59, v5
	v_cmp_le_u32_e32 vcc, s59, v5
	v_cndmask_b32_e32 v5, v5, v9, vcc
	v_cndmask_b32_e32 v3, v3, v7, vcc
	v_add_u32_e32 v7, 1, v3
	v_cmp_le_u32_e32 vcc, s59, v5
	v_cndmask_b32_e32 v18, v3, v7, vcc
.LBB72_47:                              ;   in Loop: Header=BB72_23 Depth=2
	s_or_b64 exec, exec, s[0:1]
	s_add_u32 s0, s43, s28
	s_addc_u32 s1, s44, s29
	s_add_i32 s16, s26, 1
	s_lshl_b64 s[28:29], s[16:17], 2
	s_add_u32 s30, s39, s28
	s_addc_u32 s31, s40, s29
	s_load_dword s16, s[30:31], 0x0
	s_load_dword s61, s[0:1], 0x0
                                        ; implicit-def: $vgpr20_vgpr21
	s_waitcnt lgkmcnt(0)
	s_ashr_i32 s0, s16, 31
	v_or_b32_e32 v3, s0, v19
	v_cmp_ne_u64_e32 vcc, 0, v[2:3]
	s_and_saveexec_b64 s[30:31], vcc
	s_xor_b64 s[30:31], exec, s[30:31]
	s_cbranch_execz .LBB72_49
; %bb.48:                               ;   in Loop: Header=BB72_23 Depth=2
	s_add_u32 s36, s16, s0
	s_mov_b32 s34, s0
	s_mov_b32 s35, s0
	s_addc_u32 s37, s0, s0
	s_xor_b64 s[36:37], s[36:37], s[34:35]
	v_cvt_f32_u32_e32 v3, s36
	v_cvt_f32_u32_e32 v5, s37
	s_sub_u32 s0, 0, s36
	s_subb_u32 s1, 0, s37
	v_mac_f32_e32 v3, 0x4f800000, v5
	v_rcp_f32_e32 v3, v3
	v_mul_f32_e32 v3, 0x5f7ffffc, v3
	v_mul_f32_e32 v5, 0x2f800000, v3
	v_trunc_f32_e32 v5, v5
	v_mac_f32_e32 v3, 0xcf800000, v5
	v_cvt_u32_f32_e32 v5, v5
	v_cvt_u32_f32_e32 v3, v3
	v_mul_lo_u32 v7, s0, v5
	v_mul_hi_u32 v11, s0, v3
	v_mul_lo_u32 v9, s1, v3
	v_add_u32_e32 v7, v11, v7
	v_mul_lo_u32 v13, s0, v3
	v_add_u32_e32 v7, v7, v9
	v_mul_lo_u32 v11, v3, v7
	v_mul_hi_u32 v15, v3, v13
	v_mul_hi_u32 v9, v3, v7
	v_add_co_u32_e32 v11, vcc, v15, v11
	v_addc_co_u32_e32 v9, vcc, 0, v9, vcc
	v_mul_hi_u32 v17, v5, v13
	v_mul_lo_u32 v13, v5, v13
	v_add_co_u32_e32 v11, vcc, v11, v13
	v_mul_hi_u32 v15, v5, v7
	v_addc_co_u32_e32 v9, vcc, v9, v17, vcc
	v_addc_co_u32_e32 v11, vcc, 0, v15, vcc
	v_mul_lo_u32 v7, v5, v7
	v_add_co_u32_e32 v7, vcc, v9, v7
	v_addc_co_u32_e32 v9, vcc, 0, v11, vcc
	v_add_co_u32_e32 v3, vcc, v3, v7
	v_addc_co_u32_e32 v5, vcc, v5, v9, vcc
	v_mul_lo_u32 v7, s0, v5
	v_mul_hi_u32 v9, s0, v3
	v_add_u32_e32 v7, v9, v7
	v_mul_lo_u32 v9, s1, v3
	v_add_u32_e32 v7, v7, v9
	v_mul_lo_u32 v11, s0, v3
	v_mul_hi_u32 v13, v5, v11
	v_mul_lo_u32 v15, v5, v11
	v_mul_lo_u32 v20, v3, v7
	v_mul_hi_u32 v11, v3, v11
	v_mul_hi_u32 v17, v3, v7
	v_add_co_u32_e32 v11, vcc, v11, v20
	v_addc_co_u32_e32 v17, vcc, 0, v17, vcc
	v_add_co_u32_e32 v11, vcc, v11, v15
	v_mul_hi_u32 v9, v5, v7
	v_addc_co_u32_e32 v11, vcc, v17, v13, vcc
	v_addc_co_u32_e32 v9, vcc, 0, v9, vcc
	v_mul_lo_u32 v7, v5, v7
	v_add_co_u32_e32 v7, vcc, v11, v7
	v_addc_co_u32_e32 v9, vcc, 0, v9, vcc
	v_add_co_u32_e32 v3, vcc, v3, v7
	v_addc_co_u32_e32 v5, vcc, v5, v9, vcc
	v_ashrrev_i32_e32 v7, 31, v19
	v_add_co_u32_e32 v9, vcc, v18, v7
	v_xor_b32_e32 v9, v9, v7
	v_addc_co_u32_e32 v11, vcc, v19, v7, vcc
	v_mad_u64_u32 v[20:21], s[0:1], v9, v5, 0
	v_mul_hi_u32 v13, v9, v3
	v_xor_b32_e32 v11, v11, v7
	v_add_co_u32_e32 v13, vcc, v13, v20
	v_addc_co_u32_e32 v15, vcc, 0, v21, vcc
	v_mad_u64_u32 v[22:23], s[0:1], v11, v3, 0
	v_add_co_u32_e32 v3, vcc, v13, v22
	v_mad_u64_u32 v[20:21], s[0:1], v11, v5, 0
	v_addc_co_u32_e32 v3, vcc, v15, v23, vcc
	v_addc_co_u32_e32 v5, vcc, 0, v21, vcc
	v_add_co_u32_e32 v3, vcc, v3, v20
	v_addc_co_u32_e32 v5, vcc, 0, v5, vcc
	v_mul_lo_u32 v13, s37, v3
	v_mul_lo_u32 v15, s36, v5
	v_mad_u64_u32 v[20:21], s[0:1], s36, v3, 0
	v_add3_u32 v13, v21, v15, v13
	v_sub_u32_e32 v15, v11, v13
	v_mov_b32_e32 v17, s37
	v_sub_co_u32_e32 v9, vcc, v9, v20
	v_subb_co_u32_e64 v15, s[0:1], v15, v17, vcc
	v_subrev_co_u32_e64 v17, s[0:1], s36, v9
	v_subbrev_co_u32_e64 v15, s[0:1], 0, v15, s[0:1]
	v_cmp_le_u32_e64 s[0:1], s37, v15
	v_cndmask_b32_e64 v19, 0, -1, s[0:1]
	v_cmp_le_u32_e64 s[0:1], s36, v17
	v_cndmask_b32_e64 v17, 0, -1, s[0:1]
	v_cmp_eq_u32_e64 s[0:1], s37, v15
	v_cndmask_b32_e64 v15, v19, v17, s[0:1]
	v_add_co_u32_e64 v17, s[0:1], 2, v3
	v_subb_co_u32_e32 v11, vcc, v11, v13, vcc
	v_addc_co_u32_e64 v19, s[0:1], 0, v5, s[0:1]
	v_cmp_le_u32_e32 vcc, s37, v11
	v_add_co_u32_e64 v20, s[0:1], 1, v3
	v_cndmask_b32_e64 v13, 0, -1, vcc
	v_cmp_le_u32_e32 vcc, s36, v9
	v_addc_co_u32_e64 v21, s[0:1], 0, v5, s[0:1]
	v_cndmask_b32_e64 v9, 0, -1, vcc
	v_cmp_eq_u32_e32 vcc, s37, v11
	v_cmp_ne_u32_e64 s[0:1], 0, v15
	v_cndmask_b32_e32 v9, v13, v9, vcc
	v_cmp_ne_u32_e32 vcc, 0, v9
	v_cndmask_b32_e64 v9, v20, v17, s[0:1]
	v_cndmask_b32_e64 v15, v21, v19, s[0:1]
	v_cndmask_b32_e32 v3, v3, v9, vcc
	v_xor_b32_e32 v9, s35, v7
	v_xor_b32_e32 v7, s34, v7
	v_cndmask_b32_e32 v5, v5, v15, vcc
	v_xor_b32_e32 v3, v3, v7
	v_xor_b32_e32 v5, v5, v9
	v_sub_co_u32_e32 v20, vcc, v3, v7
	v_subb_co_u32_e32 v21, vcc, v5, v9, vcc
.LBB72_49:                              ;   in Loop: Header=BB72_23 Depth=2
	s_andn2_saveexec_b64 s[0:1], s[30:31]
	s_cbranch_execz .LBB72_51
; %bb.50:                               ;   in Loop: Header=BB72_23 Depth=2
	v_cvt_f32_u32_e32 v3, s16
	s_sub_i32 s27, 0, s16
	v_mov_b32_e32 v21, v2
	v_rcp_iflag_f32_e32 v3, v3
	v_mul_f32_e32 v3, 0x4f7ffffe, v3
	v_cvt_u32_f32_e32 v3, v3
	v_mul_lo_u32 v5, s27, v3
	v_mul_hi_u32 v5, v3, v5
	v_add_u32_e32 v3, v3, v5
	v_mul_hi_u32 v3, v18, v3
	v_mul_lo_u32 v5, v3, s16
	v_sub_u32_e32 v5, v18, v5
	v_add_u32_e32 v7, 1, v3
	v_subrev_u32_e32 v9, s16, v5
	v_cmp_le_u32_e32 vcc, s16, v5
	v_cndmask_b32_e32 v5, v5, v9, vcc
	v_cndmask_b32_e32 v3, v3, v7, vcc
	v_add_u32_e32 v7, 1, v3
	v_cmp_le_u32_e32 vcc, s16, v5
	v_cndmask_b32_e32 v20, v3, v7, vcc
.LBB72_51:                              ;   in Loop: Header=BB72_23 Depth=2
	s_or_b64 exec, exec, s[0:1]
	s_add_u32 s0, s43, s28
	s_mov_b32 s27, s17
	s_addc_u32 s1, s44, s29
	s_lshl_b64 s[28:29], s[26:27], 2
	s_add_u32 s30, s39, s28
	s_addc_u32 s31, s40, s29
	s_load_dword s27, s[30:31], 0x0
	s_load_dword s62, s[0:1], 0x0
                                        ; implicit-def: $vgpr22_vgpr23
	s_waitcnt lgkmcnt(0)
	s_ashr_i32 s0, s27, 31
	v_or_b32_e32 v3, s0, v21
	v_cmp_ne_u64_e32 vcc, 0, v[2:3]
	s_and_saveexec_b64 s[30:31], vcc
	s_xor_b64 s[30:31], exec, s[30:31]
	s_cbranch_execz .LBB72_53
; %bb.52:                               ;   in Loop: Header=BB72_23 Depth=2
	s_add_u32 s36, s27, s0
	s_mov_b32 s34, s0
	s_mov_b32 s35, s0
	s_addc_u32 s37, s0, s0
	s_xor_b64 s[36:37], s[36:37], s[34:35]
	v_cvt_f32_u32_e32 v3, s36
	v_cvt_f32_u32_e32 v5, s37
	s_sub_u32 s0, 0, s36
	s_subb_u32 s1, 0, s37
	v_mac_f32_e32 v3, 0x4f800000, v5
	v_rcp_f32_e32 v3, v3
	v_mul_f32_e32 v3, 0x5f7ffffc, v3
	v_mul_f32_e32 v5, 0x2f800000, v3
	v_trunc_f32_e32 v5, v5
	v_mac_f32_e32 v3, 0xcf800000, v5
	v_cvt_u32_f32_e32 v5, v5
	v_cvt_u32_f32_e32 v3, v3
	v_mul_lo_u32 v7, s0, v5
	v_mul_hi_u32 v11, s0, v3
	v_mul_lo_u32 v9, s1, v3
	v_add_u32_e32 v7, v11, v7
	v_mul_lo_u32 v13, s0, v3
	v_add_u32_e32 v7, v7, v9
	v_mul_lo_u32 v11, v3, v7
	v_mul_hi_u32 v15, v3, v13
	v_mul_hi_u32 v9, v3, v7
	v_add_co_u32_e32 v11, vcc, v15, v11
	v_addc_co_u32_e32 v9, vcc, 0, v9, vcc
	v_mul_hi_u32 v17, v5, v13
	v_mul_lo_u32 v13, v5, v13
	v_add_co_u32_e32 v11, vcc, v11, v13
	v_mul_hi_u32 v15, v5, v7
	v_addc_co_u32_e32 v9, vcc, v9, v17, vcc
	v_addc_co_u32_e32 v11, vcc, 0, v15, vcc
	v_mul_lo_u32 v7, v5, v7
	v_add_co_u32_e32 v7, vcc, v9, v7
	v_addc_co_u32_e32 v9, vcc, 0, v11, vcc
	v_add_co_u32_e32 v3, vcc, v3, v7
	v_addc_co_u32_e32 v5, vcc, v5, v9, vcc
	v_mul_lo_u32 v7, s0, v5
	v_mul_hi_u32 v9, s0, v3
	v_add_u32_e32 v7, v9, v7
	v_mul_lo_u32 v9, s1, v3
	v_add_u32_e32 v7, v7, v9
	v_mul_lo_u32 v11, s0, v3
	v_mul_hi_u32 v13, v5, v11
	v_mul_lo_u32 v15, v5, v11
	v_mul_lo_u32 v19, v3, v7
	v_mul_hi_u32 v11, v3, v11
	v_mul_hi_u32 v17, v3, v7
	v_add_co_u32_e32 v11, vcc, v11, v19
	v_addc_co_u32_e32 v17, vcc, 0, v17, vcc
	v_add_co_u32_e32 v11, vcc, v11, v15
	v_mul_hi_u32 v9, v5, v7
	v_addc_co_u32_e32 v11, vcc, v17, v13, vcc
	v_addc_co_u32_e32 v9, vcc, 0, v9, vcc
	v_mul_lo_u32 v7, v5, v7
	v_add_co_u32_e32 v7, vcc, v11, v7
	v_addc_co_u32_e32 v9, vcc, 0, v9, vcc
	v_add_co_u32_e32 v3, vcc, v3, v7
	v_addc_co_u32_e32 v5, vcc, v5, v9, vcc
	v_ashrrev_i32_e32 v7, 31, v21
	v_add_co_u32_e32 v9, vcc, v20, v7
	v_xor_b32_e32 v9, v9, v7
	v_addc_co_u32_e32 v11, vcc, v21, v7, vcc
	v_mad_u64_u32 v[22:23], s[0:1], v9, v5, 0
	v_mul_hi_u32 v13, v9, v3
	v_xor_b32_e32 v11, v11, v7
	v_add_co_u32_e32 v13, vcc, v13, v22
	v_addc_co_u32_e32 v15, vcc, 0, v23, vcc
	v_mad_u64_u32 v[28:29], s[0:1], v11, v3, 0
	v_add_co_u32_e32 v3, vcc, v13, v28
	v_mad_u64_u32 v[22:23], s[0:1], v11, v5, 0
	v_addc_co_u32_e32 v3, vcc, v15, v29, vcc
	v_addc_co_u32_e32 v5, vcc, 0, v23, vcc
	v_add_co_u32_e32 v3, vcc, v3, v22
	v_addc_co_u32_e32 v5, vcc, 0, v5, vcc
	v_mul_lo_u32 v13, s37, v3
	v_mul_lo_u32 v15, s36, v5
	v_mad_u64_u32 v[22:23], s[0:1], s36, v3, 0
	v_add3_u32 v13, v23, v15, v13
	v_sub_u32_e32 v15, v11, v13
	v_mov_b32_e32 v17, s37
	v_sub_co_u32_e32 v9, vcc, v9, v22
	v_subb_co_u32_e64 v15, s[0:1], v15, v17, vcc
	v_subrev_co_u32_e64 v17, s[0:1], s36, v9
	v_subbrev_co_u32_e64 v15, s[0:1], 0, v15, s[0:1]
	v_cmp_le_u32_e64 s[0:1], s37, v15
	v_cndmask_b32_e64 v19, 0, -1, s[0:1]
	v_cmp_le_u32_e64 s[0:1], s36, v17
	v_cndmask_b32_e64 v17, 0, -1, s[0:1]
	v_cmp_eq_u32_e64 s[0:1], s37, v15
	v_cndmask_b32_e64 v15, v19, v17, s[0:1]
	v_add_co_u32_e64 v17, s[0:1], 2, v3
	v_subb_co_u32_e32 v11, vcc, v11, v13, vcc
	v_addc_co_u32_e64 v19, s[0:1], 0, v5, s[0:1]
	v_cmp_le_u32_e32 vcc, s37, v11
	v_add_co_u32_e64 v21, s[0:1], 1, v3
	v_cndmask_b32_e64 v13, 0, -1, vcc
	v_cmp_le_u32_e32 vcc, s36, v9
	v_addc_co_u32_e64 v22, s[0:1], 0, v5, s[0:1]
	v_cndmask_b32_e64 v9, 0, -1, vcc
	v_cmp_eq_u32_e32 vcc, s37, v11
	v_cmp_ne_u32_e64 s[0:1], 0, v15
	v_cndmask_b32_e32 v9, v13, v9, vcc
	v_cmp_ne_u32_e32 vcc, 0, v9
	v_cndmask_b32_e64 v9, v21, v17, s[0:1]
	v_cndmask_b32_e64 v15, v22, v19, s[0:1]
	v_cndmask_b32_e32 v3, v3, v9, vcc
	v_xor_b32_e32 v9, s35, v7
	v_xor_b32_e32 v7, s34, v7
	v_cndmask_b32_e32 v5, v5, v15, vcc
	v_xor_b32_e32 v3, v3, v7
	v_xor_b32_e32 v5, v5, v9
	v_sub_co_u32_e32 v22, vcc, v3, v7
	v_subb_co_u32_e32 v23, vcc, v5, v9, vcc
.LBB72_53:                              ;   in Loop: Header=BB72_23 Depth=2
	s_andn2_saveexec_b64 s[0:1], s[30:31]
	s_cbranch_execz .LBB72_55
; %bb.54:                               ;   in Loop: Header=BB72_23 Depth=2
	v_cvt_f32_u32_e32 v3, s27
	s_sub_i32 s30, 0, s27
	v_mov_b32_e32 v23, v2
	v_rcp_iflag_f32_e32 v3, v3
	v_mul_f32_e32 v3, 0x4f7ffffe, v3
	v_cvt_u32_f32_e32 v3, v3
	v_mul_lo_u32 v5, s30, v3
	v_mul_hi_u32 v5, v3, v5
	v_add_u32_e32 v3, v3, v5
	v_mul_hi_u32 v3, v20, v3
	v_mul_lo_u32 v5, v3, s27
	v_sub_u32_e32 v5, v20, v5
	v_add_u32_e32 v7, 1, v3
	v_subrev_u32_e32 v9, s27, v5
	v_cmp_le_u32_e32 vcc, s27, v5
	v_cndmask_b32_e32 v5, v5, v9, vcc
	v_cndmask_b32_e32 v3, v3, v7, vcc
	v_add_u32_e32 v7, 1, v3
	v_cmp_le_u32_e32 vcc, s27, v5
	v_cndmask_b32_e32 v22, v3, v7, vcc
.LBB72_55:                              ;   in Loop: Header=BB72_23 Depth=2
	s_or_b64 exec, exec, s[0:1]
	v_mul_lo_u32 v3, v8, s50
	v_mul_lo_u32 v5, v10, s51
	v_sub_u32_e32 v3, v6, v3
	v_sub_u32_e32 v5, v8, v5
	v_mul_lo_u32 v3, s52, v3
	v_mul_lo_u32 v5, s54, v5
	v_add3_u32 v3, v3, v4, v5
	v_mul_lo_u32 v4, v12, s53
	v_mul_lo_u32 v5, v14, s55
	v_sub_u32_e32 v4, v10, v4
	v_sub_u32_e32 v5, v12, v5
	s_add_u32 s0, s43, s28
	v_mul_lo_u32 v4, s56, v4
	v_mul_lo_u32 v5, s58, v5
	s_addc_u32 s1, s44, s29
	v_add3_u32 v3, v4, v3, v5
	v_mul_lo_u32 v4, v16, s57
	v_mul_lo_u32 v5, v18, s59
	s_load_dword s0, s[0:1], 0x0
	v_sub_u32_e32 v4, v14, v4
	v_sub_u32_e32 v5, v16, v5
	v_mul_lo_u32 v4, s60, v4
	v_mul_lo_u32 v5, s61, v5
	v_add3_u32 v3, v4, v3, v5
	v_mul_lo_u32 v4, v20, s16
	v_mul_lo_u32 v5, v22, s27
	v_sub_u32_e32 v4, v18, v4
	v_sub_u32_e32 v5, v20, v5
	v_mul_lo_u32 v4, s62, v4
	s_waitcnt lgkmcnt(0)
	v_mul_lo_u32 v5, s0, v5
	s_add_i32 s26, s26, -8
	s_cmp_eq_u32 s26, -8
	v_add3_u32 v4, v4, v3, v5
	s_cbranch_scc1 .LBB72_57
; %bb.56:                               ;   in Loop: Header=BB72_23 Depth=2
	v_pk_mov_b32 v[6:7], v[22:23], v[22:23] op_sel:[0,1]
	s_branch .LBB72_23
.LBB72_57:                              ;   in Loop: Header=BB72_3 Depth=1
	s_load_dword s0, s[14:15], 0x0
	s_waitcnt lgkmcnt(0)
	v_cmp_gt_i32_e32 vcc, s0, v26
	s_and_b64 exec, exec, vcc
	s_cbranch_execz .LBB72_2
; %bb.58:                               ;   in Loop: Header=BB72_3 Depth=1
	v_ashrrev_i32_e32 v5, 31, v4
	v_lshlrev_b64 v[6:7], 3, v[4:5]
	v_mov_b32_e32 v3, s3
	v_add_co_u32_e32 v6, vcc, s2, v6
	v_addc_co_u32_e32 v7, vcc, v3, v7, vcc
	v_mov_b32_e32 v3, v2
	global_store_dwordx2 v[6:7], v[2:3], off
	v_add_u32_e32 v3, 1, v26
	v_cmp_gt_i32_e32 vcc, s0, v3
	s_and_b64 exec, exec, vcc
	s_cbranch_execz .LBB72_2
; %bb.59:                               ;   in Loop: Header=BB72_3 Depth=1
	v_sub_u32_e32 v6, v3, v25
	v_ashrrev_i32_e32 v7, 31, v6
	v_cmp_gt_i64_e32 vcc, s[8:9], v[6:7]
	s_and_b64 exec, exec, vcc
	s_cbranch_execz .LBB72_2
; %bb.60:                               ;   in Loop: Header=BB72_3 Depth=1
	v_add_u32_e32 v4, s49, v4
	v_ashrrev_i32_e32 v5, 31, v4
	v_lshlrev_b64 v[4:5], 3, v[4:5]
	v_mov_b32_e32 v3, s3
	v_add_co_u32_e32 v4, vcc, s2, v4
	v_addc_co_u32_e32 v5, vcc, v3, v5, vcc
	v_mov_b32_e32 v3, v2
	global_store_dwordx2 v[4:5], v[2:3], off
	s_branch .LBB72_2
.LBB72_61:
	s_endpgm
	.section	.rodata,"a",@progbits
	.p2align	6, 0x0
	.amdhsa_kernel _ZN2at6native16triu_tril_kernelIdiLb1ELi2ELb1EEEvNS_4cuda6detail10TensorInfoIT_T0_EENS4_IKS5_S6_EEllS6_
		.amdhsa_group_segment_fixed_size 0
		.amdhsa_private_segment_fixed_size 0
		.amdhsa_kernarg_size 712
		.amdhsa_user_sgpr_count 6
		.amdhsa_user_sgpr_private_segment_buffer 1
		.amdhsa_user_sgpr_dispatch_ptr 0
		.amdhsa_user_sgpr_queue_ptr 0
		.amdhsa_user_sgpr_kernarg_segment_ptr 1
		.amdhsa_user_sgpr_dispatch_id 0
		.amdhsa_user_sgpr_flat_scratch_init 0
		.amdhsa_user_sgpr_kernarg_preload_length 0
		.amdhsa_user_sgpr_kernarg_preload_offset 0
		.amdhsa_user_sgpr_private_segment_size 0
		.amdhsa_uses_dynamic_stack 0
		.amdhsa_system_sgpr_private_segment_wavefront_offset 0
		.amdhsa_system_sgpr_workgroup_id_x 1
		.amdhsa_system_sgpr_workgroup_id_y 0
		.amdhsa_system_sgpr_workgroup_id_z 0
		.amdhsa_system_sgpr_workgroup_info 0
		.amdhsa_system_vgpr_workitem_id 0
		.amdhsa_next_free_vgpr 30
		.amdhsa_next_free_sgpr 63
		.amdhsa_accum_offset 32
		.amdhsa_reserve_vcc 1
		.amdhsa_reserve_flat_scratch 0
		.amdhsa_float_round_mode_32 0
		.amdhsa_float_round_mode_16_64 0
		.amdhsa_float_denorm_mode_32 3
		.amdhsa_float_denorm_mode_16_64 3
		.amdhsa_dx10_clamp 1
		.amdhsa_ieee_mode 1
		.amdhsa_fp16_overflow 0
		.amdhsa_tg_split 0
		.amdhsa_exception_fp_ieee_invalid_op 0
		.amdhsa_exception_fp_denorm_src 0
		.amdhsa_exception_fp_ieee_div_zero 0
		.amdhsa_exception_fp_ieee_overflow 0
		.amdhsa_exception_fp_ieee_underflow 0
		.amdhsa_exception_fp_ieee_inexact 0
		.amdhsa_exception_int_div_zero 0
	.end_amdhsa_kernel
	.section	.text._ZN2at6native16triu_tril_kernelIdiLb1ELi2ELb1EEEvNS_4cuda6detail10TensorInfoIT_T0_EENS4_IKS5_S6_EEllS6_,"axG",@progbits,_ZN2at6native16triu_tril_kernelIdiLb1ELi2ELb1EEEvNS_4cuda6detail10TensorInfoIT_T0_EENS4_IKS5_S6_EEllS6_,comdat
.Lfunc_end72:
	.size	_ZN2at6native16triu_tril_kernelIdiLb1ELi2ELb1EEEvNS_4cuda6detail10TensorInfoIT_T0_EENS4_IKS5_S6_EEllS6_, .Lfunc_end72-_ZN2at6native16triu_tril_kernelIdiLb1ELi2ELb1EEEvNS_4cuda6detail10TensorInfoIT_T0_EENS4_IKS5_S6_EEllS6_
                                        ; -- End function
	.section	.AMDGPU.csdata,"",@progbits
; Kernel info:
; codeLenInByte = 10120
; NumSgprs: 67
; NumVgprs: 30
; NumAgprs: 0
; TotalNumVgprs: 30
; ScratchSize: 0
; MemoryBound: 0
; FloatMode: 240
; IeeeMode: 1
; LDSByteSize: 0 bytes/workgroup (compile time only)
; SGPRBlocks: 8
; VGPRBlocks: 3
; NumSGPRsForWavesPerEU: 67
; NumVGPRsForWavesPerEU: 30
; AccumOffset: 32
; Occupancy: 8
; WaveLimiterHint : 0
; COMPUTE_PGM_RSRC2:SCRATCH_EN: 0
; COMPUTE_PGM_RSRC2:USER_SGPR: 6
; COMPUTE_PGM_RSRC2:TRAP_HANDLER: 0
; COMPUTE_PGM_RSRC2:TGID_X_EN: 1
; COMPUTE_PGM_RSRC2:TGID_Y_EN: 0
; COMPUTE_PGM_RSRC2:TGID_Z_EN: 0
; COMPUTE_PGM_RSRC2:TIDIG_COMP_CNT: 0
; COMPUTE_PGM_RSRC3_GFX90A:ACCUM_OFFSET: 7
; COMPUTE_PGM_RSRC3_GFX90A:TG_SPLIT: 0
	.section	.text._ZN2at6native16triu_tril_kernelIdiLb1ELi2ELb0EEEvNS_4cuda6detail10TensorInfoIT_T0_EENS4_IKS5_S6_EEllS6_,"axG",@progbits,_ZN2at6native16triu_tril_kernelIdiLb1ELi2ELb0EEEvNS_4cuda6detail10TensorInfoIT_T0_EENS4_IKS5_S6_EEllS6_,comdat
	.protected	_ZN2at6native16triu_tril_kernelIdiLb1ELi2ELb0EEEvNS_4cuda6detail10TensorInfoIT_T0_EENS4_IKS5_S6_EEllS6_ ; -- Begin function _ZN2at6native16triu_tril_kernelIdiLb1ELi2ELb0EEEvNS_4cuda6detail10TensorInfoIT_T0_EENS4_IKS5_S6_EEllS6_
	.globl	_ZN2at6native16triu_tril_kernelIdiLb1ELi2ELb0EEEvNS_4cuda6detail10TensorInfoIT_T0_EENS4_IKS5_S6_EEllS6_
	.p2align	8
	.type	_ZN2at6native16triu_tril_kernelIdiLb1ELi2ELb0EEEvNS_4cuda6detail10TensorInfoIT_T0_EENS4_IKS5_S6_EEllS6_,@function
_ZN2at6native16triu_tril_kernelIdiLb1ELi2ELb0EEEvNS_4cuda6detail10TensorInfoIT_T0_EENS4_IKS5_S6_EEllS6_: ; @_ZN2at6native16triu_tril_kernelIdiLb1ELi2ELb0EEEvNS_4cuda6detail10TensorInfoIT_T0_EENS4_IKS5_S6_EEllS6_
; %bb.0:
	s_load_dword s2, s[4:5], 0x1d4
	s_load_dwordx4 s[8:11], s[4:5], 0x1b0
	s_add_u32 s0, s4, 0x1c8
	v_mov_b32_e32 v2, 0
	s_addc_u32 s1, s5, 0
	s_waitcnt lgkmcnt(0)
	s_and_b32 s2, s2, 0xffff
	v_mov_b32_e32 v1, v2
	v_mov_b32_e32 v3, s6
	v_mad_u64_u32 v[0:1], s[6:7], s2, v3, v[0:1]
	v_lshlrev_b64 v[0:1], 1, v[0:1]
	v_cmp_gt_i64_e32 vcc, s[10:11], v[0:1]
	s_and_saveexec_b64 s[6:7], vcc
	s_cbranch_execz .LBB73_52
; %bb.1:
	s_load_dword s20, s[4:5], 0x1a8
	s_add_u32 s33, s4, 0xd8
	s_addc_u32 s42, s5, 0
	s_load_dword s3, s[0:1], 0x0
	s_load_dwordx2 s[6:7], s[4:5], 0xd8
	s_mov_b64 s[26:27], 0
	s_waitcnt lgkmcnt(0)
	s_ashr_i32 s21, s20, 31
	s_lshl_b64 s[0:1], s[20:21], 2
	s_add_u32 s18, s0, -8
	s_addc_u32 s19, s1, -1
	s_add_u32 s0, s33, s18
	s_addc_u32 s1, s42, s19
	s_load_dwordx2 s[12:13], s[0:1], 0x8
	s_load_dword s43, s[4:5], 0x1c0
	s_load_dwordx2 s[16:17], s[0:1], 0x6c
	s_mul_i32 s3, s3, s2
	v_cmp_gt_i64_e64 s[14:15], s[20:21], 2
	s_waitcnt lgkmcnt(0)
	s_ashr_i32 s44, s12, 31
	v_cvt_f32_u32_e32 v3, s43
	s_ashr_i32 s45, s43, 31
	s_add_u32 s46, s4, 0x6c
	s_addc_u32 s47, s5, 0
	s_add_u32 s0, s46, s18
	v_rcp_iflag_f32_e32 v3, v3
	s_addc_u32 s1, s47, s19
	s_load_dwordx2 s[18:19], s[0:1], 0x0
	s_add_i32 s48, s20, -3
	s_load_dwordx2 s[4:5], s[4:5], 0x0
	s_lshl_b32 s49, s3, 1
	s_and_b32 s51, s20, 3
	v_mul_f32_e32 v3, 0x4f7ffffe, v3
	s_cmp_lg_u32 s51, 2
	v_cvt_u32_f32_e32 v22, v3
	s_cselect_b64 s[22:23], -1, 0
	s_cmp_gt_u32 s48, 2
	s_mov_b32 s21, 0
	s_cselect_b64 s[24:25], -1, 0
	s_ashr_i32 s1, s17, 31
	s_mov_b32 s0, s17
	s_waitcnt lgkmcnt(0)
	s_ashr_i32 s3, s19, 31
	s_mov_b32 s2, s19
	s_mov_b32 s50, s21
	s_lshl_b64 s[28:29], s[0:1], 3
	s_lshl_b64 s[30:31], s[2:3], 3
	s_branch .LBB73_3
.LBB73_2:                               ;   in Loop: Header=BB73_3 Depth=1
	s_or_b64 exec, exec, s[0:1]
	v_mov_b32_e32 v3, s50
	v_add_co_u32_e32 v0, vcc, s49, v0
	v_addc_co_u32_e32 v1, vcc, v1, v3, vcc
	v_cmp_le_i64_e32 vcc, s[10:11], v[0:1]
	s_or_b64 s[26:27], vcc, s[26:27]
	s_andn2_b64 exec, exec, s[26:27]
	s_cbranch_execz .LBB73_52
.LBB73_3:                               ; =>This Loop Header: Depth=1
                                        ;     Child Loop BB73_37 Depth 2
                                        ;     Child Loop BB73_18 Depth 2
	v_or_b32_e32 v3, s45, v1
	v_cmp_ne_u64_e32 vcc, 0, v[2:3]
                                        ; implicit-def: $vgpr4_vgpr5
                                        ; implicit-def: $vgpr14_vgpr15
	s_and_saveexec_b64 s[0:1], vcc
	s_xor_b64 s[34:35], exec, s[0:1]
	s_cbranch_execz .LBB73_5
; %bb.4:                                ;   in Loop: Header=BB73_3 Depth=1
	s_add_u32 s0, s43, s45
	s_mov_b32 s2, s45
	s_mov_b32 s3, s45
	s_addc_u32 s1, s45, s45
	s_xor_b64 s[36:37], s[0:1], s[2:3]
	v_cvt_f32_u32_e32 v3, s36
	v_cvt_f32_u32_e32 v4, s37
	s_sub_u32 s0, 0, s36
	s_subb_u32 s1, 0, s37
	v_mac_f32_e32 v3, 0x4f800000, v4
	v_rcp_f32_e32 v3, v3
	v_mul_f32_e32 v3, 0x5f7ffffc, v3
	v_mul_f32_e32 v4, 0x2f800000, v3
	v_trunc_f32_e32 v4, v4
	v_mac_f32_e32 v3, 0xcf800000, v4
	v_cvt_u32_f32_e32 v4, v4
	v_cvt_u32_f32_e32 v3, v3
	v_mul_lo_u32 v5, s0, v4
	v_mul_hi_u32 v7, s0, v3
	v_mul_lo_u32 v6, s1, v3
	v_add_u32_e32 v5, v7, v5
	v_mul_lo_u32 v8, s0, v3
	v_add_u32_e32 v5, v5, v6
	v_mul_lo_u32 v7, v3, v5
	v_mul_hi_u32 v9, v3, v8
	v_mul_hi_u32 v6, v3, v5
	v_add_co_u32_e32 v7, vcc, v9, v7
	v_addc_co_u32_e32 v6, vcc, 0, v6, vcc
	v_mul_hi_u32 v10, v4, v8
	v_mul_lo_u32 v8, v4, v8
	v_add_co_u32_e32 v7, vcc, v7, v8
	v_mul_hi_u32 v9, v4, v5
	v_addc_co_u32_e32 v6, vcc, v6, v10, vcc
	v_addc_co_u32_e32 v7, vcc, 0, v9, vcc
	v_mul_lo_u32 v5, v4, v5
	v_add_co_u32_e32 v5, vcc, v6, v5
	v_addc_co_u32_e32 v6, vcc, 0, v7, vcc
	v_add_co_u32_e32 v3, vcc, v3, v5
	v_addc_co_u32_e32 v4, vcc, v4, v6, vcc
	v_mul_lo_u32 v5, s0, v4
	v_mul_hi_u32 v6, s0, v3
	v_add_u32_e32 v5, v6, v5
	v_mul_lo_u32 v6, s1, v3
	v_add_u32_e32 v5, v5, v6
	v_mul_lo_u32 v7, s0, v3
	v_mul_hi_u32 v8, v4, v7
	v_mul_lo_u32 v9, v4, v7
	v_mul_lo_u32 v11, v3, v5
	v_mul_hi_u32 v7, v3, v7
	v_mul_hi_u32 v10, v3, v5
	v_add_co_u32_e32 v7, vcc, v7, v11
	v_addc_co_u32_e32 v10, vcc, 0, v10, vcc
	v_add_co_u32_e32 v7, vcc, v7, v9
	v_mul_hi_u32 v6, v4, v5
	v_addc_co_u32_e32 v7, vcc, v10, v8, vcc
	v_addc_co_u32_e32 v6, vcc, 0, v6, vcc
	v_mul_lo_u32 v5, v4, v5
	v_add_co_u32_e32 v5, vcc, v7, v5
	v_addc_co_u32_e32 v6, vcc, 0, v6, vcc
	v_add_co_u32_e32 v3, vcc, v3, v5
	v_addc_co_u32_e32 v6, vcc, v4, v6, vcc
	v_ashrrev_i32_e32 v8, 31, v1
	v_add_co_u32_e32 v4, vcc, v0, v8
	v_addc_co_u32_e32 v5, vcc, v1, v8, vcc
	v_xor_b32_e32 v10, v4, v8
	v_xor_b32_e32 v9, v5, v8
	v_mad_u64_u32 v[4:5], s[0:1], v10, v6, 0
	v_mul_hi_u32 v7, v10, v3
	v_add_co_u32_e32 v11, vcc, v7, v4
	v_addc_co_u32_e32 v12, vcc, 0, v5, vcc
	v_mad_u64_u32 v[4:5], s[0:1], v9, v6, 0
	v_mad_u64_u32 v[6:7], s[0:1], v9, v3, 0
	v_add_co_u32_e32 v3, vcc, v11, v6
	v_addc_co_u32_e32 v3, vcc, v12, v7, vcc
	v_addc_co_u32_e32 v5, vcc, 0, v5, vcc
	v_add_co_u32_e32 v3, vcc, v3, v4
	v_addc_co_u32_e32 v6, vcc, 0, v5, vcc
	v_mul_lo_u32 v7, s37, v3
	v_mul_lo_u32 v11, s36, v6
	v_mad_u64_u32 v[4:5], s[0:1], s36, v3, 0
	v_add3_u32 v5, v5, v11, v7
	v_sub_u32_e32 v7, v9, v5
	v_mov_b32_e32 v11, s37
	v_sub_co_u32_e32 v4, vcc, v10, v4
	v_subb_co_u32_e64 v7, s[0:1], v7, v11, vcc
	v_subrev_co_u32_e64 v10, s[0:1], s36, v4
	v_subbrev_co_u32_e64 v7, s[0:1], 0, v7, s[0:1]
	v_cmp_le_u32_e64 s[0:1], s37, v7
	v_cndmask_b32_e64 v11, 0, -1, s[0:1]
	v_cmp_le_u32_e64 s[0:1], s36, v10
	v_cndmask_b32_e64 v12, 0, -1, s[0:1]
	v_cmp_eq_u32_e64 s[0:1], s37, v7
	v_cndmask_b32_e64 v7, v11, v12, s[0:1]
	v_add_co_u32_e64 v11, s[0:1], 2, v3
	v_addc_co_u32_e64 v12, s[0:1], 0, v6, s[0:1]
	v_add_co_u32_e64 v13, s[0:1], 1, v3
	v_subb_co_u32_e32 v5, vcc, v9, v5, vcc
	v_addc_co_u32_e64 v14, s[0:1], 0, v6, s[0:1]
	v_cmp_le_u32_e32 vcc, s37, v5
	v_cmp_ne_u32_e64 s[0:1], 0, v7
	v_cndmask_b32_e64 v9, 0, -1, vcc
	v_cmp_le_u32_e32 vcc, s36, v4
	v_cndmask_b32_e64 v7, v14, v12, s[0:1]
	v_cndmask_b32_e64 v12, 0, -1, vcc
	v_cmp_eq_u32_e32 vcc, s37, v5
	v_cndmask_b32_e32 v5, v9, v12, vcc
	v_cmp_ne_u32_e32 vcc, 0, v5
	v_cndmask_b32_e32 v5, v6, v7, vcc
	v_cndmask_b32_e64 v6, v13, v11, s[0:1]
	v_cndmask_b32_e32 v3, v3, v6, vcc
	v_xor_b32_e32 v7, s2, v8
	v_xor_b32_e32 v6, s3, v8
	;; [unrolled: 1-line block ×4, first 2 shown]
	v_sub_co_u32_e64 v14, s[2:3], v3, v7
	v_subb_co_u32_e64 v15, s[2:3], v5, v6, s[2:3]
	v_subrev_co_u32_e64 v3, s[2:3], s36, v10
	v_cndmask_b32_e64 v3, v10, v3, s[0:1]
	v_cndmask_b32_e32 v3, v4, v3, vcc
	v_xor_b32_e32 v3, v3, v8
	v_sub_co_u32_e32 v4, vcc, v3, v8
.LBB73_5:                               ;   in Loop: Header=BB73_3 Depth=1
	s_andn2_saveexec_b64 s[2:3], s[34:35]
	s_cbranch_execz .LBB73_7
; %bb.6:                                ;   in Loop: Header=BB73_3 Depth=1
	s_sub_i32 s0, 0, s43
	v_mul_lo_u32 v3, s0, v22
	v_mul_hi_u32 v3, v22, v3
	v_add_u32_e32 v3, v22, v3
	v_mul_hi_u32 v3, v0, v3
	v_mul_lo_u32 v4, v3, s43
	v_sub_u32_e32 v4, v0, v4
	v_subrev_u32_e32 v5, s43, v4
	v_cmp_le_u32_e32 vcc, s43, v4
	v_cndmask_b32_e32 v4, v4, v5, vcc
	v_subrev_u32_e32 v5, s43, v4
	v_cmp_le_u32_e64 s[0:1], s43, v4
	v_cndmask_b32_e64 v4, v4, v5, s[0:1]
	v_add_u32_e32 v5, 1, v3
	v_cndmask_b32_e32 v3, v3, v5, vcc
	v_add_u32_e32 v5, 1, v3
	v_cndmask_b32_e64 v14, v3, v5, s[0:1]
	v_mov_b32_e32 v15, v2
.LBB73_7:                               ;   in Loop: Header=BB73_3 Depth=1
	s_or_b64 exec, exec, s[2:3]
	v_or_b32_e32 v3, s44, v15
	v_cmp_ne_u64_e32 vcc, 0, v[2:3]
                                        ; implicit-def: $vgpr6_vgpr7
	s_and_saveexec_b64 s[0:1], vcc
	s_xor_b64 s[2:3], exec, s[0:1]
	s_cbranch_execz .LBB73_9
; %bb.8:                                ;   in Loop: Header=BB73_3 Depth=1
	s_add_u32 s34, s12, s44
	s_mov_b32 s0, s44
	s_mov_b32 s1, s44
	s_addc_u32 s35, s44, s44
	s_xor_b64 s[34:35], s[34:35], s[0:1]
	v_cvt_f32_u32_e32 v5, s34
	v_cvt_f32_u32_e32 v6, s35
	s_sub_u32 s0, 0, s34
	s_subb_u32 s1, 0, s35
	v_mac_f32_e32 v5, 0x4f800000, v6
	v_rcp_f32_e32 v5, v5
	v_mul_f32_e32 v5, 0x5f7ffffc, v5
	v_mul_f32_e32 v6, 0x2f800000, v5
	v_trunc_f32_e32 v6, v6
	v_mac_f32_e32 v5, 0xcf800000, v6
	v_cvt_u32_f32_e32 v6, v6
	v_cvt_u32_f32_e32 v5, v5
	v_mul_lo_u32 v7, s0, v6
	v_mul_hi_u32 v9, s0, v5
	v_mul_lo_u32 v8, s1, v5
	v_add_u32_e32 v7, v9, v7
	v_mul_lo_u32 v10, s0, v5
	v_add_u32_e32 v7, v7, v8
	v_mul_lo_u32 v9, v5, v7
	v_mul_hi_u32 v11, v5, v10
	v_mul_hi_u32 v8, v5, v7
	v_add_co_u32_e32 v9, vcc, v11, v9
	v_addc_co_u32_e32 v8, vcc, 0, v8, vcc
	v_mul_hi_u32 v12, v6, v10
	v_mul_lo_u32 v10, v6, v10
	v_add_co_u32_e32 v9, vcc, v9, v10
	v_mul_hi_u32 v11, v6, v7
	v_addc_co_u32_e32 v8, vcc, v8, v12, vcc
	v_addc_co_u32_e32 v9, vcc, 0, v11, vcc
	v_mul_lo_u32 v7, v6, v7
	v_add_co_u32_e32 v7, vcc, v8, v7
	v_addc_co_u32_e32 v8, vcc, 0, v9, vcc
	v_add_co_u32_e32 v5, vcc, v5, v7
	v_addc_co_u32_e32 v6, vcc, v6, v8, vcc
	v_mul_lo_u32 v7, s0, v6
	v_mul_hi_u32 v8, s0, v5
	v_add_u32_e32 v7, v8, v7
	v_mul_lo_u32 v8, s1, v5
	v_add_u32_e32 v7, v7, v8
	v_mul_lo_u32 v9, s0, v5
	v_mul_hi_u32 v10, v6, v9
	v_mul_lo_u32 v11, v6, v9
	v_mul_lo_u32 v13, v5, v7
	v_mul_hi_u32 v9, v5, v9
	v_mul_hi_u32 v12, v5, v7
	v_add_co_u32_e32 v9, vcc, v9, v13
	v_addc_co_u32_e32 v12, vcc, 0, v12, vcc
	v_add_co_u32_e32 v9, vcc, v9, v11
	v_mul_hi_u32 v8, v6, v7
	v_addc_co_u32_e32 v9, vcc, v12, v10, vcc
	v_addc_co_u32_e32 v8, vcc, 0, v8, vcc
	v_mul_lo_u32 v7, v6, v7
	v_add_co_u32_e32 v7, vcc, v9, v7
	v_addc_co_u32_e32 v8, vcc, 0, v8, vcc
	v_add_co_u32_e32 v5, vcc, v5, v7
	v_addc_co_u32_e32 v8, vcc, v6, v8, vcc
	v_ashrrev_i32_e32 v10, 31, v15
	v_add_co_u32_e32 v6, vcc, v14, v10
	v_addc_co_u32_e32 v7, vcc, v15, v10, vcc
	v_xor_b32_e32 v12, v6, v10
	v_xor_b32_e32 v11, v7, v10
	v_mad_u64_u32 v[6:7], s[0:1], v12, v8, 0
	v_mul_hi_u32 v9, v12, v5
	v_add_co_u32_e32 v13, vcc, v9, v6
	v_addc_co_u32_e32 v16, vcc, 0, v7, vcc
	v_mad_u64_u32 v[6:7], s[0:1], v11, v8, 0
	v_mad_u64_u32 v[8:9], s[0:1], v11, v5, 0
	v_add_co_u32_e32 v5, vcc, v13, v8
	v_addc_co_u32_e32 v5, vcc, v16, v9, vcc
	v_addc_co_u32_e32 v7, vcc, 0, v7, vcc
	v_add_co_u32_e32 v5, vcc, v5, v6
	v_addc_co_u32_e32 v6, vcc, 0, v7, vcc
	v_mul_lo_u32 v8, s35, v5
	v_mul_lo_u32 v9, s34, v6
	v_mad_u64_u32 v[6:7], s[0:1], s34, v5, 0
	v_add3_u32 v5, v7, v9, v8
	v_sub_u32_e32 v7, v11, v5
	v_mov_b32_e32 v8, s35
	v_sub_co_u32_e32 v6, vcc, v12, v6
	v_subb_co_u32_e64 v7, s[0:1], v7, v8, vcc
	v_subrev_co_u32_e64 v8, s[0:1], s34, v6
	v_subbrev_co_u32_e64 v7, s[0:1], 0, v7, s[0:1]
	v_cmp_le_u32_e64 s[0:1], s35, v7
	v_subb_co_u32_e32 v5, vcc, v11, v5, vcc
	v_cndmask_b32_e64 v9, 0, -1, s[0:1]
	v_cmp_le_u32_e64 s[0:1], s34, v8
	v_cmp_le_u32_e32 vcc, s35, v5
	v_cndmask_b32_e64 v12, 0, -1, s[0:1]
	v_cmp_eq_u32_e64 s[0:1], s35, v7
	v_cndmask_b32_e64 v11, 0, -1, vcc
	v_cmp_le_u32_e32 vcc, s34, v6
	v_cndmask_b32_e64 v7, v9, v12, s[0:1]
	v_cndmask_b32_e64 v12, 0, -1, vcc
	v_cmp_eq_u32_e32 vcc, s35, v5
	v_subrev_co_u32_e64 v9, s[0:1], s34, v8
	v_cndmask_b32_e32 v5, v11, v12, vcc
	v_cmp_ne_u32_e32 vcc, 0, v7
	v_cndmask_b32_e32 v7, v8, v9, vcc
	v_cmp_ne_u32_e32 vcc, 0, v5
	v_cndmask_b32_e32 v5, v6, v7, vcc
	v_xor_b32_e32 v5, v5, v10
	v_sub_co_u32_e32 v6, vcc, v5, v10
.LBB73_9:                               ;   in Loop: Header=BB73_3 Depth=1
	s_andn2_saveexec_b64 s[0:1], s[2:3]
	s_cbranch_execz .LBB73_11
; %bb.10:                               ;   in Loop: Header=BB73_3 Depth=1
	v_cvt_f32_u32_e32 v5, s12
	s_sub_i32 s2, 0, s12
	v_rcp_iflag_f32_e32 v5, v5
	v_mul_f32_e32 v5, 0x4f7ffffe, v5
	v_cvt_u32_f32_e32 v5, v5
	v_mul_lo_u32 v6, s2, v5
	v_mul_hi_u32 v6, v5, v6
	v_add_u32_e32 v5, v5, v6
	v_mul_hi_u32 v5, v14, v5
	v_mul_lo_u32 v5, v5, s12
	v_sub_u32_e32 v5, v14, v5
	v_subrev_u32_e32 v6, s12, v5
	v_cmp_le_u32_e32 vcc, s12, v5
	v_cndmask_b32_e32 v5, v5, v6, vcc
	v_subrev_u32_e32 v6, s12, v5
	v_cmp_le_u32_e32 vcc, s12, v5
	v_cndmask_b32_e32 v6, v5, v6, vcc
.LBB73_11:                              ;   in Loop: Header=BB73_3 Depth=1
	s_or_b64 exec, exec, s[0:1]
	v_mul_lo_u32 v8, s17, v4
	v_mad_u64_u32 v[10:11], s[0:1], s16, v6, v[8:9]
	v_mul_lo_u32 v8, s19, v4
	s_andn2_b64 vcc, exec, s[14:15]
	v_mad_u64_u32 v[8:9], s[0:1], s18, v6, v[8:9]
	s_cbranch_vccnz .LBB73_41
; %bb.12:                               ;   in Loop: Header=BB73_3 Depth=1
	v_cmp_ne_u64_e32 vcc, 0, v[2:3]
                                        ; implicit-def: $vgpr12_vgpr13
	s_and_saveexec_b64 s[0:1], vcc
	s_xor_b64 s[2:3], exec, s[0:1]
	s_cbranch_execz .LBB73_14
; %bb.13:                               ;   in Loop: Header=BB73_3 Depth=1
	s_add_u32 s0, s12, s44
	s_mov_b32 s34, s44
	s_mov_b32 s35, s44
	s_addc_u32 s1, s44, s44
	s_xor_b64 s[36:37], s[0:1], s[34:35]
	v_cvt_f32_u32_e32 v3, s36
	v_cvt_f32_u32_e32 v5, s37
	s_sub_u32 s0, 0, s36
	s_subb_u32 s1, 0, s37
	v_mac_f32_e32 v3, 0x4f800000, v5
	v_rcp_f32_e32 v3, v3
	v_mul_f32_e32 v3, 0x5f7ffffc, v3
	v_mul_f32_e32 v5, 0x2f800000, v3
	v_trunc_f32_e32 v5, v5
	v_mac_f32_e32 v3, 0xcf800000, v5
	v_cvt_u32_f32_e32 v5, v5
	v_cvt_u32_f32_e32 v3, v3
	v_mul_lo_u32 v7, s0, v5
	v_mul_hi_u32 v11, s0, v3
	v_mul_lo_u32 v9, s1, v3
	v_add_u32_e32 v7, v11, v7
	v_mul_lo_u32 v12, s0, v3
	v_add_u32_e32 v7, v7, v9
	v_mul_lo_u32 v11, v3, v7
	v_mul_hi_u32 v13, v3, v12
	v_mul_hi_u32 v9, v3, v7
	v_add_co_u32_e32 v11, vcc, v13, v11
	v_addc_co_u32_e32 v9, vcc, 0, v9, vcc
	v_mul_hi_u32 v16, v5, v12
	v_mul_lo_u32 v12, v5, v12
	v_add_co_u32_e32 v11, vcc, v11, v12
	v_mul_hi_u32 v13, v5, v7
	v_addc_co_u32_e32 v9, vcc, v9, v16, vcc
	v_addc_co_u32_e32 v11, vcc, 0, v13, vcc
	v_mul_lo_u32 v7, v5, v7
	v_add_co_u32_e32 v7, vcc, v9, v7
	v_addc_co_u32_e32 v9, vcc, 0, v11, vcc
	v_add_co_u32_e32 v3, vcc, v3, v7
	v_addc_co_u32_e32 v5, vcc, v5, v9, vcc
	v_mul_lo_u32 v7, s0, v5
	v_mul_hi_u32 v9, s0, v3
	v_add_u32_e32 v7, v9, v7
	v_mul_lo_u32 v9, s1, v3
	v_add_u32_e32 v7, v7, v9
	v_mul_lo_u32 v11, s0, v3
	v_mul_hi_u32 v12, v5, v11
	v_mul_lo_u32 v13, v5, v11
	v_mul_lo_u32 v17, v3, v7
	v_mul_hi_u32 v11, v3, v11
	v_mul_hi_u32 v16, v3, v7
	v_add_co_u32_e32 v11, vcc, v11, v17
	v_addc_co_u32_e32 v16, vcc, 0, v16, vcc
	v_add_co_u32_e32 v11, vcc, v11, v13
	v_mul_hi_u32 v9, v5, v7
	v_addc_co_u32_e32 v11, vcc, v16, v12, vcc
	v_addc_co_u32_e32 v9, vcc, 0, v9, vcc
	v_mul_lo_u32 v7, v5, v7
	v_add_co_u32_e32 v7, vcc, v11, v7
	v_addc_co_u32_e32 v9, vcc, 0, v9, vcc
	v_add_co_u32_e32 v3, vcc, v3, v7
	v_addc_co_u32_e32 v5, vcc, v5, v9, vcc
	v_ashrrev_i32_e32 v7, 31, v15
	v_add_co_u32_e32 v9, vcc, v14, v7
	v_xor_b32_e32 v9, v9, v7
	v_addc_co_u32_e32 v11, vcc, v15, v7, vcc
	v_mad_u64_u32 v[12:13], s[0:1], v9, v5, 0
	v_mul_hi_u32 v14, v9, v3
	v_xor_b32_e32 v11, v11, v7
	v_add_co_u32_e32 v16, vcc, v14, v12
	v_addc_co_u32_e32 v17, vcc, 0, v13, vcc
	v_mad_u64_u32 v[14:15], s[0:1], v11, v3, 0
	v_add_co_u32_e32 v3, vcc, v16, v14
	v_mad_u64_u32 v[12:13], s[0:1], v11, v5, 0
	v_addc_co_u32_e32 v3, vcc, v17, v15, vcc
	v_addc_co_u32_e32 v5, vcc, 0, v13, vcc
	v_add_co_u32_e32 v3, vcc, v3, v12
	v_addc_co_u32_e32 v5, vcc, 0, v5, vcc
	v_mul_lo_u32 v14, s37, v3
	v_mul_lo_u32 v15, s36, v5
	v_mad_u64_u32 v[12:13], s[0:1], s36, v3, 0
	v_add3_u32 v13, v13, v15, v14
	v_sub_u32_e32 v14, v11, v13
	v_mov_b32_e32 v15, s37
	v_sub_co_u32_e32 v9, vcc, v9, v12
	v_subb_co_u32_e64 v12, s[0:1], v14, v15, vcc
	v_subrev_co_u32_e64 v14, s[0:1], s36, v9
	v_subbrev_co_u32_e64 v12, s[0:1], 0, v12, s[0:1]
	v_cmp_le_u32_e64 s[0:1], s37, v12
	v_cndmask_b32_e64 v15, 0, -1, s[0:1]
	v_cmp_le_u32_e64 s[0:1], s36, v14
	v_cndmask_b32_e64 v14, 0, -1, s[0:1]
	v_cmp_eq_u32_e64 s[0:1], s37, v12
	v_cndmask_b32_e64 v12, v15, v14, s[0:1]
	v_add_co_u32_e64 v14, s[0:1], 2, v3
	v_subb_co_u32_e32 v11, vcc, v11, v13, vcc
	v_addc_co_u32_e64 v15, s[0:1], 0, v5, s[0:1]
	v_cmp_le_u32_e32 vcc, s37, v11
	v_add_co_u32_e64 v16, s[0:1], 1, v3
	v_cndmask_b32_e64 v13, 0, -1, vcc
	v_cmp_le_u32_e32 vcc, s36, v9
	v_addc_co_u32_e64 v17, s[0:1], 0, v5, s[0:1]
	v_cndmask_b32_e64 v9, 0, -1, vcc
	v_cmp_eq_u32_e32 vcc, s37, v11
	v_cmp_ne_u32_e64 s[0:1], 0, v12
	v_cndmask_b32_e32 v9, v13, v9, vcc
	v_cmp_ne_u32_e32 vcc, 0, v9
	v_cndmask_b32_e64 v9, v16, v14, s[0:1]
	v_cndmask_b32_e64 v12, v17, v15, s[0:1]
	v_cndmask_b32_e32 v3, v3, v9, vcc
	v_xor_b32_e32 v9, s35, v7
	v_xor_b32_e32 v7, s34, v7
	v_cndmask_b32_e32 v5, v5, v12, vcc
	v_xor_b32_e32 v3, v3, v7
	v_xor_b32_e32 v5, v5, v9
	v_sub_co_u32_e32 v12, vcc, v3, v7
	v_subb_co_u32_e32 v13, vcc, v5, v9, vcc
                                        ; implicit-def: $vgpr14_vgpr15
.LBB73_14:                              ;   in Loop: Header=BB73_3 Depth=1
	s_andn2_saveexec_b64 s[0:1], s[2:3]
	s_cbranch_execz .LBB73_16
; %bb.15:                               ;   in Loop: Header=BB73_3 Depth=1
	v_cvt_f32_u32_e32 v3, s12
	s_sub_i32 s2, 0, s12
	v_mov_b32_e32 v13, v2
	v_rcp_iflag_f32_e32 v3, v3
	v_mul_f32_e32 v3, 0x4f7ffffe, v3
	v_cvt_u32_f32_e32 v3, v3
	v_mul_lo_u32 v5, s2, v3
	v_mul_hi_u32 v5, v3, v5
	v_add_u32_e32 v3, v3, v5
	v_mul_hi_u32 v3, v14, v3
	v_mul_lo_u32 v5, v3, s12
	v_sub_u32_e32 v5, v14, v5
	v_add_u32_e32 v7, 1, v3
	v_subrev_u32_e32 v9, s12, v5
	v_cmp_le_u32_e32 vcc, s12, v5
	v_cndmask_b32_e32 v5, v5, v9, vcc
	v_cndmask_b32_e32 v3, v3, v7, vcc
	v_add_u32_e32 v7, 1, v3
	v_cmp_le_u32_e32 vcc, s12, v5
	v_cndmask_b32_e32 v12, v3, v7, vcc
.LBB73_16:                              ;   in Loop: Header=BB73_3 Depth=1
	s_or_b64 exec, exec, s[0:1]
	s_andn2_b64 vcc, exec, s[22:23]
	s_mov_b32 s52, 1
	s_mov_b32 s20, s48
	s_cbranch_vccz .LBB73_37
.LBB73_17:                              ;   in Loop: Header=BB73_3 Depth=1
	s_and_b64 vcc, exec, s[24:25]
	s_cbranch_vccz .LBB73_41
.LBB73_18:                              ;   Parent Loop BB73_3 Depth=1
                                        ; =>  This Inner Loop Header: Depth=2
	s_lshl_b64 s[2:3], s[20:21], 2
	s_add_u32 s34, s33, s2
	s_addc_u32 s35, s42, s3
	s_load_dword s52, s[34:35], 0x8
                                        ; implicit-def: $vgpr14_vgpr15
	s_waitcnt lgkmcnt(0)
	s_ashr_i32 s0, s52, 31
	v_or_b32_e32 v3, s0, v13
	v_cmp_ne_u64_e32 vcc, 0, v[2:3]
	s_and_saveexec_b64 s[36:37], vcc
	s_xor_b64 s[36:37], exec, s[36:37]
	s_cbranch_execz .LBB73_20
; %bb.19:                               ;   in Loop: Header=BB73_18 Depth=2
	s_add_u32 s40, s52, s0
	s_mov_b32 s38, s0
	s_mov_b32 s39, s0
	s_addc_u32 s41, s0, s0
	s_xor_b64 s[40:41], s[40:41], s[38:39]
	v_cvt_f32_u32_e32 v3, s40
	v_cvt_f32_u32_e32 v5, s41
	s_sub_u32 s0, 0, s40
	s_subb_u32 s1, 0, s41
	v_mac_f32_e32 v3, 0x4f800000, v5
	v_rcp_f32_e32 v3, v3
	v_mul_f32_e32 v3, 0x5f7ffffc, v3
	v_mul_f32_e32 v5, 0x2f800000, v3
	v_trunc_f32_e32 v5, v5
	v_mac_f32_e32 v3, 0xcf800000, v5
	v_cvt_u32_f32_e32 v5, v5
	v_cvt_u32_f32_e32 v3, v3
	v_mul_lo_u32 v7, s0, v5
	v_mul_hi_u32 v11, s0, v3
	v_mul_lo_u32 v9, s1, v3
	v_add_u32_e32 v7, v11, v7
	v_mul_lo_u32 v14, s0, v3
	v_add_u32_e32 v7, v7, v9
	v_mul_lo_u32 v11, v3, v7
	v_mul_hi_u32 v15, v3, v14
	v_mul_hi_u32 v9, v3, v7
	v_add_co_u32_e32 v11, vcc, v15, v11
	v_addc_co_u32_e32 v9, vcc, 0, v9, vcc
	v_mul_hi_u32 v16, v5, v14
	v_mul_lo_u32 v14, v5, v14
	v_add_co_u32_e32 v11, vcc, v11, v14
	v_mul_hi_u32 v15, v5, v7
	v_addc_co_u32_e32 v9, vcc, v9, v16, vcc
	v_addc_co_u32_e32 v11, vcc, 0, v15, vcc
	v_mul_lo_u32 v7, v5, v7
	v_add_co_u32_e32 v7, vcc, v9, v7
	v_addc_co_u32_e32 v9, vcc, 0, v11, vcc
	v_add_co_u32_e32 v3, vcc, v3, v7
	v_addc_co_u32_e32 v5, vcc, v5, v9, vcc
	v_mul_lo_u32 v7, s0, v5
	v_mul_hi_u32 v9, s0, v3
	v_add_u32_e32 v7, v9, v7
	v_mul_lo_u32 v9, s1, v3
	v_add_u32_e32 v7, v7, v9
	v_mul_lo_u32 v11, s0, v3
	v_mul_hi_u32 v14, v5, v11
	v_mul_lo_u32 v15, v5, v11
	v_mul_lo_u32 v17, v3, v7
	v_mul_hi_u32 v11, v3, v11
	v_mul_hi_u32 v16, v3, v7
	v_add_co_u32_e32 v11, vcc, v11, v17
	v_addc_co_u32_e32 v16, vcc, 0, v16, vcc
	v_add_co_u32_e32 v11, vcc, v11, v15
	v_mul_hi_u32 v9, v5, v7
	v_addc_co_u32_e32 v11, vcc, v16, v14, vcc
	v_addc_co_u32_e32 v9, vcc, 0, v9, vcc
	v_mul_lo_u32 v7, v5, v7
	v_add_co_u32_e32 v7, vcc, v11, v7
	v_addc_co_u32_e32 v9, vcc, 0, v9, vcc
	v_add_co_u32_e32 v3, vcc, v3, v7
	v_addc_co_u32_e32 v5, vcc, v5, v9, vcc
	v_ashrrev_i32_e32 v7, 31, v13
	v_add_co_u32_e32 v9, vcc, v12, v7
	v_xor_b32_e32 v9, v9, v7
	v_addc_co_u32_e32 v11, vcc, v13, v7, vcc
	v_mad_u64_u32 v[14:15], s[0:1], v9, v5, 0
	v_mul_hi_u32 v13, v9, v3
	v_xor_b32_e32 v11, v11, v7
	v_add_co_u32_e32 v13, vcc, v13, v14
	v_addc_co_u32_e32 v18, vcc, 0, v15, vcc
	v_mad_u64_u32 v[16:17], s[0:1], v11, v3, 0
	v_add_co_u32_e32 v3, vcc, v13, v16
	v_mad_u64_u32 v[14:15], s[0:1], v11, v5, 0
	v_addc_co_u32_e32 v3, vcc, v18, v17, vcc
	v_addc_co_u32_e32 v5, vcc, 0, v15, vcc
	v_add_co_u32_e32 v3, vcc, v3, v14
	v_addc_co_u32_e32 v5, vcc, 0, v5, vcc
	v_mul_lo_u32 v13, s41, v3
	v_mul_lo_u32 v16, s40, v5
	v_mad_u64_u32 v[14:15], s[0:1], s40, v3, 0
	v_add3_u32 v13, v15, v16, v13
	v_sub_u32_e32 v15, v11, v13
	v_mov_b32_e32 v16, s41
	v_sub_co_u32_e32 v9, vcc, v9, v14
	v_subb_co_u32_e64 v14, s[0:1], v15, v16, vcc
	v_subrev_co_u32_e64 v15, s[0:1], s40, v9
	v_subbrev_co_u32_e64 v14, s[0:1], 0, v14, s[0:1]
	v_cmp_le_u32_e64 s[0:1], s41, v14
	v_cndmask_b32_e64 v16, 0, -1, s[0:1]
	v_cmp_le_u32_e64 s[0:1], s40, v15
	v_cndmask_b32_e64 v15, 0, -1, s[0:1]
	v_cmp_eq_u32_e64 s[0:1], s41, v14
	v_cndmask_b32_e64 v14, v16, v15, s[0:1]
	v_add_co_u32_e64 v15, s[0:1], 2, v3
	v_subb_co_u32_e32 v11, vcc, v11, v13, vcc
	v_addc_co_u32_e64 v16, s[0:1], 0, v5, s[0:1]
	v_cmp_le_u32_e32 vcc, s41, v11
	v_add_co_u32_e64 v17, s[0:1], 1, v3
	v_cndmask_b32_e64 v13, 0, -1, vcc
	v_cmp_le_u32_e32 vcc, s40, v9
	v_addc_co_u32_e64 v18, s[0:1], 0, v5, s[0:1]
	v_cndmask_b32_e64 v9, 0, -1, vcc
	v_cmp_eq_u32_e32 vcc, s41, v11
	v_cmp_ne_u32_e64 s[0:1], 0, v14
	v_cndmask_b32_e32 v9, v13, v9, vcc
	v_cmp_ne_u32_e32 vcc, 0, v9
	v_cndmask_b32_e64 v9, v17, v15, s[0:1]
	v_cndmask_b32_e64 v14, v18, v16, s[0:1]
	v_cndmask_b32_e32 v3, v3, v9, vcc
	v_xor_b32_e32 v9, s39, v7
	v_xor_b32_e32 v7, s38, v7
	v_cndmask_b32_e32 v5, v5, v14, vcc
	v_xor_b32_e32 v3, v3, v7
	v_xor_b32_e32 v5, v5, v9
	v_sub_co_u32_e32 v14, vcc, v3, v7
	v_subb_co_u32_e32 v15, vcc, v5, v9, vcc
.LBB73_20:                              ;   in Loop: Header=BB73_18 Depth=2
	s_andn2_saveexec_b64 s[0:1], s[36:37]
	s_cbranch_execz .LBB73_22
; %bb.21:                               ;   in Loop: Header=BB73_18 Depth=2
	v_cvt_f32_u32_e32 v3, s52
	s_sub_i32 s36, 0, s52
	v_mov_b32_e32 v15, v2
	v_rcp_iflag_f32_e32 v3, v3
	v_mul_f32_e32 v3, 0x4f7ffffe, v3
	v_cvt_u32_f32_e32 v3, v3
	v_mul_lo_u32 v5, s36, v3
	v_mul_hi_u32 v5, v3, v5
	v_add_u32_e32 v3, v3, v5
	v_mul_hi_u32 v3, v12, v3
	v_mul_lo_u32 v5, v3, s52
	v_sub_u32_e32 v5, v12, v5
	v_add_u32_e32 v7, 1, v3
	v_subrev_u32_e32 v9, s52, v5
	v_cmp_le_u32_e32 vcc, s52, v5
	v_cndmask_b32_e32 v5, v5, v9, vcc
	v_cndmask_b32_e32 v3, v3, v7, vcc
	v_add_u32_e32 v7, 1, v3
	v_cmp_le_u32_e32 vcc, s52, v5
	v_cndmask_b32_e32 v14, v3, v7, vcc
.LBB73_22:                              ;   in Loop: Header=BB73_18 Depth=2
	s_or_b64 exec, exec, s[0:1]
	s_add_u32 s0, s46, s2
	s_addc_u32 s1, s47, s3
	s_add_i32 s2, s20, -1
	s_mov_b32 s3, s21
	s_lshl_b64 s[36:37], s[2:3], 2
	s_add_u32 s2, s33, s36
	s_addc_u32 s3, s42, s37
	s_load_dword s53, s[2:3], 0x8
	s_load_dword s54, s[34:35], 0x6c
	;; [unrolled: 1-line block ×3, first 2 shown]
                                        ; implicit-def: $vgpr16_vgpr17
	s_waitcnt lgkmcnt(0)
	s_ashr_i32 s0, s53, 31
	v_or_b32_e32 v3, s0, v15
	v_cmp_ne_u64_e32 vcc, 0, v[2:3]
	s_and_saveexec_b64 s[34:35], vcc
	s_xor_b64 s[34:35], exec, s[34:35]
	s_cbranch_execz .LBB73_24
; %bb.23:                               ;   in Loop: Header=BB73_18 Depth=2
	s_add_u32 s40, s53, s0
	s_mov_b32 s38, s0
	s_mov_b32 s39, s0
	s_addc_u32 s41, s0, s0
	s_xor_b64 s[40:41], s[40:41], s[38:39]
	v_cvt_f32_u32_e32 v3, s40
	v_cvt_f32_u32_e32 v5, s41
	s_sub_u32 s0, 0, s40
	s_subb_u32 s1, 0, s41
	v_mac_f32_e32 v3, 0x4f800000, v5
	v_rcp_f32_e32 v3, v3
	v_mul_f32_e32 v3, 0x5f7ffffc, v3
	v_mul_f32_e32 v5, 0x2f800000, v3
	v_trunc_f32_e32 v5, v5
	v_mac_f32_e32 v3, 0xcf800000, v5
	v_cvt_u32_f32_e32 v5, v5
	v_cvt_u32_f32_e32 v3, v3
	v_mul_lo_u32 v7, s0, v5
	v_mul_hi_u32 v11, s0, v3
	v_mul_lo_u32 v9, s1, v3
	v_add_u32_e32 v7, v11, v7
	v_mul_lo_u32 v13, s0, v3
	v_add_u32_e32 v7, v7, v9
	v_mul_lo_u32 v11, v3, v7
	v_mul_hi_u32 v16, v3, v13
	v_mul_hi_u32 v9, v3, v7
	v_add_co_u32_e32 v11, vcc, v16, v11
	v_addc_co_u32_e32 v9, vcc, 0, v9, vcc
	v_mul_hi_u32 v17, v5, v13
	v_mul_lo_u32 v13, v5, v13
	v_add_co_u32_e32 v11, vcc, v11, v13
	v_mul_hi_u32 v16, v5, v7
	v_addc_co_u32_e32 v9, vcc, v9, v17, vcc
	v_addc_co_u32_e32 v11, vcc, 0, v16, vcc
	v_mul_lo_u32 v7, v5, v7
	v_add_co_u32_e32 v7, vcc, v9, v7
	v_addc_co_u32_e32 v9, vcc, 0, v11, vcc
	v_add_co_u32_e32 v3, vcc, v3, v7
	v_addc_co_u32_e32 v5, vcc, v5, v9, vcc
	v_mul_lo_u32 v7, s0, v5
	v_mul_hi_u32 v9, s0, v3
	v_add_u32_e32 v7, v9, v7
	v_mul_lo_u32 v9, s1, v3
	v_add_u32_e32 v7, v7, v9
	v_mul_lo_u32 v11, s0, v3
	v_mul_hi_u32 v13, v5, v11
	v_mul_lo_u32 v16, v5, v11
	v_mul_lo_u32 v18, v3, v7
	v_mul_hi_u32 v11, v3, v11
	v_mul_hi_u32 v17, v3, v7
	v_add_co_u32_e32 v11, vcc, v11, v18
	v_addc_co_u32_e32 v17, vcc, 0, v17, vcc
	v_add_co_u32_e32 v11, vcc, v11, v16
	v_mul_hi_u32 v9, v5, v7
	v_addc_co_u32_e32 v11, vcc, v17, v13, vcc
	v_addc_co_u32_e32 v9, vcc, 0, v9, vcc
	v_mul_lo_u32 v7, v5, v7
	v_add_co_u32_e32 v7, vcc, v11, v7
	v_addc_co_u32_e32 v9, vcc, 0, v9, vcc
	v_add_co_u32_e32 v3, vcc, v3, v7
	v_addc_co_u32_e32 v5, vcc, v5, v9, vcc
	v_ashrrev_i32_e32 v7, 31, v15
	v_add_co_u32_e32 v9, vcc, v14, v7
	v_xor_b32_e32 v9, v9, v7
	v_addc_co_u32_e32 v11, vcc, v15, v7, vcc
	v_mad_u64_u32 v[16:17], s[0:1], v9, v5, 0
	v_mul_hi_u32 v13, v9, v3
	v_xor_b32_e32 v11, v11, v7
	v_add_co_u32_e32 v13, vcc, v13, v16
	v_addc_co_u32_e32 v15, vcc, 0, v17, vcc
	v_mad_u64_u32 v[18:19], s[0:1], v11, v3, 0
	v_add_co_u32_e32 v3, vcc, v13, v18
	v_mad_u64_u32 v[16:17], s[0:1], v11, v5, 0
	v_addc_co_u32_e32 v3, vcc, v15, v19, vcc
	v_addc_co_u32_e32 v5, vcc, 0, v17, vcc
	v_add_co_u32_e32 v3, vcc, v3, v16
	v_addc_co_u32_e32 v5, vcc, 0, v5, vcc
	v_mul_lo_u32 v13, s41, v3
	v_mul_lo_u32 v15, s40, v5
	v_mad_u64_u32 v[16:17], s[0:1], s40, v3, 0
	v_add3_u32 v13, v17, v15, v13
	v_sub_u32_e32 v15, v11, v13
	v_mov_b32_e32 v17, s41
	v_sub_co_u32_e32 v9, vcc, v9, v16
	v_subb_co_u32_e64 v15, s[0:1], v15, v17, vcc
	v_subrev_co_u32_e64 v16, s[0:1], s40, v9
	v_subbrev_co_u32_e64 v15, s[0:1], 0, v15, s[0:1]
	v_cmp_le_u32_e64 s[0:1], s41, v15
	v_cndmask_b32_e64 v17, 0, -1, s[0:1]
	v_cmp_le_u32_e64 s[0:1], s40, v16
	v_cndmask_b32_e64 v16, 0, -1, s[0:1]
	v_cmp_eq_u32_e64 s[0:1], s41, v15
	v_cndmask_b32_e64 v15, v17, v16, s[0:1]
	v_add_co_u32_e64 v16, s[0:1], 2, v3
	v_subb_co_u32_e32 v11, vcc, v11, v13, vcc
	v_addc_co_u32_e64 v17, s[0:1], 0, v5, s[0:1]
	v_cmp_le_u32_e32 vcc, s41, v11
	v_add_co_u32_e64 v18, s[0:1], 1, v3
	v_cndmask_b32_e64 v13, 0, -1, vcc
	v_cmp_le_u32_e32 vcc, s40, v9
	v_addc_co_u32_e64 v19, s[0:1], 0, v5, s[0:1]
	v_cndmask_b32_e64 v9, 0, -1, vcc
	v_cmp_eq_u32_e32 vcc, s41, v11
	v_cmp_ne_u32_e64 s[0:1], 0, v15
	v_cndmask_b32_e32 v9, v13, v9, vcc
	v_cmp_ne_u32_e32 vcc, 0, v9
	v_cndmask_b32_e64 v9, v18, v16, s[0:1]
	v_cndmask_b32_e64 v15, v19, v17, s[0:1]
	v_cndmask_b32_e32 v3, v3, v9, vcc
	v_xor_b32_e32 v9, s39, v7
	v_xor_b32_e32 v7, s38, v7
	v_cndmask_b32_e32 v5, v5, v15, vcc
	v_xor_b32_e32 v3, v3, v7
	v_xor_b32_e32 v5, v5, v9
	v_sub_co_u32_e32 v16, vcc, v3, v7
	v_subb_co_u32_e32 v17, vcc, v5, v9, vcc
.LBB73_24:                              ;   in Loop: Header=BB73_18 Depth=2
	s_andn2_saveexec_b64 s[0:1], s[34:35]
	s_cbranch_execz .LBB73_26
; %bb.25:                               ;   in Loop: Header=BB73_18 Depth=2
	v_cvt_f32_u32_e32 v3, s53
	s_sub_i32 s34, 0, s53
	v_mov_b32_e32 v17, v2
	v_rcp_iflag_f32_e32 v3, v3
	v_mul_f32_e32 v3, 0x4f7ffffe, v3
	v_cvt_u32_f32_e32 v3, v3
	v_mul_lo_u32 v5, s34, v3
	v_mul_hi_u32 v5, v3, v5
	v_add_u32_e32 v3, v3, v5
	v_mul_hi_u32 v3, v14, v3
	v_mul_lo_u32 v5, v3, s53
	v_sub_u32_e32 v5, v14, v5
	v_add_u32_e32 v7, 1, v3
	v_subrev_u32_e32 v9, s53, v5
	v_cmp_le_u32_e32 vcc, s53, v5
	v_cndmask_b32_e32 v5, v5, v9, vcc
	v_cndmask_b32_e32 v3, v3, v7, vcc
	v_add_u32_e32 v7, 1, v3
	v_cmp_le_u32_e32 vcc, s53, v5
	v_cndmask_b32_e32 v16, v3, v7, vcc
.LBB73_26:                              ;   in Loop: Header=BB73_18 Depth=2
	s_or_b64 exec, exec, s[0:1]
	s_add_u32 s0, s46, s36
	s_addc_u32 s1, s47, s37
	s_add_i32 s34, s20, -2
	s_mov_b32 s35, s21
	s_lshl_b64 s[34:35], s[34:35], 2
	s_add_u32 s36, s33, s34
	s_addc_u32 s37, s42, s35
	s_load_dword s56, s[36:37], 0x8
	s_load_dword s58, s[2:3], 0x6c
	s_load_dword s57, s[0:1], 0x0
                                        ; implicit-def: $vgpr18_vgpr19
	s_waitcnt lgkmcnt(0)
	s_ashr_i32 s0, s56, 31
	v_or_b32_e32 v3, s0, v17
	v_cmp_ne_u64_e32 vcc, 0, v[2:3]
	s_and_saveexec_b64 s[2:3], vcc
	s_xor_b64 s[2:3], exec, s[2:3]
	s_cbranch_execz .LBB73_28
; %bb.27:                               ;   in Loop: Header=BB73_18 Depth=2
	s_add_u32 s40, s56, s0
	s_mov_b32 s38, s0
	s_mov_b32 s39, s0
	s_addc_u32 s41, s0, s0
	s_xor_b64 s[40:41], s[40:41], s[38:39]
	v_cvt_f32_u32_e32 v3, s40
	v_cvt_f32_u32_e32 v5, s41
	s_sub_u32 s0, 0, s40
	s_subb_u32 s1, 0, s41
	v_mac_f32_e32 v3, 0x4f800000, v5
	v_rcp_f32_e32 v3, v3
	v_mul_f32_e32 v3, 0x5f7ffffc, v3
	v_mul_f32_e32 v5, 0x2f800000, v3
	v_trunc_f32_e32 v5, v5
	v_mac_f32_e32 v3, 0xcf800000, v5
	v_cvt_u32_f32_e32 v5, v5
	v_cvt_u32_f32_e32 v3, v3
	v_mul_lo_u32 v7, s0, v5
	v_mul_hi_u32 v11, s0, v3
	v_mul_lo_u32 v9, s1, v3
	v_add_u32_e32 v7, v11, v7
	v_mul_lo_u32 v13, s0, v3
	v_add_u32_e32 v7, v7, v9
	v_mul_lo_u32 v11, v3, v7
	v_mul_hi_u32 v15, v3, v13
	v_mul_hi_u32 v9, v3, v7
	v_add_co_u32_e32 v11, vcc, v15, v11
	v_addc_co_u32_e32 v9, vcc, 0, v9, vcc
	v_mul_hi_u32 v18, v5, v13
	v_mul_lo_u32 v13, v5, v13
	v_add_co_u32_e32 v11, vcc, v11, v13
	v_mul_hi_u32 v15, v5, v7
	v_addc_co_u32_e32 v9, vcc, v9, v18, vcc
	v_addc_co_u32_e32 v11, vcc, 0, v15, vcc
	v_mul_lo_u32 v7, v5, v7
	v_add_co_u32_e32 v7, vcc, v9, v7
	v_addc_co_u32_e32 v9, vcc, 0, v11, vcc
	v_add_co_u32_e32 v3, vcc, v3, v7
	v_addc_co_u32_e32 v5, vcc, v5, v9, vcc
	v_mul_lo_u32 v7, s0, v5
	v_mul_hi_u32 v9, s0, v3
	v_add_u32_e32 v7, v9, v7
	v_mul_lo_u32 v9, s1, v3
	v_add_u32_e32 v7, v7, v9
	v_mul_lo_u32 v11, s0, v3
	v_mul_hi_u32 v13, v5, v11
	v_mul_lo_u32 v15, v5, v11
	v_mul_lo_u32 v19, v3, v7
	v_mul_hi_u32 v11, v3, v11
	v_mul_hi_u32 v18, v3, v7
	v_add_co_u32_e32 v11, vcc, v11, v19
	v_addc_co_u32_e32 v18, vcc, 0, v18, vcc
	v_add_co_u32_e32 v11, vcc, v11, v15
	v_mul_hi_u32 v9, v5, v7
	v_addc_co_u32_e32 v11, vcc, v18, v13, vcc
	v_addc_co_u32_e32 v9, vcc, 0, v9, vcc
	v_mul_lo_u32 v7, v5, v7
	v_add_co_u32_e32 v7, vcc, v11, v7
	v_addc_co_u32_e32 v9, vcc, 0, v9, vcc
	v_add_co_u32_e32 v3, vcc, v3, v7
	v_addc_co_u32_e32 v5, vcc, v5, v9, vcc
	v_ashrrev_i32_e32 v7, 31, v17
	v_add_co_u32_e32 v9, vcc, v16, v7
	v_xor_b32_e32 v9, v9, v7
	v_addc_co_u32_e32 v11, vcc, v17, v7, vcc
	v_mad_u64_u32 v[18:19], s[0:1], v9, v5, 0
	v_mul_hi_u32 v13, v9, v3
	v_xor_b32_e32 v11, v11, v7
	v_add_co_u32_e32 v13, vcc, v13, v18
	v_addc_co_u32_e32 v15, vcc, 0, v19, vcc
	v_mad_u64_u32 v[20:21], s[0:1], v11, v3, 0
	v_add_co_u32_e32 v3, vcc, v13, v20
	v_mad_u64_u32 v[18:19], s[0:1], v11, v5, 0
	v_addc_co_u32_e32 v3, vcc, v15, v21, vcc
	v_addc_co_u32_e32 v5, vcc, 0, v19, vcc
	v_add_co_u32_e32 v3, vcc, v3, v18
	v_addc_co_u32_e32 v5, vcc, 0, v5, vcc
	v_mul_lo_u32 v13, s41, v3
	v_mul_lo_u32 v15, s40, v5
	v_mad_u64_u32 v[18:19], s[0:1], s40, v3, 0
	v_add3_u32 v13, v19, v15, v13
	v_sub_u32_e32 v15, v11, v13
	v_mov_b32_e32 v17, s41
	v_sub_co_u32_e32 v9, vcc, v9, v18
	v_subb_co_u32_e64 v15, s[0:1], v15, v17, vcc
	v_subrev_co_u32_e64 v17, s[0:1], s40, v9
	v_subbrev_co_u32_e64 v15, s[0:1], 0, v15, s[0:1]
	v_cmp_le_u32_e64 s[0:1], s41, v15
	v_cndmask_b32_e64 v18, 0, -1, s[0:1]
	v_cmp_le_u32_e64 s[0:1], s40, v17
	v_cndmask_b32_e64 v17, 0, -1, s[0:1]
	v_cmp_eq_u32_e64 s[0:1], s41, v15
	v_cndmask_b32_e64 v15, v18, v17, s[0:1]
	v_add_co_u32_e64 v17, s[0:1], 2, v3
	v_subb_co_u32_e32 v11, vcc, v11, v13, vcc
	v_addc_co_u32_e64 v18, s[0:1], 0, v5, s[0:1]
	v_cmp_le_u32_e32 vcc, s41, v11
	v_add_co_u32_e64 v19, s[0:1], 1, v3
	v_cndmask_b32_e64 v13, 0, -1, vcc
	v_cmp_le_u32_e32 vcc, s40, v9
	v_addc_co_u32_e64 v20, s[0:1], 0, v5, s[0:1]
	v_cndmask_b32_e64 v9, 0, -1, vcc
	v_cmp_eq_u32_e32 vcc, s41, v11
	v_cmp_ne_u32_e64 s[0:1], 0, v15
	v_cndmask_b32_e32 v9, v13, v9, vcc
	v_cmp_ne_u32_e32 vcc, 0, v9
	v_cndmask_b32_e64 v9, v19, v17, s[0:1]
	v_cndmask_b32_e64 v15, v20, v18, s[0:1]
	v_cndmask_b32_e32 v3, v3, v9, vcc
	v_xor_b32_e32 v9, s39, v7
	v_xor_b32_e32 v7, s38, v7
	v_cndmask_b32_e32 v5, v5, v15, vcc
	v_xor_b32_e32 v3, v3, v7
	v_xor_b32_e32 v5, v5, v9
	v_sub_co_u32_e32 v18, vcc, v3, v7
	v_subb_co_u32_e32 v19, vcc, v5, v9, vcc
.LBB73_28:                              ;   in Loop: Header=BB73_18 Depth=2
	s_andn2_saveexec_b64 s[0:1], s[2:3]
	s_cbranch_execz .LBB73_30
; %bb.29:                               ;   in Loop: Header=BB73_18 Depth=2
	v_cvt_f32_u32_e32 v3, s56
	s_sub_i32 s2, 0, s56
	v_mov_b32_e32 v19, v2
	v_rcp_iflag_f32_e32 v3, v3
	v_mul_f32_e32 v3, 0x4f7ffffe, v3
	v_cvt_u32_f32_e32 v3, v3
	v_mul_lo_u32 v5, s2, v3
	v_mul_hi_u32 v5, v3, v5
	v_add_u32_e32 v3, v3, v5
	v_mul_hi_u32 v3, v16, v3
	v_mul_lo_u32 v5, v3, s56
	v_sub_u32_e32 v5, v16, v5
	v_add_u32_e32 v7, 1, v3
	v_subrev_u32_e32 v9, s56, v5
	v_cmp_le_u32_e32 vcc, s56, v5
	v_cndmask_b32_e32 v5, v5, v9, vcc
	v_cndmask_b32_e32 v3, v3, v7, vcc
	v_add_u32_e32 v7, 1, v3
	v_cmp_le_u32_e32 vcc, s56, v5
	v_cndmask_b32_e32 v18, v3, v7, vcc
.LBB73_30:                              ;   in Loop: Header=BB73_18 Depth=2
	s_or_b64 exec, exec, s[0:1]
	s_add_u32 s0, s46, s34
	s_addc_u32 s1, s47, s35
	s_add_i32 s2, s20, -3
	s_mov_b32 s3, s21
	s_lshl_b64 s[2:3], s[2:3], 2
	s_add_u32 s34, s33, s2
	s_addc_u32 s35, s42, s3
	s_load_dword s59, s[34:35], 0x8
	s_load_dword s60, s[36:37], 0x6c
	;; [unrolled: 1-line block ×3, first 2 shown]
                                        ; implicit-def: $vgpr20_vgpr21
	s_waitcnt lgkmcnt(0)
	s_ashr_i32 s0, s59, 31
	v_or_b32_e32 v3, s0, v19
	v_cmp_ne_u64_e32 vcc, 0, v[2:3]
	s_and_saveexec_b64 s[36:37], vcc
	s_xor_b64 s[36:37], exec, s[36:37]
	s_cbranch_execz .LBB73_32
; %bb.31:                               ;   in Loop: Header=BB73_18 Depth=2
	s_add_u32 s40, s59, s0
	s_mov_b32 s38, s0
	s_mov_b32 s39, s0
	s_addc_u32 s41, s0, s0
	s_xor_b64 s[40:41], s[40:41], s[38:39]
	v_cvt_f32_u32_e32 v3, s40
	v_cvt_f32_u32_e32 v5, s41
	s_sub_u32 s0, 0, s40
	s_subb_u32 s1, 0, s41
	v_mac_f32_e32 v3, 0x4f800000, v5
	v_rcp_f32_e32 v3, v3
	v_mul_f32_e32 v3, 0x5f7ffffc, v3
	v_mul_f32_e32 v5, 0x2f800000, v3
	v_trunc_f32_e32 v5, v5
	v_mac_f32_e32 v3, 0xcf800000, v5
	v_cvt_u32_f32_e32 v5, v5
	v_cvt_u32_f32_e32 v3, v3
	v_mul_lo_u32 v7, s0, v5
	v_mul_hi_u32 v11, s0, v3
	v_mul_lo_u32 v9, s1, v3
	v_add_u32_e32 v7, v11, v7
	v_mul_lo_u32 v13, s0, v3
	v_add_u32_e32 v7, v7, v9
	v_mul_lo_u32 v11, v3, v7
	v_mul_hi_u32 v15, v3, v13
	v_mul_hi_u32 v9, v3, v7
	v_add_co_u32_e32 v11, vcc, v15, v11
	v_addc_co_u32_e32 v9, vcc, 0, v9, vcc
	v_mul_hi_u32 v17, v5, v13
	v_mul_lo_u32 v13, v5, v13
	v_add_co_u32_e32 v11, vcc, v11, v13
	v_mul_hi_u32 v15, v5, v7
	v_addc_co_u32_e32 v9, vcc, v9, v17, vcc
	v_addc_co_u32_e32 v11, vcc, 0, v15, vcc
	v_mul_lo_u32 v7, v5, v7
	v_add_co_u32_e32 v7, vcc, v9, v7
	v_addc_co_u32_e32 v9, vcc, 0, v11, vcc
	v_add_co_u32_e32 v3, vcc, v3, v7
	v_addc_co_u32_e32 v5, vcc, v5, v9, vcc
	v_mul_lo_u32 v7, s0, v5
	v_mul_hi_u32 v9, s0, v3
	v_add_u32_e32 v7, v9, v7
	v_mul_lo_u32 v9, s1, v3
	v_add_u32_e32 v7, v7, v9
	v_mul_lo_u32 v11, s0, v3
	v_mul_hi_u32 v13, v5, v11
	v_mul_lo_u32 v15, v5, v11
	v_mul_lo_u32 v20, v3, v7
	v_mul_hi_u32 v11, v3, v11
	v_mul_hi_u32 v17, v3, v7
	v_add_co_u32_e32 v11, vcc, v11, v20
	v_addc_co_u32_e32 v17, vcc, 0, v17, vcc
	v_add_co_u32_e32 v11, vcc, v11, v15
	v_mul_hi_u32 v9, v5, v7
	v_addc_co_u32_e32 v11, vcc, v17, v13, vcc
	v_addc_co_u32_e32 v9, vcc, 0, v9, vcc
	v_mul_lo_u32 v7, v5, v7
	v_add_co_u32_e32 v7, vcc, v11, v7
	v_addc_co_u32_e32 v9, vcc, 0, v9, vcc
	v_add_co_u32_e32 v3, vcc, v3, v7
	v_addc_co_u32_e32 v5, vcc, v5, v9, vcc
	v_ashrrev_i32_e32 v7, 31, v19
	v_add_co_u32_e32 v9, vcc, v18, v7
	v_xor_b32_e32 v9, v9, v7
	v_addc_co_u32_e32 v11, vcc, v19, v7, vcc
	v_mad_u64_u32 v[20:21], s[0:1], v9, v5, 0
	v_mul_hi_u32 v13, v9, v3
	v_xor_b32_e32 v11, v11, v7
	v_add_co_u32_e32 v13, vcc, v13, v20
	v_addc_co_u32_e32 v15, vcc, 0, v21, vcc
	v_mad_u64_u32 v[24:25], s[0:1], v11, v3, 0
	v_add_co_u32_e32 v3, vcc, v13, v24
	v_mad_u64_u32 v[20:21], s[0:1], v11, v5, 0
	v_addc_co_u32_e32 v3, vcc, v15, v25, vcc
	v_addc_co_u32_e32 v5, vcc, 0, v21, vcc
	v_add_co_u32_e32 v3, vcc, v3, v20
	v_addc_co_u32_e32 v5, vcc, 0, v5, vcc
	v_mul_lo_u32 v13, s41, v3
	v_mul_lo_u32 v15, s40, v5
	v_mad_u64_u32 v[20:21], s[0:1], s40, v3, 0
	v_add3_u32 v13, v21, v15, v13
	v_sub_u32_e32 v15, v11, v13
	v_mov_b32_e32 v17, s41
	v_sub_co_u32_e32 v9, vcc, v9, v20
	v_subb_co_u32_e64 v15, s[0:1], v15, v17, vcc
	v_subrev_co_u32_e64 v17, s[0:1], s40, v9
	v_subbrev_co_u32_e64 v15, s[0:1], 0, v15, s[0:1]
	v_cmp_le_u32_e64 s[0:1], s41, v15
	v_cndmask_b32_e64 v19, 0, -1, s[0:1]
	v_cmp_le_u32_e64 s[0:1], s40, v17
	v_cndmask_b32_e64 v17, 0, -1, s[0:1]
	v_cmp_eq_u32_e64 s[0:1], s41, v15
	v_cndmask_b32_e64 v15, v19, v17, s[0:1]
	v_add_co_u32_e64 v17, s[0:1], 2, v3
	v_subb_co_u32_e32 v11, vcc, v11, v13, vcc
	v_addc_co_u32_e64 v19, s[0:1], 0, v5, s[0:1]
	v_cmp_le_u32_e32 vcc, s41, v11
	v_add_co_u32_e64 v20, s[0:1], 1, v3
	v_cndmask_b32_e64 v13, 0, -1, vcc
	v_cmp_le_u32_e32 vcc, s40, v9
	v_addc_co_u32_e64 v21, s[0:1], 0, v5, s[0:1]
	v_cndmask_b32_e64 v9, 0, -1, vcc
	v_cmp_eq_u32_e32 vcc, s41, v11
	v_cmp_ne_u32_e64 s[0:1], 0, v15
	v_cndmask_b32_e32 v9, v13, v9, vcc
	v_cmp_ne_u32_e32 vcc, 0, v9
	v_cndmask_b32_e64 v9, v20, v17, s[0:1]
	v_cndmask_b32_e64 v15, v21, v19, s[0:1]
	v_cndmask_b32_e32 v3, v3, v9, vcc
	v_xor_b32_e32 v9, s39, v7
	v_xor_b32_e32 v7, s38, v7
	v_cndmask_b32_e32 v5, v5, v15, vcc
	v_xor_b32_e32 v3, v3, v7
	v_xor_b32_e32 v5, v5, v9
	v_sub_co_u32_e32 v20, vcc, v3, v7
	v_subb_co_u32_e32 v21, vcc, v5, v9, vcc
.LBB73_32:                              ;   in Loop: Header=BB73_18 Depth=2
	s_andn2_saveexec_b64 s[0:1], s[36:37]
	s_cbranch_execz .LBB73_34
; %bb.33:                               ;   in Loop: Header=BB73_18 Depth=2
	v_cvt_f32_u32_e32 v3, s59
	s_sub_i32 s36, 0, s59
	v_mov_b32_e32 v21, v2
	v_rcp_iflag_f32_e32 v3, v3
	v_mul_f32_e32 v3, 0x4f7ffffe, v3
	v_cvt_u32_f32_e32 v3, v3
	v_mul_lo_u32 v5, s36, v3
	v_mul_hi_u32 v5, v3, v5
	v_add_u32_e32 v3, v3, v5
	v_mul_hi_u32 v3, v18, v3
	v_mul_lo_u32 v5, v3, s59
	v_sub_u32_e32 v5, v18, v5
	v_add_u32_e32 v7, 1, v3
	v_subrev_u32_e32 v9, s59, v5
	v_cmp_le_u32_e32 vcc, s59, v5
	v_cndmask_b32_e32 v5, v5, v9, vcc
	v_cndmask_b32_e32 v3, v3, v7, vcc
	v_add_u32_e32 v7, 1, v3
	v_cmp_le_u32_e32 vcc, s59, v5
	v_cndmask_b32_e32 v20, v3, v7, vcc
.LBB73_34:                              ;   in Loop: Header=BB73_18 Depth=2
	s_or_b64 exec, exec, s[0:1]
	s_add_u32 s0, s46, s2
	v_mul_lo_u32 v3, v14, s52
	v_mul_lo_u32 v7, v16, s53
	s_load_dword s2, s[34:35], 0x6c
	s_addc_u32 s1, s47, s3
	s_load_dword s0, s[0:1], 0x0
	v_sub_u32_e32 v3, v12, v3
	v_sub_u32_e32 v7, v14, v7
	v_mul_lo_u32 v5, s54, v3
	v_mul_lo_u32 v3, s55, v3
	;; [unrolled: 1-line block ×4, first 2 shown]
	v_add3_u32 v5, v5, v10, v9
	v_add3_u32 v3, v3, v8, v7
	v_mul_lo_u32 v7, v18, s56
	v_mul_lo_u32 v9, v20, s59
	v_sub_u32_e32 v7, v16, v7
	v_sub_u32_e32 v9, v18, v9
	v_mul_lo_u32 v8, s60, v7
	s_waitcnt lgkmcnt(0)
	v_mul_lo_u32 v10, s2, v9
	v_mul_lo_u32 v7, s61, v7
	v_add3_u32 v10, v8, v5, v10
	v_mul_lo_u32 v5, s0, v9
	s_add_i32 s20, s20, -4
	s_cmp_eq_u32 s20, -1
	v_add3_u32 v8, v7, v3, v5
	s_cbranch_scc1 .LBB73_41
; %bb.35:                               ;   in Loop: Header=BB73_18 Depth=2
	v_pk_mov_b32 v[12:13], v[20:21], v[20:21] op_sel:[0,1]
	s_branch .LBB73_18
.LBB73_36:                              ;   in Loop: Header=BB73_37 Depth=2
	s_or_b64 exec, exec, s[0:1]
	s_load_dword s34, s[34:35], 0x6c
	s_add_u32 s0, s46, s2
	s_addc_u32 s1, s47, s3
	s_load_dword s2, s[0:1], 0x0
	v_mul_lo_u32 v3, v12, s53
	v_sub_u32_e32 v3, v14, v3
	s_waitcnt lgkmcnt(0)
	v_mad_u64_u32 v[10:11], s[0:1], s34, v3, v[10:11]
	s_add_i32 s20, s20, -1
	s_xor_b32 s0, s51, s52
	s_add_i32 s52, s52, 1
	s_cmp_lg_u32 s0, 2
	v_mad_u64_u32 v[8:9], s[0:1], s2, v3, v[8:9]
	s_cbranch_scc0 .LBB73_17
.LBB73_37:                              ;   Parent Loop BB73_3 Depth=1
                                        ; =>  This Inner Loop Header: Depth=2
	s_lshl_b64 s[2:3], s[20:21], 2
	s_add_u32 s34, s33, s2
	s_addc_u32 s35, s42, s3
	s_load_dword s53, s[34:35], 0x8
	v_pk_mov_b32 v[14:15], v[12:13], v[12:13] op_sel:[0,1]
                                        ; implicit-def: $vgpr12_vgpr13
	s_waitcnt lgkmcnt(0)
	s_ashr_i32 s0, s53, 31
	v_or_b32_e32 v3, s0, v15
	v_cmp_ne_u64_e32 vcc, 0, v[2:3]
	s_and_saveexec_b64 s[36:37], vcc
	s_xor_b64 s[36:37], exec, s[36:37]
	s_cbranch_execz .LBB73_39
; %bb.38:                               ;   in Loop: Header=BB73_37 Depth=2
	s_add_u32 s40, s53, s0
	s_mov_b32 s38, s0
	s_mov_b32 s39, s0
	s_addc_u32 s41, s0, s0
	s_xor_b64 s[40:41], s[40:41], s[38:39]
	v_cvt_f32_u32_e32 v3, s40
	v_cvt_f32_u32_e32 v5, s41
	s_sub_u32 s0, 0, s40
	s_subb_u32 s1, 0, s41
	v_mac_f32_e32 v3, 0x4f800000, v5
	v_rcp_f32_e32 v3, v3
	v_mul_f32_e32 v3, 0x5f7ffffc, v3
	v_mul_f32_e32 v5, 0x2f800000, v3
	v_trunc_f32_e32 v5, v5
	v_mac_f32_e32 v3, 0xcf800000, v5
	v_cvt_u32_f32_e32 v5, v5
	v_cvt_u32_f32_e32 v3, v3
	v_mul_lo_u32 v7, s0, v5
	v_mul_hi_u32 v11, s0, v3
	v_mul_lo_u32 v9, s1, v3
	v_add_u32_e32 v7, v11, v7
	v_mul_lo_u32 v12, s0, v3
	v_add_u32_e32 v7, v7, v9
	v_mul_lo_u32 v11, v3, v7
	v_mul_hi_u32 v13, v3, v12
	v_mul_hi_u32 v9, v3, v7
	v_add_co_u32_e32 v11, vcc, v13, v11
	v_addc_co_u32_e32 v9, vcc, 0, v9, vcc
	v_mul_hi_u32 v16, v5, v12
	v_mul_lo_u32 v12, v5, v12
	v_add_co_u32_e32 v11, vcc, v11, v12
	v_mul_hi_u32 v13, v5, v7
	v_addc_co_u32_e32 v9, vcc, v9, v16, vcc
	v_addc_co_u32_e32 v11, vcc, 0, v13, vcc
	v_mul_lo_u32 v7, v5, v7
	v_add_co_u32_e32 v7, vcc, v9, v7
	v_addc_co_u32_e32 v9, vcc, 0, v11, vcc
	v_add_co_u32_e32 v3, vcc, v3, v7
	v_addc_co_u32_e32 v5, vcc, v5, v9, vcc
	v_mul_lo_u32 v7, s0, v5
	v_mul_hi_u32 v9, s0, v3
	v_add_u32_e32 v7, v9, v7
	v_mul_lo_u32 v9, s1, v3
	v_add_u32_e32 v7, v7, v9
	v_mul_lo_u32 v11, s0, v3
	v_mul_hi_u32 v12, v5, v11
	v_mul_lo_u32 v13, v5, v11
	v_mul_lo_u32 v17, v3, v7
	v_mul_hi_u32 v11, v3, v11
	v_mul_hi_u32 v16, v3, v7
	v_add_co_u32_e32 v11, vcc, v11, v17
	v_addc_co_u32_e32 v16, vcc, 0, v16, vcc
	v_add_co_u32_e32 v11, vcc, v11, v13
	v_mul_hi_u32 v9, v5, v7
	v_addc_co_u32_e32 v11, vcc, v16, v12, vcc
	v_addc_co_u32_e32 v9, vcc, 0, v9, vcc
	v_mul_lo_u32 v7, v5, v7
	v_add_co_u32_e32 v7, vcc, v11, v7
	v_addc_co_u32_e32 v9, vcc, 0, v9, vcc
	v_add_co_u32_e32 v3, vcc, v3, v7
	v_addc_co_u32_e32 v5, vcc, v5, v9, vcc
	v_ashrrev_i32_e32 v7, 31, v15
	v_add_co_u32_e32 v9, vcc, v14, v7
	v_xor_b32_e32 v9, v9, v7
	v_addc_co_u32_e32 v11, vcc, v15, v7, vcc
	v_mad_u64_u32 v[12:13], s[0:1], v9, v5, 0
	v_mul_hi_u32 v15, v9, v3
	v_xor_b32_e32 v11, v11, v7
	v_add_co_u32_e32 v15, vcc, v15, v12
	v_addc_co_u32_e32 v18, vcc, 0, v13, vcc
	v_mad_u64_u32 v[16:17], s[0:1], v11, v3, 0
	v_add_co_u32_e32 v3, vcc, v15, v16
	v_mad_u64_u32 v[12:13], s[0:1], v11, v5, 0
	v_addc_co_u32_e32 v3, vcc, v18, v17, vcc
	v_addc_co_u32_e32 v5, vcc, 0, v13, vcc
	v_add_co_u32_e32 v3, vcc, v3, v12
	v_addc_co_u32_e32 v5, vcc, 0, v5, vcc
	v_mul_lo_u32 v15, s41, v3
	v_mul_lo_u32 v16, s40, v5
	v_mad_u64_u32 v[12:13], s[0:1], s40, v3, 0
	v_add3_u32 v13, v13, v16, v15
	v_sub_u32_e32 v15, v11, v13
	v_mov_b32_e32 v16, s41
	v_sub_co_u32_e32 v9, vcc, v9, v12
	v_subb_co_u32_e64 v12, s[0:1], v15, v16, vcc
	v_subrev_co_u32_e64 v15, s[0:1], s40, v9
	v_subbrev_co_u32_e64 v12, s[0:1], 0, v12, s[0:1]
	v_cmp_le_u32_e64 s[0:1], s41, v12
	v_cndmask_b32_e64 v16, 0, -1, s[0:1]
	v_cmp_le_u32_e64 s[0:1], s40, v15
	v_cndmask_b32_e64 v15, 0, -1, s[0:1]
	v_cmp_eq_u32_e64 s[0:1], s41, v12
	v_cndmask_b32_e64 v12, v16, v15, s[0:1]
	v_add_co_u32_e64 v15, s[0:1], 2, v3
	v_subb_co_u32_e32 v11, vcc, v11, v13, vcc
	v_addc_co_u32_e64 v16, s[0:1], 0, v5, s[0:1]
	v_cmp_le_u32_e32 vcc, s41, v11
	v_add_co_u32_e64 v17, s[0:1], 1, v3
	v_cndmask_b32_e64 v13, 0, -1, vcc
	v_cmp_le_u32_e32 vcc, s40, v9
	v_addc_co_u32_e64 v18, s[0:1], 0, v5, s[0:1]
	v_cndmask_b32_e64 v9, 0, -1, vcc
	v_cmp_eq_u32_e32 vcc, s41, v11
	v_cmp_ne_u32_e64 s[0:1], 0, v12
	v_cndmask_b32_e32 v9, v13, v9, vcc
	v_cmp_ne_u32_e32 vcc, 0, v9
	v_cndmask_b32_e64 v9, v17, v15, s[0:1]
	v_cndmask_b32_e64 v12, v18, v16, s[0:1]
	v_cndmask_b32_e32 v3, v3, v9, vcc
	v_xor_b32_e32 v9, s39, v7
	v_xor_b32_e32 v7, s38, v7
	v_cndmask_b32_e32 v5, v5, v12, vcc
	v_xor_b32_e32 v3, v3, v7
	v_xor_b32_e32 v5, v5, v9
	v_sub_co_u32_e32 v12, vcc, v3, v7
	v_subb_co_u32_e32 v13, vcc, v5, v9, vcc
.LBB73_39:                              ;   in Loop: Header=BB73_37 Depth=2
	s_andn2_saveexec_b64 s[0:1], s[36:37]
	s_cbranch_execz .LBB73_36
; %bb.40:                               ;   in Loop: Header=BB73_37 Depth=2
	v_cvt_f32_u32_e32 v3, s53
	s_sub_i32 s36, 0, s53
	v_mov_b32_e32 v13, v2
	v_rcp_iflag_f32_e32 v3, v3
	v_mul_f32_e32 v3, 0x4f7ffffe, v3
	v_cvt_u32_f32_e32 v3, v3
	v_mul_lo_u32 v5, s36, v3
	v_mul_hi_u32 v5, v3, v5
	v_add_u32_e32 v3, v3, v5
	v_mul_hi_u32 v3, v14, v3
	v_mul_lo_u32 v5, v3, s53
	v_sub_u32_e32 v5, v14, v5
	v_add_u32_e32 v7, 1, v3
	v_subrev_u32_e32 v9, s53, v5
	v_cmp_le_u32_e32 vcc, s53, v5
	v_cndmask_b32_e32 v5, v5, v9, vcc
	v_cndmask_b32_e32 v3, v3, v7, vcc
	v_add_u32_e32 v7, 1, v3
	v_cmp_le_u32_e32 vcc, s53, v5
	v_cndmask_b32_e32 v12, v3, v7, vcc
	s_branch .LBB73_36
.LBB73_41:                              ;   in Loop: Header=BB73_3 Depth=1
	v_mov_b32_e32 v3, v4
	v_sub_u32_e32 v4, v4, v6
	v_add_u32_e32 v4, 2, v4
	v_ashrrev_i32_e32 v5, 31, v4
	v_cmp_le_i64_e32 vcc, s[8:9], v[4:5]
                                        ; implicit-def: $vgpr4_vgpr5
                                        ; implicit-def: $vgpr12_vgpr13
	s_and_saveexec_b64 s[0:1], vcc
	s_xor_b64 s[0:1], exec, s[0:1]
	s_cbranch_execnz .LBB73_44
; %bb.42:                               ;   in Loop: Header=BB73_3 Depth=1
	s_andn2_saveexec_b64 s[0:1], s[0:1]
	s_cbranch_execnz .LBB73_49
.LBB73_43:                              ;   in Loop: Header=BB73_3 Depth=1
	s_or_b64 exec, exec, s[0:1]
	v_cmp_gt_i32_e32 vcc, s13, v3
	s_and_saveexec_b64 s[0:1], vcc
	s_cbranch_execz .LBB73_2
	s_branch .LBB73_50
.LBB73_44:                              ;   in Loop: Header=BB73_3 Depth=1
	v_pk_mov_b32 v[4:5], 0, 0
	v_cmp_gt_i32_e32 vcc, s13, v3
	v_pk_mov_b32 v[14:15], v[4:5], v[4:5] op_sel:[0,1]
	s_and_saveexec_b64 s[2:3], vcc
	s_cbranch_execz .LBB73_48
; %bb.45:                               ;   in Loop: Header=BB73_3 Depth=1
	v_ashrrev_i32_e32 v11, 31, v10
	v_lshlrev_b64 v[4:5], 3, v[10:11]
	v_mov_b32_e32 v7, s7
	v_add_co_u32_e32 v10, vcc, s6, v4
	v_addc_co_u32_e32 v11, vcc, v7, v5, vcc
	global_load_dwordx2 v[4:5], v[10:11], off
	v_add_u32_e32 v7, 1, v3
	v_cmp_gt_i32_e32 vcc, s13, v7
	v_pk_mov_b32 v[14:15], 0, 0
	s_and_saveexec_b64 s[34:35], vcc
	s_xor_b64 s[34:35], exec, s[34:35]
	s_cbranch_execz .LBB73_47
; %bb.46:                               ;   in Loop: Header=BB73_3 Depth=1
	v_mov_b32_e32 v7, s29
	v_add_co_u32_e32 v10, vcc, s28, v10
	v_addc_co_u32_e32 v11, vcc, v11, v7, vcc
	global_load_dwordx2 v[14:15], v[10:11], off
.LBB73_47:                              ;   in Loop: Header=BB73_3 Depth=1
	s_or_b64 exec, exec, s[34:35]
.LBB73_48:                              ;   in Loop: Header=BB73_3 Depth=1
	s_or_b64 exec, exec, s[2:3]
	v_sub_u32_e32 v6, v3, v6
	v_ashrrev_i32_e32 v7, 31, v6
	v_cmp_le_i64_e32 vcc, s[8:9], v[6:7]
	s_waitcnt vmcnt(0)
	v_cndmask_b32_e32 v12, 0, v4, vcc
	v_add_u32_e32 v4, 1, v6
	v_cndmask_b32_e32 v13, 0, v5, vcc
	v_ashrrev_i32_e32 v5, 31, v4
	v_cmp_le_i64_e32 vcc, s[8:9], v[4:5]
	v_cndmask_b32_e32 v5, 0, v15, vcc
	v_cndmask_b32_e32 v4, 0, v14, vcc
	s_andn2_saveexec_b64 s[0:1], s[0:1]
	s_cbranch_execz .LBB73_43
.LBB73_49:                              ;   in Loop: Header=BB73_3 Depth=1
	v_pk_mov_b32 v[12:13], 0, 0
	v_pk_mov_b32 v[4:5], v[12:13], v[12:13] op_sel:[0,1]
	s_or_b64 exec, exec, s[0:1]
	v_cmp_gt_i32_e32 vcc, s13, v3
	s_and_saveexec_b64 s[0:1], vcc
	s_cbranch_execz .LBB73_2
.LBB73_50:                              ;   in Loop: Header=BB73_3 Depth=1
	v_ashrrev_i32_e32 v9, 31, v8
	v_lshlrev_b64 v[6:7], 3, v[8:9]
	v_mov_b32_e32 v8, s5
	v_add_co_u32_e32 v6, vcc, s4, v6
	v_addc_co_u32_e32 v7, vcc, v8, v7, vcc
	v_add_u32_e32 v3, 1, v3
	v_cmp_gt_i32_e32 vcc, s13, v3
	global_store_dwordx2 v[6:7], v[12:13], off
	s_and_saveexec_b64 s[2:3], vcc
	s_xor_b64 s[2:3], exec, s[2:3]
	s_cbranch_execz .LBB73_2
; %bb.51:                               ;   in Loop: Header=BB73_3 Depth=1
	v_mov_b32_e32 v3, s31
	v_add_co_u32_e32 v6, vcc, s30, v6
	v_addc_co_u32_e32 v7, vcc, v7, v3, vcc
	global_store_dwordx2 v[6:7], v[4:5], off
	s_branch .LBB73_2
.LBB73_52:
	s_endpgm
	.section	.rodata,"a",@progbits
	.p2align	6, 0x0
	.amdhsa_kernel _ZN2at6native16triu_tril_kernelIdiLb1ELi2ELb0EEEvNS_4cuda6detail10TensorInfoIT_T0_EENS4_IKS5_S6_EEllS6_
		.amdhsa_group_segment_fixed_size 0
		.amdhsa_private_segment_fixed_size 0
		.amdhsa_kernarg_size 712
		.amdhsa_user_sgpr_count 6
		.amdhsa_user_sgpr_private_segment_buffer 1
		.amdhsa_user_sgpr_dispatch_ptr 0
		.amdhsa_user_sgpr_queue_ptr 0
		.amdhsa_user_sgpr_kernarg_segment_ptr 1
		.amdhsa_user_sgpr_dispatch_id 0
		.amdhsa_user_sgpr_flat_scratch_init 0
		.amdhsa_user_sgpr_kernarg_preload_length 0
		.amdhsa_user_sgpr_kernarg_preload_offset 0
		.amdhsa_user_sgpr_private_segment_size 0
		.amdhsa_uses_dynamic_stack 0
		.amdhsa_system_sgpr_private_segment_wavefront_offset 0
		.amdhsa_system_sgpr_workgroup_id_x 1
		.amdhsa_system_sgpr_workgroup_id_y 0
		.amdhsa_system_sgpr_workgroup_id_z 0
		.amdhsa_system_sgpr_workgroup_info 0
		.amdhsa_system_vgpr_workitem_id 0
		.amdhsa_next_free_vgpr 26
		.amdhsa_next_free_sgpr 62
		.amdhsa_accum_offset 28
		.amdhsa_reserve_vcc 1
		.amdhsa_reserve_flat_scratch 0
		.amdhsa_float_round_mode_32 0
		.amdhsa_float_round_mode_16_64 0
		.amdhsa_float_denorm_mode_32 3
		.amdhsa_float_denorm_mode_16_64 3
		.amdhsa_dx10_clamp 1
		.amdhsa_ieee_mode 1
		.amdhsa_fp16_overflow 0
		.amdhsa_tg_split 0
		.amdhsa_exception_fp_ieee_invalid_op 0
		.amdhsa_exception_fp_denorm_src 0
		.amdhsa_exception_fp_ieee_div_zero 0
		.amdhsa_exception_fp_ieee_overflow 0
		.amdhsa_exception_fp_ieee_underflow 0
		.amdhsa_exception_fp_ieee_inexact 0
		.amdhsa_exception_int_div_zero 0
	.end_amdhsa_kernel
	.section	.text._ZN2at6native16triu_tril_kernelIdiLb1ELi2ELb0EEEvNS_4cuda6detail10TensorInfoIT_T0_EENS4_IKS5_S6_EEllS6_,"axG",@progbits,_ZN2at6native16triu_tril_kernelIdiLb1ELi2ELb0EEEvNS_4cuda6detail10TensorInfoIT_T0_EENS4_IKS5_S6_EEllS6_,comdat
.Lfunc_end73:
	.size	_ZN2at6native16triu_tril_kernelIdiLb1ELi2ELb0EEEvNS_4cuda6detail10TensorInfoIT_T0_EENS4_IKS5_S6_EEllS6_, .Lfunc_end73-_ZN2at6native16triu_tril_kernelIdiLb1ELi2ELb0EEEvNS_4cuda6detail10TensorInfoIT_T0_EENS4_IKS5_S6_EEllS6_
                                        ; -- End function
	.section	.AMDGPU.csdata,"",@progbits
; Kernel info:
; codeLenInByte = 7668
; NumSgprs: 66
; NumVgprs: 26
; NumAgprs: 0
; TotalNumVgprs: 26
; ScratchSize: 0
; MemoryBound: 0
; FloatMode: 240
; IeeeMode: 1
; LDSByteSize: 0 bytes/workgroup (compile time only)
; SGPRBlocks: 8
; VGPRBlocks: 3
; NumSGPRsForWavesPerEU: 66
; NumVGPRsForWavesPerEU: 26
; AccumOffset: 28
; Occupancy: 8
; WaveLimiterHint : 0
; COMPUTE_PGM_RSRC2:SCRATCH_EN: 0
; COMPUTE_PGM_RSRC2:USER_SGPR: 6
; COMPUTE_PGM_RSRC2:TRAP_HANDLER: 0
; COMPUTE_PGM_RSRC2:TGID_X_EN: 1
; COMPUTE_PGM_RSRC2:TGID_Y_EN: 0
; COMPUTE_PGM_RSRC2:TGID_Z_EN: 0
; COMPUTE_PGM_RSRC2:TIDIG_COMP_CNT: 0
; COMPUTE_PGM_RSRC3_GFX90A:ACCUM_OFFSET: 6
; COMPUTE_PGM_RSRC3_GFX90A:TG_SPLIT: 0
	.section	.text._ZN2at6native16triu_tril_kernelIdlLb1ELi2ELb1EEEvNS_4cuda6detail10TensorInfoIT_T0_EENS4_IKS5_S6_EEllS6_,"axG",@progbits,_ZN2at6native16triu_tril_kernelIdlLb1ELi2ELb1EEEvNS_4cuda6detail10TensorInfoIT_T0_EENS4_IKS5_S6_EEllS6_,comdat
	.protected	_ZN2at6native16triu_tril_kernelIdlLb1ELi2ELb1EEEvNS_4cuda6detail10TensorInfoIT_T0_EENS4_IKS5_S6_EEllS6_ ; -- Begin function _ZN2at6native16triu_tril_kernelIdlLb1ELi2ELb1EEEvNS_4cuda6detail10TensorInfoIT_T0_EENS4_IKS5_S6_EEllS6_
	.globl	_ZN2at6native16triu_tril_kernelIdlLb1ELi2ELb1EEEvNS_4cuda6detail10TensorInfoIT_T0_EENS4_IKS5_S6_EEllS6_
	.p2align	8
	.type	_ZN2at6native16triu_tril_kernelIdlLb1ELi2ELb1EEEvNS_4cuda6detail10TensorInfoIT_T0_EENS4_IKS5_S6_EEllS6_,@function
_ZN2at6native16triu_tril_kernelIdlLb1ELi2ELb1EEEvNS_4cuda6detail10TensorInfoIT_T0_EENS4_IKS5_S6_EEllS6_: ; @_ZN2at6native16triu_tril_kernelIdlLb1ELi2ELb1EEEvNS_4cuda6detail10TensorInfoIT_T0_EENS4_IKS5_S6_EEllS6_
; %bb.0:
	s_load_dword s2, s[4:5], 0x364
	s_load_dwordx4 s[8:11], s[4:5], 0x340
	s_add_u32 s0, s4, 0x358
	v_mov_b32_e32 v2, 0
	s_addc_u32 s1, s5, 0
	s_waitcnt lgkmcnt(0)
	s_and_b32 s12, s2, 0xffff
	v_mov_b32_e32 v1, v2
	v_mov_b32_e32 v3, s6
	v_mad_u64_u32 v[0:1], s[2:3], s12, v3, v[0:1]
	v_lshlrev_b64 v[0:1], 1, v[0:1]
	v_cmp_gt_i64_e32 vcc, s[10:11], v[0:1]
	s_and_saveexec_b64 s[2:3], vcc
	s_cbranch_execz .LBB74_21
; %bb.1:
	s_load_dword s13, s[0:1], 0x0
	s_load_dword s18, s[4:5], 0x338
	s_load_dwordx2 s[2:3], s[4:5], 0x350
	s_load_dwordx2 s[6:7], s[4:5], 0x0
	s_mov_b32 s48, 0
	s_waitcnt lgkmcnt(0)
	s_mul_i32 s20, s13, s12
	s_ashr_i32 s19, s18, 31
	s_add_u32 s24, s4, 0x1a8
	s_addc_u32 s25, s5, 0
	s_lshl_b64 s[0:1], s[18:19], 3
	s_add_u32 s16, s0, -16
	s_addc_u32 s17, s1, -1
	s_add_u32 s14, s24, s16
	s_addc_u32 s15, s25, s17
	v_cmp_gt_i64_e64 s[12:13], s[18:19], 2
	s_add_u32 s19, s0, -8
	s_addc_u32 s21, s1, -1
	s_add_u32 s26, s4, 0xd0
	s_addc_u32 s27, s5, 0
	s_add_u32 s4, s26, s19
	v_cvt_f32_u32_e32 v3, s2
	s_addc_u32 s5, s27, s21
	s_add_u32 s16, s26, s16
	s_addc_u32 s17, s27, s17
	s_add_i32 s0, s18, -3
	s_ashr_i32 s1, s0, 31
	v_rcp_iflag_f32_e32 v3, v3
	s_add_u32 s18, s24, s19
	s_addc_u32 s19, s25, s21
	s_lshl_b32 s33, s20, 1
	s_lshl_b64 s[22:23], s[0:1], 3
	s_add_u32 s20, s26, s22
	s_load_dwordx2 s[14:15], s[14:15], 0x0
	s_addc_u32 s21, s27, s23
	v_mul_f32_e32 v3, 0x4f7ffffe, v3
	s_add_u32 s22, s24, s22
	v_cvt_u32_f32_e32 v12, v3
	s_addc_u32 s23, s25, s23
	s_add_u32 s24, s0, 1
	s_addc_u32 s25, s1, 0
	s_mov_b64 s[26:27], 0
	s_branch .LBB74_3
.LBB74_2:                               ;   in Loop: Header=BB74_3 Depth=1
	s_or_b64 exec, exec, s[28:29]
	v_mov_b32_e32 v3, s48
	v_add_co_u32_e32 v0, vcc, s33, v0
	v_addc_co_u32_e32 v1, vcc, v1, v3, vcc
	v_cmp_le_i64_e32 vcc, s[10:11], v[0:1]
	s_or_b64 s[26:27], vcc, s[26:27]
	s_andn2_b64 exec, exec, s[26:27]
	s_cbranch_execz .LBB74_21
.LBB74_3:                               ; =>This Loop Header: Depth=1
                                        ;     Child Loop BB74_17 Depth 2
	v_or_b32_e32 v3, s3, v1
	v_cmp_ne_u64_e32 vcc, 0, v[2:3]
                                        ; implicit-def: $vgpr8_vgpr9
	s_and_saveexec_b64 s[0:1], vcc
	s_xor_b64 s[28:29], exec, s[0:1]
	s_cbranch_execz .LBB74_5
; %bb.4:                                ;   in Loop: Header=BB74_3 Depth=1
	s_ashr_i32 s30, s3, 31
	s_add_u32 s0, s2, s30
	s_mov_b32 s31, s30
	s_addc_u32 s1, s3, s30
	s_xor_b64 s[34:35], s[0:1], s[30:31]
	v_cvt_f32_u32_e32 v3, s34
	v_cvt_f32_u32_e32 v4, s35
	s_sub_u32 s0, 0, s34
	s_subb_u32 s1, 0, s35
	v_mac_f32_e32 v3, 0x4f800000, v4
	v_rcp_f32_e32 v3, v3
	v_mul_f32_e32 v3, 0x5f7ffffc, v3
	v_mul_f32_e32 v4, 0x2f800000, v3
	v_trunc_f32_e32 v4, v4
	v_mac_f32_e32 v3, 0xcf800000, v4
	v_cvt_u32_f32_e32 v4, v4
	v_cvt_u32_f32_e32 v3, v3
	v_mul_lo_u32 v5, s0, v4
	v_mul_hi_u32 v7, s0, v3
	v_mul_lo_u32 v6, s1, v3
	v_add_u32_e32 v5, v7, v5
	v_mul_lo_u32 v8, s0, v3
	v_add_u32_e32 v5, v5, v6
	v_mul_lo_u32 v7, v3, v5
	v_mul_hi_u32 v9, v3, v8
	v_mul_hi_u32 v6, v3, v5
	v_add_co_u32_e32 v7, vcc, v9, v7
	v_addc_co_u32_e32 v6, vcc, 0, v6, vcc
	v_mul_hi_u32 v10, v4, v8
	v_mul_lo_u32 v8, v4, v8
	v_add_co_u32_e32 v7, vcc, v7, v8
	v_mul_hi_u32 v9, v4, v5
	v_addc_co_u32_e32 v6, vcc, v6, v10, vcc
	v_addc_co_u32_e32 v7, vcc, 0, v9, vcc
	v_mul_lo_u32 v5, v4, v5
	v_add_co_u32_e32 v5, vcc, v6, v5
	v_addc_co_u32_e32 v6, vcc, 0, v7, vcc
	v_add_co_u32_e32 v3, vcc, v3, v5
	v_addc_co_u32_e32 v4, vcc, v4, v6, vcc
	v_mul_lo_u32 v5, s0, v4
	v_mul_hi_u32 v6, s0, v3
	v_add_u32_e32 v5, v6, v5
	v_mul_lo_u32 v6, s1, v3
	v_add_u32_e32 v5, v5, v6
	v_mul_lo_u32 v7, s0, v3
	v_mul_hi_u32 v8, v4, v7
	v_mul_lo_u32 v9, v4, v7
	v_mul_lo_u32 v11, v3, v5
	v_mul_hi_u32 v7, v3, v7
	v_mul_hi_u32 v10, v3, v5
	v_add_co_u32_e32 v7, vcc, v7, v11
	v_addc_co_u32_e32 v10, vcc, 0, v10, vcc
	v_add_co_u32_e32 v7, vcc, v7, v9
	v_mul_hi_u32 v6, v4, v5
	v_addc_co_u32_e32 v7, vcc, v10, v8, vcc
	v_addc_co_u32_e32 v6, vcc, 0, v6, vcc
	v_mul_lo_u32 v5, v4, v5
	v_add_co_u32_e32 v5, vcc, v7, v5
	v_addc_co_u32_e32 v6, vcc, 0, v6, vcc
	v_add_co_u32_e32 v3, vcc, v3, v5
	v_addc_co_u32_e32 v6, vcc, v4, v6, vcc
	v_ashrrev_i32_e32 v8, 31, v1
	v_add_co_u32_e32 v4, vcc, v0, v8
	v_addc_co_u32_e32 v5, vcc, v1, v8, vcc
	v_xor_b32_e32 v10, v4, v8
	v_xor_b32_e32 v9, v5, v8
	v_mad_u64_u32 v[4:5], s[0:1], v10, v6, 0
	v_mul_hi_u32 v7, v10, v3
	v_add_co_u32_e32 v11, vcc, v7, v4
	v_addc_co_u32_e32 v13, vcc, 0, v5, vcc
	v_mad_u64_u32 v[4:5], s[0:1], v9, v6, 0
	v_mad_u64_u32 v[6:7], s[0:1], v9, v3, 0
	v_add_co_u32_e32 v3, vcc, v11, v6
	v_addc_co_u32_e32 v3, vcc, v13, v7, vcc
	v_addc_co_u32_e32 v5, vcc, 0, v5, vcc
	v_add_co_u32_e32 v3, vcc, v3, v4
	v_addc_co_u32_e32 v6, vcc, 0, v5, vcc
	v_mul_lo_u32 v7, s35, v3
	v_mul_lo_u32 v11, s34, v6
	v_mad_u64_u32 v[4:5], s[0:1], s34, v3, 0
	v_add3_u32 v5, v5, v11, v7
	v_sub_u32_e32 v7, v9, v5
	v_mov_b32_e32 v11, s35
	v_sub_co_u32_e32 v4, vcc, v10, v4
	v_subb_co_u32_e64 v7, s[0:1], v7, v11, vcc
	v_subrev_co_u32_e64 v10, s[0:1], s34, v4
	v_subbrev_co_u32_e64 v7, s[0:1], 0, v7, s[0:1]
	v_cmp_le_u32_e64 s[0:1], s35, v7
	v_cndmask_b32_e64 v11, 0, -1, s[0:1]
	v_cmp_le_u32_e64 s[0:1], s34, v10
	v_cndmask_b32_e64 v10, 0, -1, s[0:1]
	v_cmp_eq_u32_e64 s[0:1], s35, v7
	v_cndmask_b32_e64 v7, v11, v10, s[0:1]
	v_add_co_u32_e64 v10, s[0:1], 2, v3
	v_subb_co_u32_e32 v5, vcc, v9, v5, vcc
	v_addc_co_u32_e64 v11, s[0:1], 0, v6, s[0:1]
	v_cmp_le_u32_e32 vcc, s35, v5
	v_add_co_u32_e64 v13, s[0:1], 1, v3
	v_cndmask_b32_e64 v9, 0, -1, vcc
	v_cmp_le_u32_e32 vcc, s34, v4
	v_addc_co_u32_e64 v14, s[0:1], 0, v6, s[0:1]
	v_cndmask_b32_e64 v4, 0, -1, vcc
	v_cmp_eq_u32_e32 vcc, s35, v5
	v_cmp_ne_u32_e64 s[0:1], 0, v7
	v_cndmask_b32_e32 v4, v9, v4, vcc
	v_cmp_ne_u32_e32 vcc, 0, v4
	v_cndmask_b32_e64 v5, v13, v10, s[0:1]
	v_cndmask_b32_e64 v7, v14, v11, s[0:1]
	v_cndmask_b32_e32 v3, v3, v5, vcc
	v_xor_b32_e32 v5, s30, v8
	v_cndmask_b32_e32 v4, v6, v7, vcc
	v_xor_b32_e32 v3, v3, v5
	v_xor_b32_e32 v4, v4, v5
	v_sub_co_u32_e32 v8, vcc, v3, v5
	v_subb_co_u32_e32 v9, vcc, v4, v5, vcc
.LBB74_5:                               ;   in Loop: Header=BB74_3 Depth=1
	s_andn2_saveexec_b64 s[0:1], s[28:29]
	s_cbranch_execz .LBB74_7
; %bb.6:                                ;   in Loop: Header=BB74_3 Depth=1
	s_sub_i32 s28, 0, s2
	v_mul_lo_u32 v3, s28, v12
	v_mul_hi_u32 v3, v12, v3
	v_add_u32_e32 v3, v12, v3
	v_mul_hi_u32 v3, v0, v3
	v_mul_lo_u32 v4, v3, s2
	v_sub_u32_e32 v4, v0, v4
	v_subrev_u32_e32 v5, s2, v4
	v_cmp_le_u32_e32 vcc, s2, v4
	v_cndmask_b32_e32 v4, v4, v5, vcc
	v_add_u32_e32 v5, 1, v3
	v_cndmask_b32_e32 v3, v3, v5, vcc
	v_add_u32_e32 v5, 1, v3
	v_cmp_le_u32_e32 vcc, s2, v4
	v_cndmask_b32_e32 v8, v3, v5, vcc
	v_mov_b32_e32 v9, v2
.LBB74_7:                               ;   in Loop: Header=BB74_3 Depth=1
	s_or_b64 exec, exec, s[0:1]
	s_waitcnt lgkmcnt(0)
	v_or_b32_e32 v3, s15, v9
	v_cmp_ne_u64_e32 vcc, 0, v[2:3]
                                        ; implicit-def: $vgpr6_vgpr7
	s_and_saveexec_b64 s[0:1], vcc
	s_xor_b64 s[28:29], exec, s[0:1]
	s_cbranch_execz .LBB74_9
; %bb.8:                                ;   in Loop: Header=BB74_3 Depth=1
	s_ashr_i32 s30, s15, 31
	s_add_u32 s0, s14, s30
	s_mov_b32 s31, s30
	s_addc_u32 s1, s15, s30
	s_xor_b64 s[34:35], s[0:1], s[30:31]
	v_cvt_f32_u32_e32 v3, s34
	v_cvt_f32_u32_e32 v4, s35
	s_sub_u32 s0, 0, s34
	s_subb_u32 s1, 0, s35
	v_mac_f32_e32 v3, 0x4f800000, v4
	v_rcp_f32_e32 v3, v3
	v_mul_f32_e32 v3, 0x5f7ffffc, v3
	v_mul_f32_e32 v4, 0x2f800000, v3
	v_trunc_f32_e32 v4, v4
	v_mac_f32_e32 v3, 0xcf800000, v4
	v_cvt_u32_f32_e32 v4, v4
	v_cvt_u32_f32_e32 v3, v3
	v_mul_lo_u32 v5, s0, v4
	v_mul_hi_u32 v7, s0, v3
	v_mul_lo_u32 v6, s1, v3
	v_add_u32_e32 v5, v7, v5
	v_mul_lo_u32 v10, s0, v3
	v_add_u32_e32 v5, v5, v6
	v_mul_lo_u32 v7, v3, v5
	v_mul_hi_u32 v11, v3, v10
	v_mul_hi_u32 v6, v3, v5
	v_add_co_u32_e32 v7, vcc, v11, v7
	v_addc_co_u32_e32 v6, vcc, 0, v6, vcc
	v_mul_hi_u32 v13, v4, v10
	v_mul_lo_u32 v10, v4, v10
	v_add_co_u32_e32 v7, vcc, v7, v10
	v_mul_hi_u32 v11, v4, v5
	v_addc_co_u32_e32 v6, vcc, v6, v13, vcc
	v_addc_co_u32_e32 v7, vcc, 0, v11, vcc
	v_mul_lo_u32 v5, v4, v5
	v_add_co_u32_e32 v5, vcc, v6, v5
	v_addc_co_u32_e32 v6, vcc, 0, v7, vcc
	v_add_co_u32_e32 v3, vcc, v3, v5
	v_addc_co_u32_e32 v4, vcc, v4, v6, vcc
	v_mul_lo_u32 v5, s0, v4
	v_mul_hi_u32 v6, s0, v3
	v_add_u32_e32 v5, v6, v5
	v_mul_lo_u32 v6, s1, v3
	v_add_u32_e32 v5, v5, v6
	v_mul_lo_u32 v7, s0, v3
	v_mul_hi_u32 v10, v4, v7
	v_mul_lo_u32 v11, v4, v7
	v_mul_lo_u32 v14, v3, v5
	v_mul_hi_u32 v7, v3, v7
	v_mul_hi_u32 v13, v3, v5
	v_add_co_u32_e32 v7, vcc, v7, v14
	v_addc_co_u32_e32 v13, vcc, 0, v13, vcc
	v_add_co_u32_e32 v7, vcc, v7, v11
	v_mul_hi_u32 v6, v4, v5
	v_addc_co_u32_e32 v7, vcc, v13, v10, vcc
	v_addc_co_u32_e32 v6, vcc, 0, v6, vcc
	v_mul_lo_u32 v5, v4, v5
	v_add_co_u32_e32 v5, vcc, v7, v5
	v_addc_co_u32_e32 v6, vcc, 0, v6, vcc
	v_add_co_u32_e32 v3, vcc, v3, v5
	v_addc_co_u32_e32 v6, vcc, v4, v6, vcc
	v_ashrrev_i32_e32 v10, 31, v9
	v_add_co_u32_e32 v4, vcc, v8, v10
	v_addc_co_u32_e32 v5, vcc, v9, v10, vcc
	v_xor_b32_e32 v13, v4, v10
	v_xor_b32_e32 v11, v5, v10
	v_mad_u64_u32 v[4:5], s[0:1], v13, v6, 0
	v_mul_hi_u32 v7, v13, v3
	v_add_co_u32_e32 v14, vcc, v7, v4
	v_addc_co_u32_e32 v15, vcc, 0, v5, vcc
	v_mad_u64_u32 v[4:5], s[0:1], v11, v6, 0
	v_mad_u64_u32 v[6:7], s[0:1], v11, v3, 0
	v_add_co_u32_e32 v3, vcc, v14, v6
	v_addc_co_u32_e32 v3, vcc, v15, v7, vcc
	v_addc_co_u32_e32 v5, vcc, 0, v5, vcc
	v_add_co_u32_e32 v3, vcc, v3, v4
	v_addc_co_u32_e32 v6, vcc, 0, v5, vcc
	v_mul_lo_u32 v7, s35, v3
	v_mul_lo_u32 v14, s34, v6
	v_mad_u64_u32 v[4:5], s[0:1], s34, v3, 0
	v_add3_u32 v5, v5, v14, v7
	v_sub_u32_e32 v7, v11, v5
	v_mov_b32_e32 v14, s35
	v_sub_co_u32_e32 v4, vcc, v13, v4
	v_subb_co_u32_e64 v7, s[0:1], v7, v14, vcc
	v_subrev_co_u32_e64 v13, s[0:1], s34, v4
	v_subbrev_co_u32_e64 v7, s[0:1], 0, v7, s[0:1]
	v_cmp_le_u32_e64 s[0:1], s35, v7
	v_cndmask_b32_e64 v14, 0, -1, s[0:1]
	v_cmp_le_u32_e64 s[0:1], s34, v13
	v_cndmask_b32_e64 v13, 0, -1, s[0:1]
	v_cmp_eq_u32_e64 s[0:1], s35, v7
	v_cndmask_b32_e64 v7, v14, v13, s[0:1]
	v_add_co_u32_e64 v13, s[0:1], 2, v3
	v_subb_co_u32_e32 v5, vcc, v11, v5, vcc
	v_addc_co_u32_e64 v14, s[0:1], 0, v6, s[0:1]
	v_cmp_le_u32_e32 vcc, s35, v5
	v_add_co_u32_e64 v15, s[0:1], 1, v3
	v_cndmask_b32_e64 v11, 0, -1, vcc
	v_cmp_le_u32_e32 vcc, s34, v4
	v_addc_co_u32_e64 v16, s[0:1], 0, v6, s[0:1]
	v_cndmask_b32_e64 v4, 0, -1, vcc
	v_cmp_eq_u32_e32 vcc, s35, v5
	v_cmp_ne_u32_e64 s[0:1], 0, v7
	v_cndmask_b32_e32 v4, v11, v4, vcc
	v_cmp_ne_u32_e32 vcc, 0, v4
	v_cndmask_b32_e64 v5, v15, v13, s[0:1]
	v_cndmask_b32_e64 v7, v16, v14, s[0:1]
	v_cndmask_b32_e32 v3, v3, v5, vcc
	v_xor_b32_e32 v5, s30, v10
	v_cndmask_b32_e32 v4, v6, v7, vcc
	v_xor_b32_e32 v3, v3, v5
	v_xor_b32_e32 v4, v4, v5
	v_sub_co_u32_e32 v6, vcc, v3, v5
	v_subb_co_u32_e32 v7, vcc, v4, v5, vcc
.LBB74_9:                               ;   in Loop: Header=BB74_3 Depth=1
	s_andn2_saveexec_b64 s[0:1], s[28:29]
	s_cbranch_execz .LBB74_11
; %bb.10:                               ;   in Loop: Header=BB74_3 Depth=1
	v_cvt_f32_u32_e32 v3, s14
	s_sub_i32 s28, 0, s14
	v_mov_b32_e32 v7, v2
	v_rcp_iflag_f32_e32 v3, v3
	v_mul_f32_e32 v3, 0x4f7ffffe, v3
	v_cvt_u32_f32_e32 v3, v3
	v_mul_lo_u32 v4, s28, v3
	v_mul_hi_u32 v4, v3, v4
	v_add_u32_e32 v3, v3, v4
	v_mul_hi_u32 v3, v8, v3
	v_mul_lo_u32 v4, v3, s14
	v_sub_u32_e32 v4, v8, v4
	v_add_u32_e32 v5, 1, v3
	v_subrev_u32_e32 v6, s14, v4
	v_cmp_le_u32_e32 vcc, s14, v4
	v_cndmask_b32_e32 v4, v4, v6, vcc
	v_cndmask_b32_e32 v3, v3, v5, vcc
	v_add_u32_e32 v5, 1, v3
	v_cmp_le_u32_e32 vcc, s14, v4
	v_cndmask_b32_e32 v6, v3, v5, vcc
.LBB74_11:                              ;   in Loop: Header=BB74_3 Depth=1
	s_or_b64 exec, exec, s[0:1]
	v_mul_lo_u32 v3, v9, s2
	v_mul_lo_u32 v10, v8, s3
	v_mad_u64_u32 v[4:5], s[0:1], v8, s2, 0
	v_add3_u32 v3, v5, v10, v3
	v_sub_co_u32_e32 v4, vcc, v0, v4
	v_subb_co_u32_e32 v5, vcc, v1, v3, vcc
	v_mul_lo_u32 v3, v7, s14
	v_mul_lo_u32 v13, v6, s15
	v_mad_u64_u32 v[10:11], s[0:1], v6, s14, 0
	v_add3_u32 v3, v11, v13, v3
	v_sub_co_u32_e32 v13, vcc, v8, v10
	v_subb_co_u32_e32 v14, vcc, v9, v3, vcc
	v_sub_co_u32_e32 v8, vcc, v4, v13
	v_subb_co_u32_e32 v9, vcc, v5, v14, vcc
	v_cmp_gt_i64_e32 vcc, s[8:9], v[8:9]
	s_and_saveexec_b64 s[28:29], vcc
	s_cbranch_execz .LBB74_2
; %bb.12:                               ;   in Loop: Header=BB74_3 Depth=1
	s_load_dwordx2 s[30:31], s[4:5], 0x0
	s_load_dwordx2 s[0:1], s[16:17], 0x0
	s_and_b64 vcc, exec, s[12:13]
	s_mov_b64 s[36:37], s[22:23]
	s_mov_b64 s[38:39], s[20:21]
	s_waitcnt lgkmcnt(0)
	v_mul_lo_u32 v3, s31, v4
	v_mul_lo_u32 v10, s30, v5
	v_mad_u64_u32 v[8:9], s[34:35], s30, v4, 0
	v_add3_u32 v9, v9, v10, v3
	v_mad_u64_u32 v[8:9], s[34:35], s0, v13, v[8:9]
	v_mul_lo_u32 v3, s0, v14
	v_mul_lo_u32 v10, s1, v13
	v_add3_u32 v9, v10, v9, v3
	s_mov_b64 s[34:35], s[24:25]
	s_cbranch_vccnz .LBB74_17
.LBB74_13:                              ;   in Loop: Header=BB74_3 Depth=1
	s_load_dwordx2 s[0:1], s[18:19], 0x0
	s_waitcnt lgkmcnt(0)
	v_cmp_gt_i64_e32 vcc, s[0:1], v[4:5]
	s_and_b64 exec, exec, vcc
	s_cbranch_execz .LBB74_2
; %bb.14:                               ;   in Loop: Header=BB74_3 Depth=1
	v_lshlrev_b64 v[6:7], 3, v[8:9]
	v_mov_b32_e32 v3, s7
	v_add_co_u32_e32 v6, vcc, s6, v6
	v_addc_co_u32_e32 v7, vcc, v3, v7, vcc
	v_add_co_u32_e32 v4, vcc, 1, v4
	v_addc_co_u32_e32 v5, vcc, 0, v5, vcc
	v_cmp_gt_i64_e32 vcc, s[0:1], v[4:5]
	v_sub_co_u32_e64 v4, s[0:1], v4, v13
	v_subb_co_u32_e64 v5, s[0:1], v5, v14, s[0:1]
	v_cmp_gt_i64_e64 s[0:1], s[8:9], v[4:5]
	v_mov_b32_e32 v3, v2
	s_and_b64 s[0:1], vcc, s[0:1]
	global_store_dwordx2 v[6:7], v[2:3], off
	s_and_b64 exec, exec, s[0:1]
	s_cbranch_execz .LBB74_2
; %bb.15:                               ;   in Loop: Header=BB74_3 Depth=1
	s_lshl_b64 s[0:1], s[30:31], 3
	v_mov_b32_e32 v5, s1
	v_add_co_u32_e32 v4, vcc, s0, v6
	v_addc_co_u32_e32 v5, vcc, v7, v5, vcc
	global_store_dwordx2 v[4:5], v[2:3], off
	s_branch .LBB74_2
.LBB74_16:                              ;   in Loop: Header=BB74_17 Depth=2
	s_or_b64 exec, exec, s[0:1]
	v_mad_u64_u32 v[16:17], s[0:1], v10, s40, 0
	s_load_dwordx2 s[0:1], s[38:39], 0x0
	s_add_u32 s38, s38, -8
	s_addc_u32 s39, s39, -1
	v_mul_lo_u32 v3, v11, s40
	v_mul_lo_u32 v15, v10, s41
	s_add_u32 s36, s36, -8
	v_add3_u32 v3, v17, v15, v3
	v_sub_co_u32_e32 v6, vcc, v6, v16
	s_addc_u32 s37, s37, -1
	v_subb_co_u32_e32 v3, vcc, v7, v3, vcc
	s_add_u32 s34, s34, -1
	s_waitcnt lgkmcnt(0)
	v_mul_lo_u32 v3, s0, v3
	v_mul_lo_u32 v7, s1, v6
	v_mad_u64_u32 v[8:9], s[0:1], s0, v6, v[8:9]
	s_addc_u32 s35, s35, -1
	v_cmp_lt_i64_e64 s[0:1], s[34:35], 1
	v_add3_u32 v9, v7, v9, v3
	s_and_b64 vcc, exec, s[0:1]
	v_pk_mov_b32 v[6:7], v[10:11], v[10:11] op_sel:[0,1]
	s_cbranch_vccnz .LBB74_13
.LBB74_17:                              ;   Parent Loop BB74_3 Depth=1
                                        ; =>  This Inner Loop Header: Depth=2
	s_load_dwordx2 s[40:41], s[36:37], 0x0
                                        ; implicit-def: $vgpr10_vgpr11
	s_waitcnt lgkmcnt(0)
	v_or_b32_e32 v3, s41, v7
	v_cmp_ne_u64_e32 vcc, 0, v[2:3]
	s_and_saveexec_b64 s[0:1], vcc
	s_xor_b64 s[42:43], exec, s[0:1]
	s_cbranch_execz .LBB74_19
; %bb.18:                               ;   in Loop: Header=BB74_17 Depth=2
	s_ashr_i32 s44, s41, 31
	s_add_u32 s0, s40, s44
	s_mov_b32 s45, s44
	s_addc_u32 s1, s41, s44
	s_xor_b64 s[46:47], s[0:1], s[44:45]
	v_cvt_f32_u32_e32 v3, s46
	v_cvt_f32_u32_e32 v10, s47
	s_sub_u32 s0, 0, s46
	s_subb_u32 s1, 0, s47
	v_mac_f32_e32 v3, 0x4f800000, v10
	v_rcp_f32_e32 v3, v3
	v_mul_f32_e32 v3, 0x5f7ffffc, v3
	v_mul_f32_e32 v10, 0x2f800000, v3
	v_trunc_f32_e32 v10, v10
	v_mac_f32_e32 v3, 0xcf800000, v10
	v_cvt_u32_f32_e32 v10, v10
	v_cvt_u32_f32_e32 v3, v3
	v_mul_lo_u32 v11, s0, v10
	v_mul_hi_u32 v16, s0, v3
	v_mul_lo_u32 v15, s1, v3
	v_add_u32_e32 v11, v16, v11
	v_mul_lo_u32 v17, s0, v3
	v_add_u32_e32 v11, v11, v15
	v_mul_lo_u32 v16, v3, v11
	v_mul_hi_u32 v18, v3, v17
	v_mul_hi_u32 v15, v3, v11
	v_add_co_u32_e32 v16, vcc, v18, v16
	v_addc_co_u32_e32 v15, vcc, 0, v15, vcc
	v_mul_hi_u32 v19, v10, v17
	v_mul_lo_u32 v17, v10, v17
	v_add_co_u32_e32 v16, vcc, v16, v17
	v_mul_hi_u32 v18, v10, v11
	v_addc_co_u32_e32 v15, vcc, v15, v19, vcc
	v_addc_co_u32_e32 v16, vcc, 0, v18, vcc
	v_mul_lo_u32 v11, v10, v11
	v_add_co_u32_e32 v11, vcc, v15, v11
	v_addc_co_u32_e32 v15, vcc, 0, v16, vcc
	v_add_co_u32_e32 v3, vcc, v3, v11
	v_addc_co_u32_e32 v10, vcc, v10, v15, vcc
	v_mul_lo_u32 v11, s0, v10
	v_mul_hi_u32 v15, s0, v3
	v_add_u32_e32 v11, v15, v11
	v_mul_lo_u32 v15, s1, v3
	v_add_u32_e32 v11, v11, v15
	v_mul_lo_u32 v16, s0, v3
	v_mul_hi_u32 v17, v10, v16
	v_mul_lo_u32 v18, v10, v16
	v_mul_lo_u32 v20, v3, v11
	v_mul_hi_u32 v16, v3, v16
	v_mul_hi_u32 v19, v3, v11
	v_add_co_u32_e32 v16, vcc, v16, v20
	v_addc_co_u32_e32 v19, vcc, 0, v19, vcc
	v_add_co_u32_e32 v16, vcc, v16, v18
	v_mul_hi_u32 v15, v10, v11
	v_addc_co_u32_e32 v16, vcc, v19, v17, vcc
	v_addc_co_u32_e32 v15, vcc, 0, v15, vcc
	v_mul_lo_u32 v11, v10, v11
	v_add_co_u32_e32 v11, vcc, v16, v11
	v_addc_co_u32_e32 v15, vcc, 0, v15, vcc
	v_add_co_u32_e32 v3, vcc, v3, v11
	v_addc_co_u32_e32 v15, vcc, v10, v15, vcc
	v_ashrrev_i32_e32 v18, 31, v7
	v_add_co_u32_e32 v10, vcc, v6, v18
	v_addc_co_u32_e32 v11, vcc, v7, v18, vcc
	v_xor_b32_e32 v20, v10, v18
	v_xor_b32_e32 v19, v11, v18
	v_mad_u64_u32 v[10:11], s[0:1], v20, v15, 0
	v_mul_hi_u32 v16, v20, v3
	v_add_co_u32_e32 v21, vcc, v16, v10
	v_addc_co_u32_e32 v22, vcc, 0, v11, vcc
	v_mad_u64_u32 v[16:17], s[0:1], v19, v3, 0
	v_add_co_u32_e32 v3, vcc, v21, v16
	v_mad_u64_u32 v[10:11], s[0:1], v19, v15, 0
	v_addc_co_u32_e32 v3, vcc, v22, v17, vcc
	v_addc_co_u32_e32 v11, vcc, 0, v11, vcc
	v_add_co_u32_e32 v3, vcc, v3, v10
	v_addc_co_u32_e32 v15, vcc, 0, v11, vcc
	v_mul_lo_u32 v16, s47, v3
	v_mul_lo_u32 v17, s46, v15
	v_mad_u64_u32 v[10:11], s[0:1], s46, v3, 0
	v_add3_u32 v11, v11, v17, v16
	v_sub_u32_e32 v16, v19, v11
	v_mov_b32_e32 v17, s47
	v_sub_co_u32_e32 v10, vcc, v20, v10
	v_subb_co_u32_e64 v16, s[0:1], v16, v17, vcc
	v_subrev_co_u32_e64 v17, s[0:1], s46, v10
	v_subbrev_co_u32_e64 v16, s[0:1], 0, v16, s[0:1]
	v_cmp_le_u32_e64 s[0:1], s47, v16
	v_cndmask_b32_e64 v20, 0, -1, s[0:1]
	v_cmp_le_u32_e64 s[0:1], s46, v17
	v_cndmask_b32_e64 v17, 0, -1, s[0:1]
	v_cmp_eq_u32_e64 s[0:1], s47, v16
	v_cndmask_b32_e64 v16, v20, v17, s[0:1]
	v_add_co_u32_e64 v17, s[0:1], 2, v3
	v_subb_co_u32_e32 v11, vcc, v19, v11, vcc
	v_addc_co_u32_e64 v20, s[0:1], 0, v15, s[0:1]
	v_cmp_le_u32_e32 vcc, s47, v11
	v_add_co_u32_e64 v21, s[0:1], 1, v3
	v_cndmask_b32_e64 v19, 0, -1, vcc
	v_cmp_le_u32_e32 vcc, s46, v10
	v_addc_co_u32_e64 v22, s[0:1], 0, v15, s[0:1]
	v_cndmask_b32_e64 v10, 0, -1, vcc
	v_cmp_eq_u32_e32 vcc, s47, v11
	v_cmp_ne_u32_e64 s[0:1], 0, v16
	v_cndmask_b32_e32 v10, v19, v10, vcc
	v_cmp_ne_u32_e32 vcc, 0, v10
	v_cndmask_b32_e64 v11, v21, v17, s[0:1]
	v_cndmask_b32_e64 v16, v22, v20, s[0:1]
	v_cndmask_b32_e32 v3, v3, v11, vcc
	v_xor_b32_e32 v11, s44, v18
	v_cndmask_b32_e32 v10, v15, v16, vcc
	v_xor_b32_e32 v3, v3, v11
	v_xor_b32_e32 v15, v10, v11
	v_sub_co_u32_e32 v10, vcc, v3, v11
	v_subb_co_u32_e32 v11, vcc, v15, v11, vcc
.LBB74_19:                              ;   in Loop: Header=BB74_17 Depth=2
	s_andn2_saveexec_b64 s[0:1], s[42:43]
	s_cbranch_execz .LBB74_16
; %bb.20:                               ;   in Loop: Header=BB74_17 Depth=2
	v_cvt_f32_u32_e32 v3, s40
	s_sub_i32 s42, 0, s40
	v_rcp_iflag_f32_e32 v3, v3
	v_mul_f32_e32 v3, 0x4f7ffffe, v3
	v_cvt_u32_f32_e32 v3, v3
	v_mul_lo_u32 v10, s42, v3
	v_mul_hi_u32 v10, v3, v10
	v_add_u32_e32 v3, v3, v10
	v_mul_hi_u32 v3, v6, v3
	v_mul_lo_u32 v10, v3, s40
	v_sub_u32_e32 v10, v6, v10
	v_add_u32_e32 v11, 1, v3
	v_subrev_u32_e32 v15, s40, v10
	v_cmp_le_u32_e32 vcc, s40, v10
	v_cndmask_b32_e32 v10, v10, v15, vcc
	v_cndmask_b32_e32 v3, v3, v11, vcc
	v_add_u32_e32 v11, 1, v3
	v_cmp_le_u32_e32 vcc, s40, v10
	v_cndmask_b32_e32 v10, v3, v11, vcc
	v_mov_b32_e32 v11, v2
	s_branch .LBB74_16
.LBB74_21:
	s_endpgm
	.section	.rodata,"a",@progbits
	.p2align	6, 0x0
	.amdhsa_kernel _ZN2at6native16triu_tril_kernelIdlLb1ELi2ELb1EEEvNS_4cuda6detail10TensorInfoIT_T0_EENS4_IKS5_S6_EEllS6_
		.amdhsa_group_segment_fixed_size 0
		.amdhsa_private_segment_fixed_size 0
		.amdhsa_kernarg_size 1112
		.amdhsa_user_sgpr_count 6
		.amdhsa_user_sgpr_private_segment_buffer 1
		.amdhsa_user_sgpr_dispatch_ptr 0
		.amdhsa_user_sgpr_queue_ptr 0
		.amdhsa_user_sgpr_kernarg_segment_ptr 1
		.amdhsa_user_sgpr_dispatch_id 0
		.amdhsa_user_sgpr_flat_scratch_init 0
		.amdhsa_user_sgpr_kernarg_preload_length 0
		.amdhsa_user_sgpr_kernarg_preload_offset 0
		.amdhsa_user_sgpr_private_segment_size 0
		.amdhsa_uses_dynamic_stack 0
		.amdhsa_system_sgpr_private_segment_wavefront_offset 0
		.amdhsa_system_sgpr_workgroup_id_x 1
		.amdhsa_system_sgpr_workgroup_id_y 0
		.amdhsa_system_sgpr_workgroup_id_z 0
		.amdhsa_system_sgpr_workgroup_info 0
		.amdhsa_system_vgpr_workitem_id 0
		.amdhsa_next_free_vgpr 23
		.amdhsa_next_free_sgpr 49
		.amdhsa_accum_offset 24
		.amdhsa_reserve_vcc 1
		.amdhsa_reserve_flat_scratch 0
		.amdhsa_float_round_mode_32 0
		.amdhsa_float_round_mode_16_64 0
		.amdhsa_float_denorm_mode_32 3
		.amdhsa_float_denorm_mode_16_64 3
		.amdhsa_dx10_clamp 1
		.amdhsa_ieee_mode 1
		.amdhsa_fp16_overflow 0
		.amdhsa_tg_split 0
		.amdhsa_exception_fp_ieee_invalid_op 0
		.amdhsa_exception_fp_denorm_src 0
		.amdhsa_exception_fp_ieee_div_zero 0
		.amdhsa_exception_fp_ieee_overflow 0
		.amdhsa_exception_fp_ieee_underflow 0
		.amdhsa_exception_fp_ieee_inexact 0
		.amdhsa_exception_int_div_zero 0
	.end_amdhsa_kernel
	.section	.text._ZN2at6native16triu_tril_kernelIdlLb1ELi2ELb1EEEvNS_4cuda6detail10TensorInfoIT_T0_EENS4_IKS5_S6_EEllS6_,"axG",@progbits,_ZN2at6native16triu_tril_kernelIdlLb1ELi2ELb1EEEvNS_4cuda6detail10TensorInfoIT_T0_EENS4_IKS5_S6_EEllS6_,comdat
.Lfunc_end74:
	.size	_ZN2at6native16triu_tril_kernelIdlLb1ELi2ELb1EEEvNS_4cuda6detail10TensorInfoIT_T0_EENS4_IKS5_S6_EEllS6_, .Lfunc_end74-_ZN2at6native16triu_tril_kernelIdlLb1ELi2ELb1EEEvNS_4cuda6detail10TensorInfoIT_T0_EENS4_IKS5_S6_EEllS6_
                                        ; -- End function
	.section	.AMDGPU.csdata,"",@progbits
; Kernel info:
; codeLenInByte = 3192
; NumSgprs: 53
; NumVgprs: 23
; NumAgprs: 0
; TotalNumVgprs: 23
; ScratchSize: 0
; MemoryBound: 0
; FloatMode: 240
; IeeeMode: 1
; LDSByteSize: 0 bytes/workgroup (compile time only)
; SGPRBlocks: 6
; VGPRBlocks: 2
; NumSGPRsForWavesPerEU: 53
; NumVGPRsForWavesPerEU: 23
; AccumOffset: 24
; Occupancy: 8
; WaveLimiterHint : 0
; COMPUTE_PGM_RSRC2:SCRATCH_EN: 0
; COMPUTE_PGM_RSRC2:USER_SGPR: 6
; COMPUTE_PGM_RSRC2:TRAP_HANDLER: 0
; COMPUTE_PGM_RSRC2:TGID_X_EN: 1
; COMPUTE_PGM_RSRC2:TGID_Y_EN: 0
; COMPUTE_PGM_RSRC2:TGID_Z_EN: 0
; COMPUTE_PGM_RSRC2:TIDIG_COMP_CNT: 0
; COMPUTE_PGM_RSRC3_GFX90A:ACCUM_OFFSET: 5
; COMPUTE_PGM_RSRC3_GFX90A:TG_SPLIT: 0
	.section	.text._ZN2at6native16triu_tril_kernelIdlLb1ELi2ELb0EEEvNS_4cuda6detail10TensorInfoIT_T0_EENS4_IKS5_S6_EEllS6_,"axG",@progbits,_ZN2at6native16triu_tril_kernelIdlLb1ELi2ELb0EEEvNS_4cuda6detail10TensorInfoIT_T0_EENS4_IKS5_S6_EEllS6_,comdat
	.protected	_ZN2at6native16triu_tril_kernelIdlLb1ELi2ELb0EEEvNS_4cuda6detail10TensorInfoIT_T0_EENS4_IKS5_S6_EEllS6_ ; -- Begin function _ZN2at6native16triu_tril_kernelIdlLb1ELi2ELb0EEEvNS_4cuda6detail10TensorInfoIT_T0_EENS4_IKS5_S6_EEllS6_
	.globl	_ZN2at6native16triu_tril_kernelIdlLb1ELi2ELb0EEEvNS_4cuda6detail10TensorInfoIT_T0_EENS4_IKS5_S6_EEllS6_
	.p2align	8
	.type	_ZN2at6native16triu_tril_kernelIdlLb1ELi2ELb0EEEvNS_4cuda6detail10TensorInfoIT_T0_EENS4_IKS5_S6_EEllS6_,@function
_ZN2at6native16triu_tril_kernelIdlLb1ELi2ELb0EEEvNS_4cuda6detail10TensorInfoIT_T0_EENS4_IKS5_S6_EEllS6_: ; @_ZN2at6native16triu_tril_kernelIdlLb1ELi2ELb0EEEvNS_4cuda6detail10TensorInfoIT_T0_EENS4_IKS5_S6_EEllS6_
; %bb.0:
	s_load_dword s2, s[4:5], 0x364
	s_load_dwordx4 s[8:11], s[4:5], 0x340
	s_add_u32 s0, s4, 0x358
	v_mov_b32_e32 v2, 0
	s_addc_u32 s1, s5, 0
	s_waitcnt lgkmcnt(0)
	s_and_b32 s7, s2, 0xffff
	v_mov_b32_e32 v1, v2
	v_mov_b32_e32 v3, s6
	v_mad_u64_u32 v[0:1], s[2:3], s7, v3, v[0:1]
	v_lshlrev_b64 v[0:1], 1, v[0:1]
	v_cmp_gt_i64_e32 vcc, s[10:11], v[0:1]
	s_and_saveexec_b64 s[2:3], vcc
	s_cbranch_execz .LBB75_26
; %bb.1:
	s_load_dword s6, s[0:1], 0x0
	s_load_dwordx2 s[2:3], s[4:5], 0x350
	s_load_dword s26, s[4:5], 0x338
	s_add_u32 s12, s4, 0x1a0
	s_addc_u32 s13, s5, 0
	s_waitcnt lgkmcnt(0)
	s_mul_i32 s28, s6, s7
	v_cvt_f32_u32_e32 v3, s2
	s_ashr_i32 s27, s26, 31
	s_add_u32 s30, s4, 0x1a8
	s_addc_u32 s31, s5, 0
	s_lshl_b64 s[0:1], s[26:27], 3
	s_add_u32 s22, s0, -16
	s_addc_u32 s23, s1, -1
	s_add_u32 s0, s30, s22
	s_addc_u32 s1, s31, s23
	s_add_u32 s20, s12, s22
	s_addc_u32 s21, s13, s23
	v_cmp_gt_i64_e64 s[24:25], s[26:27], 2
	s_add_u32 s27, s4, 0xd0
	s_addc_u32 s34, s5, 0
	s_load_dwordx4 s[12:15], s[0:1], 0x0
	s_load_dwordx4 s[16:19], s[20:21], 0xd0
	s_add_u32 s0, s27, s22
	s_addc_u32 s1, s34, s23
	s_load_dwordx2 s[6:7], s[4:5], 0x1a0
	s_load_dwordx4 s[20:23], s[0:1], 0x0
	v_rcp_iflag_f32_e32 v3, v3
	s_load_dwordx2 s[4:5], s[4:5], 0x0
	s_add_i32 s0, s26, -3
	s_ashr_i32 s1, s0, 31
	s_lshl_b32 s33, s28, 1
	s_lshl_b64 s[28:29], s[0:1], 3
	s_add_u32 s26, s27, s28
	s_addc_u32 s27, s34, s29
	v_mul_f32_e32 v3, 0x4f7ffffe, v3
	s_add_u32 s28, s30, s28
	v_cvt_u32_f32_e32 v18, v3
	s_addc_u32 s29, s31, s29
	s_add_u32 s30, s0, 1
	s_mov_b32 s50, 0
	s_addc_u32 s31, s1, 0
	s_mov_b64 s[34:35], 0
	s_branch .LBB75_3
.LBB75_2:                               ;   in Loop: Header=BB75_3 Depth=1
	s_or_b64 exec, exec, s[0:1]
	v_mov_b32_e32 v3, s50
	v_add_co_u32_e32 v0, vcc, s33, v0
	v_addc_co_u32_e32 v1, vcc, v1, v3, vcc
	v_cmp_le_i64_e32 vcc, s[10:11], v[0:1]
	s_or_b64 s[34:35], vcc, s[34:35]
	s_andn2_b64 exec, exec, s[34:35]
	s_cbranch_execz .LBB75_26
.LBB75_3:                               ; =>This Loop Header: Depth=1
                                        ;     Child Loop BB75_22 Depth 2
	v_or_b32_e32 v3, s3, v1
	v_cmp_ne_u64_e32 vcc, 0, v[2:3]
                                        ; implicit-def: $vgpr6_vgpr7
	s_and_saveexec_b64 s[0:1], vcc
	s_xor_b64 s[36:37], exec, s[0:1]
	s_cbranch_execz .LBB75_5
; %bb.4:                                ;   in Loop: Header=BB75_3 Depth=1
	s_ashr_i32 s38, s3, 31
	s_add_u32 s0, s2, s38
	s_mov_b32 s39, s38
	s_addc_u32 s1, s3, s38
	s_xor_b64 s[40:41], s[0:1], s[38:39]
	v_cvt_f32_u32_e32 v3, s40
	v_cvt_f32_u32_e32 v4, s41
	s_sub_u32 s0, 0, s40
	s_subb_u32 s1, 0, s41
	v_mac_f32_e32 v3, 0x4f800000, v4
	v_rcp_f32_e32 v3, v3
	v_mul_f32_e32 v3, 0x5f7ffffc, v3
	v_mul_f32_e32 v4, 0x2f800000, v3
	v_trunc_f32_e32 v4, v4
	v_mac_f32_e32 v3, 0xcf800000, v4
	v_cvt_u32_f32_e32 v4, v4
	v_cvt_u32_f32_e32 v3, v3
	v_mul_lo_u32 v5, s0, v4
	v_mul_hi_u32 v7, s0, v3
	v_mul_lo_u32 v6, s1, v3
	v_add_u32_e32 v5, v7, v5
	v_mul_lo_u32 v8, s0, v3
	v_add_u32_e32 v5, v5, v6
	v_mul_lo_u32 v7, v3, v5
	v_mul_hi_u32 v9, v3, v8
	v_mul_hi_u32 v6, v3, v5
	v_add_co_u32_e32 v7, vcc, v9, v7
	v_addc_co_u32_e32 v6, vcc, 0, v6, vcc
	v_mul_hi_u32 v10, v4, v8
	v_mul_lo_u32 v8, v4, v8
	v_add_co_u32_e32 v7, vcc, v7, v8
	v_mul_hi_u32 v9, v4, v5
	v_addc_co_u32_e32 v6, vcc, v6, v10, vcc
	v_addc_co_u32_e32 v7, vcc, 0, v9, vcc
	v_mul_lo_u32 v5, v4, v5
	v_add_co_u32_e32 v5, vcc, v6, v5
	v_addc_co_u32_e32 v6, vcc, 0, v7, vcc
	v_add_co_u32_e32 v3, vcc, v3, v5
	v_addc_co_u32_e32 v4, vcc, v4, v6, vcc
	v_mul_lo_u32 v5, s0, v4
	v_mul_hi_u32 v6, s0, v3
	v_add_u32_e32 v5, v6, v5
	v_mul_lo_u32 v6, s1, v3
	v_add_u32_e32 v5, v5, v6
	v_mul_lo_u32 v7, s0, v3
	v_mul_hi_u32 v8, v4, v7
	v_mul_lo_u32 v9, v4, v7
	v_mul_lo_u32 v11, v3, v5
	v_mul_hi_u32 v7, v3, v7
	v_mul_hi_u32 v10, v3, v5
	v_add_co_u32_e32 v7, vcc, v7, v11
	v_addc_co_u32_e32 v10, vcc, 0, v10, vcc
	v_add_co_u32_e32 v7, vcc, v7, v9
	v_mul_hi_u32 v6, v4, v5
	v_addc_co_u32_e32 v7, vcc, v10, v8, vcc
	v_addc_co_u32_e32 v6, vcc, 0, v6, vcc
	v_mul_lo_u32 v5, v4, v5
	v_add_co_u32_e32 v5, vcc, v7, v5
	v_addc_co_u32_e32 v6, vcc, 0, v6, vcc
	v_add_co_u32_e32 v3, vcc, v3, v5
	v_addc_co_u32_e32 v6, vcc, v4, v6, vcc
	v_ashrrev_i32_e32 v8, 31, v1
	v_add_co_u32_e32 v4, vcc, v0, v8
	v_addc_co_u32_e32 v5, vcc, v1, v8, vcc
	v_xor_b32_e32 v10, v4, v8
	v_xor_b32_e32 v9, v5, v8
	v_mad_u64_u32 v[4:5], s[0:1], v10, v6, 0
	v_mul_hi_u32 v7, v10, v3
	v_add_co_u32_e32 v11, vcc, v7, v4
	v_addc_co_u32_e32 v12, vcc, 0, v5, vcc
	v_mad_u64_u32 v[4:5], s[0:1], v9, v6, 0
	v_mad_u64_u32 v[6:7], s[0:1], v9, v3, 0
	v_add_co_u32_e32 v3, vcc, v11, v6
	v_addc_co_u32_e32 v3, vcc, v12, v7, vcc
	v_addc_co_u32_e32 v5, vcc, 0, v5, vcc
	v_add_co_u32_e32 v3, vcc, v3, v4
	v_addc_co_u32_e32 v6, vcc, 0, v5, vcc
	v_mul_lo_u32 v7, s41, v3
	v_mul_lo_u32 v11, s40, v6
	v_mad_u64_u32 v[4:5], s[0:1], s40, v3, 0
	v_add3_u32 v5, v5, v11, v7
	v_sub_u32_e32 v7, v9, v5
	v_mov_b32_e32 v11, s41
	v_sub_co_u32_e32 v4, vcc, v10, v4
	v_subb_co_u32_e64 v7, s[0:1], v7, v11, vcc
	v_subrev_co_u32_e64 v10, s[0:1], s40, v4
	v_subbrev_co_u32_e64 v7, s[0:1], 0, v7, s[0:1]
	v_cmp_le_u32_e64 s[0:1], s41, v7
	v_cndmask_b32_e64 v11, 0, -1, s[0:1]
	v_cmp_le_u32_e64 s[0:1], s40, v10
	v_cndmask_b32_e64 v10, 0, -1, s[0:1]
	v_cmp_eq_u32_e64 s[0:1], s41, v7
	v_cndmask_b32_e64 v7, v11, v10, s[0:1]
	v_add_co_u32_e64 v10, s[0:1], 2, v3
	v_subb_co_u32_e32 v5, vcc, v9, v5, vcc
	v_addc_co_u32_e64 v11, s[0:1], 0, v6, s[0:1]
	v_cmp_le_u32_e32 vcc, s41, v5
	v_add_co_u32_e64 v12, s[0:1], 1, v3
	v_cndmask_b32_e64 v9, 0, -1, vcc
	v_cmp_le_u32_e32 vcc, s40, v4
	v_addc_co_u32_e64 v13, s[0:1], 0, v6, s[0:1]
	v_cndmask_b32_e64 v4, 0, -1, vcc
	v_cmp_eq_u32_e32 vcc, s41, v5
	v_cmp_ne_u32_e64 s[0:1], 0, v7
	v_cndmask_b32_e32 v4, v9, v4, vcc
	v_cmp_ne_u32_e32 vcc, 0, v4
	v_cndmask_b32_e64 v5, v12, v10, s[0:1]
	v_cndmask_b32_e64 v7, v13, v11, s[0:1]
	v_cndmask_b32_e32 v3, v3, v5, vcc
	v_xor_b32_e32 v5, s38, v8
	v_cndmask_b32_e32 v4, v6, v7, vcc
	v_xor_b32_e32 v3, v3, v5
	v_xor_b32_e32 v4, v4, v5
	v_sub_co_u32_e32 v6, vcc, v3, v5
	v_subb_co_u32_e32 v7, vcc, v4, v5, vcc
.LBB75_5:                               ;   in Loop: Header=BB75_3 Depth=1
	s_andn2_saveexec_b64 s[0:1], s[36:37]
	s_cbranch_execz .LBB75_7
; %bb.6:                                ;   in Loop: Header=BB75_3 Depth=1
	s_sub_i32 s36, 0, s2
	v_mul_lo_u32 v3, s36, v18
	v_mul_hi_u32 v3, v18, v3
	v_add_u32_e32 v3, v18, v3
	v_mul_hi_u32 v3, v0, v3
	v_mul_lo_u32 v4, v3, s2
	v_sub_u32_e32 v4, v0, v4
	v_subrev_u32_e32 v5, s2, v4
	v_cmp_le_u32_e32 vcc, s2, v4
	v_cndmask_b32_e32 v4, v4, v5, vcc
	v_add_u32_e32 v5, 1, v3
	v_cndmask_b32_e32 v3, v3, v5, vcc
	v_add_u32_e32 v5, 1, v3
	v_cmp_le_u32_e32 vcc, s2, v4
	v_cndmask_b32_e32 v6, v3, v5, vcc
	v_mov_b32_e32 v7, v2
.LBB75_7:                               ;   in Loop: Header=BB75_3 Depth=1
	s_or_b64 exec, exec, s[0:1]
	s_waitcnt lgkmcnt(0)
	v_or_b32_e32 v3, s13, v7
	v_cmp_ne_u64_e32 vcc, 0, v[2:3]
                                        ; implicit-def: $vgpr10_vgpr11
	s_and_saveexec_b64 s[0:1], vcc
	s_xor_b64 s[36:37], exec, s[0:1]
	s_cbranch_execz .LBB75_9
; %bb.8:                                ;   in Loop: Header=BB75_3 Depth=1
	s_ashr_i32 s38, s13, 31
	s_add_u32 s0, s12, s38
	s_mov_b32 s39, s38
	s_addc_u32 s1, s13, s38
	s_xor_b64 s[40:41], s[0:1], s[38:39]
	v_cvt_f32_u32_e32 v3, s40
	v_cvt_f32_u32_e32 v4, s41
	s_sub_u32 s0, 0, s40
	s_subb_u32 s1, 0, s41
	v_mac_f32_e32 v3, 0x4f800000, v4
	v_rcp_f32_e32 v3, v3
	v_mul_f32_e32 v3, 0x5f7ffffc, v3
	v_mul_f32_e32 v4, 0x2f800000, v3
	v_trunc_f32_e32 v4, v4
	v_mac_f32_e32 v3, 0xcf800000, v4
	v_cvt_u32_f32_e32 v4, v4
	v_cvt_u32_f32_e32 v3, v3
	v_mul_lo_u32 v5, s0, v4
	v_mul_hi_u32 v9, s0, v3
	v_mul_lo_u32 v8, s1, v3
	v_add_u32_e32 v5, v9, v5
	v_mul_lo_u32 v10, s0, v3
	v_add_u32_e32 v5, v5, v8
	v_mul_lo_u32 v9, v3, v5
	v_mul_hi_u32 v11, v3, v10
	v_mul_hi_u32 v8, v3, v5
	v_add_co_u32_e32 v9, vcc, v11, v9
	v_addc_co_u32_e32 v8, vcc, 0, v8, vcc
	v_mul_hi_u32 v12, v4, v10
	v_mul_lo_u32 v10, v4, v10
	v_add_co_u32_e32 v9, vcc, v9, v10
	v_mul_hi_u32 v11, v4, v5
	v_addc_co_u32_e32 v8, vcc, v8, v12, vcc
	v_addc_co_u32_e32 v9, vcc, 0, v11, vcc
	v_mul_lo_u32 v5, v4, v5
	v_add_co_u32_e32 v5, vcc, v8, v5
	v_addc_co_u32_e32 v8, vcc, 0, v9, vcc
	v_add_co_u32_e32 v3, vcc, v3, v5
	v_addc_co_u32_e32 v4, vcc, v4, v8, vcc
	v_mul_lo_u32 v5, s0, v4
	v_mul_hi_u32 v8, s0, v3
	v_add_u32_e32 v5, v8, v5
	v_mul_lo_u32 v8, s1, v3
	v_add_u32_e32 v5, v5, v8
	v_mul_lo_u32 v9, s0, v3
	v_mul_hi_u32 v10, v4, v9
	v_mul_lo_u32 v11, v4, v9
	v_mul_lo_u32 v13, v3, v5
	v_mul_hi_u32 v9, v3, v9
	v_mul_hi_u32 v12, v3, v5
	v_add_co_u32_e32 v9, vcc, v9, v13
	v_addc_co_u32_e32 v12, vcc, 0, v12, vcc
	v_add_co_u32_e32 v9, vcc, v9, v11
	v_mul_hi_u32 v8, v4, v5
	v_addc_co_u32_e32 v9, vcc, v12, v10, vcc
	v_addc_co_u32_e32 v8, vcc, 0, v8, vcc
	v_mul_lo_u32 v5, v4, v5
	v_add_co_u32_e32 v5, vcc, v9, v5
	v_addc_co_u32_e32 v8, vcc, 0, v8, vcc
	v_add_co_u32_e32 v3, vcc, v3, v5
	v_addc_co_u32_e32 v8, vcc, v4, v8, vcc
	v_ashrrev_i32_e32 v10, 31, v7
	v_add_co_u32_e32 v4, vcc, v6, v10
	v_addc_co_u32_e32 v5, vcc, v7, v10, vcc
	v_xor_b32_e32 v12, v4, v10
	v_xor_b32_e32 v11, v5, v10
	v_mad_u64_u32 v[4:5], s[0:1], v12, v8, 0
	v_mul_hi_u32 v9, v12, v3
	v_add_co_u32_e32 v13, vcc, v9, v4
	v_addc_co_u32_e32 v14, vcc, 0, v5, vcc
	v_mad_u64_u32 v[4:5], s[0:1], v11, v8, 0
	v_mad_u64_u32 v[8:9], s[0:1], v11, v3, 0
	v_add_co_u32_e32 v3, vcc, v13, v8
	v_addc_co_u32_e32 v3, vcc, v14, v9, vcc
	v_addc_co_u32_e32 v5, vcc, 0, v5, vcc
	v_add_co_u32_e32 v3, vcc, v3, v4
	v_addc_co_u32_e32 v8, vcc, 0, v5, vcc
	v_mul_lo_u32 v9, s41, v3
	v_mul_lo_u32 v13, s40, v8
	v_mad_u64_u32 v[4:5], s[0:1], s40, v3, 0
	v_add3_u32 v5, v5, v13, v9
	v_sub_u32_e32 v9, v11, v5
	v_mov_b32_e32 v13, s41
	v_sub_co_u32_e32 v4, vcc, v12, v4
	v_subb_co_u32_e64 v9, s[0:1], v9, v13, vcc
	v_subrev_co_u32_e64 v12, s[0:1], s40, v4
	v_subbrev_co_u32_e64 v9, s[0:1], 0, v9, s[0:1]
	v_cmp_le_u32_e64 s[0:1], s41, v9
	v_cndmask_b32_e64 v13, 0, -1, s[0:1]
	v_cmp_le_u32_e64 s[0:1], s40, v12
	v_cndmask_b32_e64 v12, 0, -1, s[0:1]
	v_cmp_eq_u32_e64 s[0:1], s41, v9
	v_cndmask_b32_e64 v9, v13, v12, s[0:1]
	v_add_co_u32_e64 v12, s[0:1], 2, v3
	v_subb_co_u32_e32 v5, vcc, v11, v5, vcc
	v_addc_co_u32_e64 v13, s[0:1], 0, v8, s[0:1]
	v_cmp_le_u32_e32 vcc, s41, v5
	v_add_co_u32_e64 v14, s[0:1], 1, v3
	v_cndmask_b32_e64 v11, 0, -1, vcc
	v_cmp_le_u32_e32 vcc, s40, v4
	v_addc_co_u32_e64 v15, s[0:1], 0, v8, s[0:1]
	v_cndmask_b32_e64 v4, 0, -1, vcc
	v_cmp_eq_u32_e32 vcc, s41, v5
	v_cmp_ne_u32_e64 s[0:1], 0, v9
	v_cndmask_b32_e32 v4, v11, v4, vcc
	v_cmp_ne_u32_e32 vcc, 0, v4
	v_cndmask_b32_e64 v5, v14, v12, s[0:1]
	v_cndmask_b32_e64 v9, v15, v13, s[0:1]
	v_cndmask_b32_e32 v3, v3, v5, vcc
	v_xor_b32_e32 v5, s38, v10
	v_cndmask_b32_e32 v4, v8, v9, vcc
	v_xor_b32_e32 v3, v3, v5
	v_xor_b32_e32 v4, v4, v5
	v_sub_co_u32_e32 v10, vcc, v3, v5
	v_subb_co_u32_e32 v11, vcc, v4, v5, vcc
.LBB75_9:                               ;   in Loop: Header=BB75_3 Depth=1
	s_andn2_saveexec_b64 s[0:1], s[36:37]
	s_cbranch_execz .LBB75_11
; %bb.10:                               ;   in Loop: Header=BB75_3 Depth=1
	v_cvt_f32_u32_e32 v3, s12
	s_sub_i32 s36, 0, s12
	v_mov_b32_e32 v11, v2
	v_rcp_iflag_f32_e32 v3, v3
	v_mul_f32_e32 v3, 0x4f7ffffe, v3
	v_cvt_u32_f32_e32 v3, v3
	v_mul_lo_u32 v4, s36, v3
	v_mul_hi_u32 v4, v3, v4
	v_add_u32_e32 v3, v3, v4
	v_mul_hi_u32 v3, v6, v3
	v_mul_lo_u32 v4, v3, s12
	v_sub_u32_e32 v4, v6, v4
	v_add_u32_e32 v5, 1, v3
	v_subrev_u32_e32 v8, s12, v4
	v_cmp_le_u32_e32 vcc, s12, v4
	v_cndmask_b32_e32 v4, v4, v8, vcc
	v_cndmask_b32_e32 v3, v3, v5, vcc
	v_add_u32_e32 v5, 1, v3
	v_cmp_le_u32_e32 vcc, s12, v4
	v_cndmask_b32_e32 v10, v3, v5, vcc
.LBB75_11:                              ;   in Loop: Header=BB75_3 Depth=1
	s_or_b64 exec, exec, s[0:1]
	v_mul_lo_u32 v3, v7, s2
	v_mul_lo_u32 v8, v6, s3
	v_mad_u64_u32 v[4:5], s[0:1], v6, s2, 0
	v_add3_u32 v3, v5, v8, v3
	v_sub_co_u32_e32 v4, vcc, v0, v4
	v_subb_co_u32_e32 v5, vcc, v1, v3, vcc
	v_mul_lo_u32 v3, v11, s12
	v_mul_lo_u32 v12, v10, s13
	v_mad_u64_u32 v[8:9], s[0:1], v10, s12, 0
	v_add3_u32 v3, v9, v12, v3
	v_sub_co_u32_e32 v14, vcc, v6, v8
	v_subb_co_u32_e32 v15, vcc, v7, v3, vcc
	v_mul_lo_u32 v3, s19, v4
	v_mul_lo_u32 v8, s18, v5
	v_mad_u64_u32 v[6:7], s[0:1], s18, v4, 0
	v_add3_u32 v7, v7, v8, v3
	v_mul_lo_u32 v3, s23, v4
	v_mul_lo_u32 v8, s22, v5
	v_mad_u64_u32 v[12:13], s[0:1], s22, v4, 0
	v_add3_u32 v13, v13, v8, v3
	v_mad_u64_u32 v[8:9], s[0:1], s16, v14, v[6:7]
	v_mul_lo_u32 v3, s16, v15
	v_mul_lo_u32 v6, s17, v14
	v_add3_u32 v9, v6, v9, v3
	v_mad_u64_u32 v[6:7], s[0:1], s20, v14, v[12:13]
	v_mul_lo_u32 v3, s20, v15
	v_mul_lo_u32 v12, s21, v14
	v_add3_u32 v7, v12, v7, v3
	s_and_b64 vcc, exec, s[24:25]
	s_mov_b64 s[36:37], s[30:31]
	s_mov_b64 s[38:39], s[28:29]
	;; [unrolled: 1-line block ×3, first 2 shown]
	s_cbranch_vccnz .LBB75_22
.LBB75_12:                              ;   in Loop: Header=BB75_3 Depth=1
	v_sub_co_u32_e32 v10, vcc, v4, v14
	v_subb_co_u32_e32 v11, vcc, v5, v15, vcc
	v_add_co_u32_e32 v12, vcc, 2, v10
	v_addc_co_u32_e32 v13, vcc, 0, v11, vcc
	v_cmp_le_i64_e32 vcc, s[8:9], v[12:13]
	v_pk_mov_b32 v[12:13], 0, 0
	v_pk_mov_b32 v[14:15], v[12:13], v[12:13] op_sel:[0,1]
	s_and_saveexec_b64 s[0:1], vcc
	s_cbranch_execz .LBB75_18
; %bb.13:                               ;   in Loop: Header=BB75_3 Depth=1
	v_pk_mov_b32 v[12:13], 0, 0
	v_cmp_gt_i64_e32 vcc, s[14:15], v[4:5]
	v_pk_mov_b32 v[16:17], v[12:13], v[12:13] op_sel:[0,1]
	s_and_saveexec_b64 s[36:37], vcc
	s_cbranch_execz .LBB75_17
; %bb.14:                               ;   in Loop: Header=BB75_3 Depth=1
	v_lshlrev_b64 v[8:9], 3, v[8:9]
	v_mov_b32_e32 v3, s7
	v_add_co_u32_e32 v8, vcc, s6, v8
	v_addc_co_u32_e32 v9, vcc, v3, v9, vcc
	global_load_dwordx2 v[12:13], v[8:9], off
	v_add_co_u32_e32 v14, vcc, 1, v4
	v_addc_co_u32_e32 v15, vcc, 0, v5, vcc
	v_cmp_gt_i64_e32 vcc, s[14:15], v[14:15]
	v_pk_mov_b32 v[16:17], 0, 0
	s_and_saveexec_b64 s[38:39], vcc
	s_xor_b64 s[38:39], exec, s[38:39]
	s_cbranch_execz .LBB75_16
; %bb.15:                               ;   in Loop: Header=BB75_3 Depth=1
	s_lshl_b64 s[40:41], s[18:19], 3
	v_mov_b32_e32 v3, s41
	v_add_co_u32_e32 v8, vcc, s40, v8
	v_addc_co_u32_e32 v9, vcc, v9, v3, vcc
	global_load_dwordx2 v[16:17], v[8:9], off
.LBB75_16:                              ;   in Loop: Header=BB75_3 Depth=1
	s_or_b64 exec, exec, s[38:39]
.LBB75_17:                              ;   in Loop: Header=BB75_3 Depth=1
	s_or_b64 exec, exec, s[36:37]
	v_cmp_le_i64_e32 vcc, s[8:9], v[10:11]
	s_waitcnt vmcnt(0)
	v_cndmask_b32_e32 v15, 0, v13, vcc
	v_cndmask_b32_e32 v14, 0, v12, vcc
	v_add_co_u32_e32 v8, vcc, 1, v10
	v_addc_co_u32_e32 v9, vcc, 0, v11, vcc
	v_cmp_le_i64_e32 vcc, s[8:9], v[8:9]
	v_cndmask_b32_e32 v13, 0, v17, vcc
	v_cndmask_b32_e32 v12, 0, v16, vcc
.LBB75_18:                              ;   in Loop: Header=BB75_3 Depth=1
	s_or_b64 exec, exec, s[0:1]
	v_cmp_gt_i64_e32 vcc, s[14:15], v[4:5]
	s_and_saveexec_b64 s[0:1], vcc
	s_cbranch_execz .LBB75_2
; %bb.19:                               ;   in Loop: Header=BB75_3 Depth=1
	v_lshlrev_b64 v[6:7], 3, v[6:7]
	v_mov_b32_e32 v3, s5
	v_add_co_u32_e32 v6, vcc, s4, v6
	v_addc_co_u32_e32 v7, vcc, v3, v7, vcc
	v_add_co_u32_e32 v4, vcc, 1, v4
	v_addc_co_u32_e32 v5, vcc, 0, v5, vcc
	v_cmp_gt_i64_e32 vcc, s[14:15], v[4:5]
	global_store_dwordx2 v[6:7], v[14:15], off
	s_and_saveexec_b64 s[36:37], vcc
	s_xor_b64 s[36:37], exec, s[36:37]
	s_cbranch_execz .LBB75_2
; %bb.20:                               ;   in Loop: Header=BB75_3 Depth=1
	s_lshl_b64 s[36:37], s[22:23], 3
	v_mov_b32_e32 v3, s37
	v_add_co_u32_e32 v4, vcc, s36, v6
	v_addc_co_u32_e32 v5, vcc, v7, v3, vcc
	global_store_dwordx2 v[4:5], v[12:13], off
	s_branch .LBB75_2
.LBB75_21:                              ;   in Loop: Header=BB75_22 Depth=2
	s_or_b64 exec, exec, s[0:1]
	v_mad_u64_u32 v[16:17], s[0:1], v12, s42, 0
	v_mul_lo_u32 v3, v13, s42
	v_mul_lo_u32 v19, v12, s43
	s_load_dwordx2 s[0:1], s[38:39], 0xc8
	s_load_dwordx2 s[42:43], s[40:41], 0x0
	s_add_u32 s40, s40, -8
	s_addc_u32 s41, s41, -1
	s_add_u32 s38, s38, -8
	v_add3_u32 v3, v17, v19, v3
	v_sub_co_u32_e32 v10, vcc, v10, v16
	s_addc_u32 s39, s39, -1
	v_subb_co_u32_e32 v3, vcc, v11, v3, vcc
	s_add_u32 s36, s36, -1
	s_waitcnt lgkmcnt(0)
	v_mul_lo_u32 v11, s0, v3
	v_mul_lo_u32 v16, s1, v10
	v_mad_u64_u32 v[8:9], s[0:1], s0, v10, v[8:9]
	v_mad_u64_u32 v[6:7], s[0:1], s42, v10, v[6:7]
	s_addc_u32 s37, s37, -1
	v_add3_u32 v9, v16, v9, v11
	v_mul_lo_u32 v3, s42, v3
	v_mul_lo_u32 v11, s43, v10
	v_cmp_lt_i64_e64 s[0:1], s[36:37], 1
	v_add3_u32 v7, v11, v7, v3
	s_and_b64 vcc, exec, s[0:1]
	v_pk_mov_b32 v[10:11], v[12:13], v[12:13] op_sel:[0,1]
	s_cbranch_vccnz .LBB75_12
.LBB75_22:                              ;   Parent Loop BB75_3 Depth=1
                                        ; =>  This Inner Loop Header: Depth=2
	s_load_dwordx2 s[42:43], s[38:39], 0x0
                                        ; implicit-def: $vgpr12_vgpr13
	s_waitcnt lgkmcnt(0)
	v_or_b32_e32 v3, s43, v11
	v_cmp_ne_u64_e32 vcc, 0, v[2:3]
	s_and_saveexec_b64 s[0:1], vcc
	s_xor_b64 s[44:45], exec, s[0:1]
	s_cbranch_execz .LBB75_24
; %bb.23:                               ;   in Loop: Header=BB75_22 Depth=2
	s_ashr_i32 s46, s43, 31
	s_add_u32 s0, s42, s46
	s_mov_b32 s47, s46
	s_addc_u32 s1, s43, s46
	s_xor_b64 s[48:49], s[0:1], s[46:47]
	v_cvt_f32_u32_e32 v3, s48
	v_cvt_f32_u32_e32 v12, s49
	s_sub_u32 s0, 0, s48
	s_subb_u32 s1, 0, s49
	v_mac_f32_e32 v3, 0x4f800000, v12
	v_rcp_f32_e32 v3, v3
	v_mul_f32_e32 v3, 0x5f7ffffc, v3
	v_mul_f32_e32 v12, 0x2f800000, v3
	v_trunc_f32_e32 v12, v12
	v_mac_f32_e32 v3, 0xcf800000, v12
	v_cvt_u32_f32_e32 v12, v12
	v_cvt_u32_f32_e32 v3, v3
	v_mul_lo_u32 v13, s0, v12
	v_mul_hi_u32 v17, s0, v3
	v_mul_lo_u32 v16, s1, v3
	v_add_u32_e32 v13, v17, v13
	v_mul_lo_u32 v19, s0, v3
	v_add_u32_e32 v13, v13, v16
	v_mul_lo_u32 v17, v3, v13
	v_mul_hi_u32 v20, v3, v19
	v_mul_hi_u32 v16, v3, v13
	v_add_co_u32_e32 v17, vcc, v20, v17
	v_addc_co_u32_e32 v16, vcc, 0, v16, vcc
	v_mul_hi_u32 v21, v12, v19
	v_mul_lo_u32 v19, v12, v19
	v_add_co_u32_e32 v17, vcc, v17, v19
	v_mul_hi_u32 v20, v12, v13
	v_addc_co_u32_e32 v16, vcc, v16, v21, vcc
	v_addc_co_u32_e32 v17, vcc, 0, v20, vcc
	v_mul_lo_u32 v13, v12, v13
	v_add_co_u32_e32 v13, vcc, v16, v13
	v_addc_co_u32_e32 v16, vcc, 0, v17, vcc
	v_add_co_u32_e32 v3, vcc, v3, v13
	v_addc_co_u32_e32 v12, vcc, v12, v16, vcc
	v_mul_lo_u32 v13, s0, v12
	v_mul_hi_u32 v16, s0, v3
	v_add_u32_e32 v13, v16, v13
	v_mul_lo_u32 v16, s1, v3
	v_add_u32_e32 v13, v13, v16
	v_mul_lo_u32 v17, s0, v3
	v_mul_hi_u32 v19, v12, v17
	v_mul_lo_u32 v20, v12, v17
	v_mul_lo_u32 v22, v3, v13
	v_mul_hi_u32 v17, v3, v17
	v_mul_hi_u32 v21, v3, v13
	v_add_co_u32_e32 v17, vcc, v17, v22
	v_addc_co_u32_e32 v21, vcc, 0, v21, vcc
	v_add_co_u32_e32 v17, vcc, v17, v20
	v_mul_hi_u32 v16, v12, v13
	v_addc_co_u32_e32 v17, vcc, v21, v19, vcc
	v_addc_co_u32_e32 v16, vcc, 0, v16, vcc
	v_mul_lo_u32 v13, v12, v13
	v_add_co_u32_e32 v13, vcc, v17, v13
	v_addc_co_u32_e32 v16, vcc, 0, v16, vcc
	v_add_co_u32_e32 v3, vcc, v3, v13
	v_addc_co_u32_e32 v16, vcc, v12, v16, vcc
	v_ashrrev_i32_e32 v19, 31, v11
	v_add_co_u32_e32 v12, vcc, v10, v19
	v_addc_co_u32_e32 v13, vcc, v11, v19, vcc
	v_xor_b32_e32 v21, v12, v19
	v_xor_b32_e32 v20, v13, v19
	v_mad_u64_u32 v[12:13], s[0:1], v21, v16, 0
	v_mul_hi_u32 v17, v21, v3
	v_add_co_u32_e32 v22, vcc, v17, v12
	v_addc_co_u32_e32 v23, vcc, 0, v13, vcc
	v_mad_u64_u32 v[12:13], s[0:1], v20, v16, 0
	v_mad_u64_u32 v[16:17], s[0:1], v20, v3, 0
	v_add_co_u32_e32 v3, vcc, v22, v16
	v_addc_co_u32_e32 v3, vcc, v23, v17, vcc
	v_addc_co_u32_e32 v13, vcc, 0, v13, vcc
	v_add_co_u32_e32 v3, vcc, v3, v12
	v_addc_co_u32_e32 v16, vcc, 0, v13, vcc
	v_mul_lo_u32 v17, s49, v3
	v_mul_lo_u32 v22, s48, v16
	v_mad_u64_u32 v[12:13], s[0:1], s48, v3, 0
	v_add3_u32 v13, v13, v22, v17
	v_sub_u32_e32 v17, v20, v13
	v_mov_b32_e32 v22, s49
	v_sub_co_u32_e32 v12, vcc, v21, v12
	v_subb_co_u32_e64 v17, s[0:1], v17, v22, vcc
	v_subrev_co_u32_e64 v21, s[0:1], s48, v12
	v_subbrev_co_u32_e64 v17, s[0:1], 0, v17, s[0:1]
	v_cmp_le_u32_e64 s[0:1], s49, v17
	v_cndmask_b32_e64 v22, 0, -1, s[0:1]
	v_cmp_le_u32_e64 s[0:1], s48, v21
	v_cndmask_b32_e64 v21, 0, -1, s[0:1]
	v_cmp_eq_u32_e64 s[0:1], s49, v17
	v_cndmask_b32_e64 v17, v22, v21, s[0:1]
	v_add_co_u32_e64 v21, s[0:1], 2, v3
	v_subb_co_u32_e32 v13, vcc, v20, v13, vcc
	v_addc_co_u32_e64 v22, s[0:1], 0, v16, s[0:1]
	v_cmp_le_u32_e32 vcc, s49, v13
	v_add_co_u32_e64 v23, s[0:1], 1, v3
	v_cndmask_b32_e64 v20, 0, -1, vcc
	v_cmp_le_u32_e32 vcc, s48, v12
	v_addc_co_u32_e64 v24, s[0:1], 0, v16, s[0:1]
	v_cndmask_b32_e64 v12, 0, -1, vcc
	v_cmp_eq_u32_e32 vcc, s49, v13
	v_cmp_ne_u32_e64 s[0:1], 0, v17
	v_cndmask_b32_e32 v12, v20, v12, vcc
	v_cmp_ne_u32_e32 vcc, 0, v12
	v_cndmask_b32_e64 v13, v23, v21, s[0:1]
	v_cndmask_b32_e64 v17, v24, v22, s[0:1]
	v_cndmask_b32_e32 v3, v3, v13, vcc
	v_xor_b32_e32 v13, s46, v19
	v_cndmask_b32_e32 v12, v16, v17, vcc
	v_xor_b32_e32 v3, v3, v13
	v_xor_b32_e32 v16, v12, v13
	v_sub_co_u32_e32 v12, vcc, v3, v13
	v_subb_co_u32_e32 v13, vcc, v16, v13, vcc
.LBB75_24:                              ;   in Loop: Header=BB75_22 Depth=2
	s_andn2_saveexec_b64 s[0:1], s[44:45]
	s_cbranch_execz .LBB75_21
; %bb.25:                               ;   in Loop: Header=BB75_22 Depth=2
	v_cvt_f32_u32_e32 v3, s42
	s_sub_i32 s44, 0, s42
	v_rcp_iflag_f32_e32 v3, v3
	v_mul_f32_e32 v3, 0x4f7ffffe, v3
	v_cvt_u32_f32_e32 v3, v3
	v_mul_lo_u32 v12, s44, v3
	v_mul_hi_u32 v12, v3, v12
	v_add_u32_e32 v3, v3, v12
	v_mul_hi_u32 v3, v10, v3
	v_mul_lo_u32 v12, v3, s42
	v_sub_u32_e32 v12, v10, v12
	v_add_u32_e32 v13, 1, v3
	v_subrev_u32_e32 v16, s42, v12
	v_cmp_le_u32_e32 vcc, s42, v12
	v_cndmask_b32_e32 v12, v12, v16, vcc
	v_cndmask_b32_e32 v3, v3, v13, vcc
	v_add_u32_e32 v13, 1, v3
	v_cmp_le_u32_e32 vcc, s42, v12
	v_cndmask_b32_e32 v12, v3, v13, vcc
	v_mov_b32_e32 v13, v2
	s_branch .LBB75_21
.LBB75_26:
	s_endpgm
	.section	.rodata,"a",@progbits
	.p2align	6, 0x0
	.amdhsa_kernel _ZN2at6native16triu_tril_kernelIdlLb1ELi2ELb0EEEvNS_4cuda6detail10TensorInfoIT_T0_EENS4_IKS5_S6_EEllS6_
		.amdhsa_group_segment_fixed_size 0
		.amdhsa_private_segment_fixed_size 0
		.amdhsa_kernarg_size 1112
		.amdhsa_user_sgpr_count 6
		.amdhsa_user_sgpr_private_segment_buffer 1
		.amdhsa_user_sgpr_dispatch_ptr 0
		.amdhsa_user_sgpr_queue_ptr 0
		.amdhsa_user_sgpr_kernarg_segment_ptr 1
		.amdhsa_user_sgpr_dispatch_id 0
		.amdhsa_user_sgpr_flat_scratch_init 0
		.amdhsa_user_sgpr_kernarg_preload_length 0
		.amdhsa_user_sgpr_kernarg_preload_offset 0
		.amdhsa_user_sgpr_private_segment_size 0
		.amdhsa_uses_dynamic_stack 0
		.amdhsa_system_sgpr_private_segment_wavefront_offset 0
		.amdhsa_system_sgpr_workgroup_id_x 1
		.amdhsa_system_sgpr_workgroup_id_y 0
		.amdhsa_system_sgpr_workgroup_id_z 0
		.amdhsa_system_sgpr_workgroup_info 0
		.amdhsa_system_vgpr_workitem_id 0
		.amdhsa_next_free_vgpr 25
		.amdhsa_next_free_sgpr 51
		.amdhsa_accum_offset 28
		.amdhsa_reserve_vcc 1
		.amdhsa_reserve_flat_scratch 0
		.amdhsa_float_round_mode_32 0
		.amdhsa_float_round_mode_16_64 0
		.amdhsa_float_denorm_mode_32 3
		.amdhsa_float_denorm_mode_16_64 3
		.amdhsa_dx10_clamp 1
		.amdhsa_ieee_mode 1
		.amdhsa_fp16_overflow 0
		.amdhsa_tg_split 0
		.amdhsa_exception_fp_ieee_invalid_op 0
		.amdhsa_exception_fp_denorm_src 0
		.amdhsa_exception_fp_ieee_div_zero 0
		.amdhsa_exception_fp_ieee_overflow 0
		.amdhsa_exception_fp_ieee_underflow 0
		.amdhsa_exception_fp_ieee_inexact 0
		.amdhsa_exception_int_div_zero 0
	.end_amdhsa_kernel
	.section	.text._ZN2at6native16triu_tril_kernelIdlLb1ELi2ELb0EEEvNS_4cuda6detail10TensorInfoIT_T0_EENS4_IKS5_S6_EEllS6_,"axG",@progbits,_ZN2at6native16triu_tril_kernelIdlLb1ELi2ELb0EEEvNS_4cuda6detail10TensorInfoIT_T0_EENS4_IKS5_S6_EEllS6_,comdat
.Lfunc_end75:
	.size	_ZN2at6native16triu_tril_kernelIdlLb1ELi2ELb0EEEvNS_4cuda6detail10TensorInfoIT_T0_EENS4_IKS5_S6_EEllS6_, .Lfunc_end75-_ZN2at6native16triu_tril_kernelIdlLb1ELi2ELb0EEEvNS_4cuda6detail10TensorInfoIT_T0_EENS4_IKS5_S6_EEllS6_
                                        ; -- End function
	.section	.AMDGPU.csdata,"",@progbits
; Kernel info:
; codeLenInByte = 3440
; NumSgprs: 55
; NumVgprs: 25
; NumAgprs: 0
; TotalNumVgprs: 25
; ScratchSize: 0
; MemoryBound: 0
; FloatMode: 240
; IeeeMode: 1
; LDSByteSize: 0 bytes/workgroup (compile time only)
; SGPRBlocks: 6
; VGPRBlocks: 3
; NumSGPRsForWavesPerEU: 55
; NumVGPRsForWavesPerEU: 25
; AccumOffset: 28
; Occupancy: 8
; WaveLimiterHint : 0
; COMPUTE_PGM_RSRC2:SCRATCH_EN: 0
; COMPUTE_PGM_RSRC2:USER_SGPR: 6
; COMPUTE_PGM_RSRC2:TRAP_HANDLER: 0
; COMPUTE_PGM_RSRC2:TGID_X_EN: 1
; COMPUTE_PGM_RSRC2:TGID_Y_EN: 0
; COMPUTE_PGM_RSRC2:TGID_Z_EN: 0
; COMPUTE_PGM_RSRC2:TIDIG_COMP_CNT: 0
; COMPUTE_PGM_RSRC3_GFX90A:ACCUM_OFFSET: 6
; COMPUTE_PGM_RSRC3_GFX90A:TG_SPLIT: 0
	.section	.text._ZN2at6native16triu_tril_kernelIfiLb1ELi2ELb1EEEvNS_4cuda6detail10TensorInfoIT_T0_EENS4_IKS5_S6_EEllS6_,"axG",@progbits,_ZN2at6native16triu_tril_kernelIfiLb1ELi2ELb1EEEvNS_4cuda6detail10TensorInfoIT_T0_EENS4_IKS5_S6_EEllS6_,comdat
	.protected	_ZN2at6native16triu_tril_kernelIfiLb1ELi2ELb1EEEvNS_4cuda6detail10TensorInfoIT_T0_EENS4_IKS5_S6_EEllS6_ ; -- Begin function _ZN2at6native16triu_tril_kernelIfiLb1ELi2ELb1EEEvNS_4cuda6detail10TensorInfoIT_T0_EENS4_IKS5_S6_EEllS6_
	.globl	_ZN2at6native16triu_tril_kernelIfiLb1ELi2ELb1EEEvNS_4cuda6detail10TensorInfoIT_T0_EENS4_IKS5_S6_EEllS6_
	.p2align	8
	.type	_ZN2at6native16triu_tril_kernelIfiLb1ELi2ELb1EEEvNS_4cuda6detail10TensorInfoIT_T0_EENS4_IKS5_S6_EEllS6_,@function
_ZN2at6native16triu_tril_kernelIfiLb1ELi2ELb1EEEvNS_4cuda6detail10TensorInfoIT_T0_EENS4_IKS5_S6_EEllS6_: ; @_ZN2at6native16triu_tril_kernelIfiLb1ELi2ELb1EEEvNS_4cuda6detail10TensorInfoIT_T0_EENS4_IKS5_S6_EEllS6_
; %bb.0:
	s_load_dword s2, s[4:5], 0x1d4
	s_load_dwordx4 s[8:11], s[4:5], 0x1b0
	s_add_u32 s0, s4, 0x1c8
	v_mov_b32_e32 v2, 0
	s_addc_u32 s1, s5, 0
	s_waitcnt lgkmcnt(0)
	s_and_b32 s7, s2, 0xffff
	v_mov_b32_e32 v1, v2
	v_mov_b32_e32 v3, s6
	v_mad_u64_u32 v[0:1], s[2:3], s7, v3, v[0:1]
	v_lshlrev_b64 v[0:1], 1, v[0:1]
	v_cmp_gt_i64_e32 vcc, s[10:11], v[0:1]
	s_and_saveexec_b64 s[2:3], vcc
	s_cbranch_execz .LBB76_61
; %bb.1:
	s_load_dword s33, s[4:5], 0x1c0
	s_load_dword s14, s[4:5], 0x1a8
	;; [unrolled: 1-line block ×3, first 2 shown]
	s_load_dwordx2 s[2:3], s[4:5], 0x0
	s_mov_b64 s[22:23], 0
	s_waitcnt lgkmcnt(0)
	s_ashr_i32 s38, s33, 31
	s_ashr_i32 s15, s14, 31
	s_add_u32 s39, s4, 0xe0
	s_addc_u32 s40, s5, 0
	s_add_i32 s0, s14, -2
	s_ashr_i32 s1, s0, 31
	s_lshl_b64 s[12:13], s[0:1], 2
	s_add_u32 s16, s39, s12
	s_addc_u32 s17, s40, s13
	s_load_dword s41, s[16:17], 0x0
	s_lshl_b64 s[16:17], s[14:15], 2
	s_mul_i32 s1, s6, s7
	v_cmp_gt_i64_e64 s[6:7], s[14:15], 2
	v_cvt_f32_u32_e32 v3, s33
	s_waitcnt lgkmcnt(0)
	s_ashr_i32 s42, s41, 31
	s_add_u32 s15, s16, -4
	s_addc_u32 s16, s17, -1
	s_add_u32 s43, s4, 0x6c
	s_addc_u32 s44, s5, 0
	s_add_u32 s4, s43, s15
	v_rcp_iflag_f32_e32 v3, v3
	s_addc_u32 s5, s44, s16
	s_add_u32 s12, s43, s12
	s_addc_u32 s13, s44, s13
	s_add_i32 s45, s14, -3
	s_add_u32 s14, s39, s15
	v_mul_f32_e32 v3, 0x4f7ffffe, v3
	s_addc_u32 s15, s40, s16
	s_lshl_b32 s46, s1, 1
	s_and_b32 s48, s0, 7
	v_cvt_u32_f32_e32 v24, v3
	s_cmp_lg_u32 s48, 0
	s_mov_b32 s17, 0
	s_cselect_b64 s[18:19], -1, 0
	s_cmp_gt_u32 s45, 6
	s_mov_b32 s47, s17
	s_cselect_b64 s[20:21], -1, 0
	s_branch .LBB76_3
.LBB76_2:                               ;   in Loop: Header=BB76_3 Depth=1
	s_or_b64 exec, exec, s[24:25]
	v_mov_b32_e32 v3, s47
	v_add_co_u32_e32 v0, vcc, s46, v0
	v_addc_co_u32_e32 v1, vcc, v1, v3, vcc
	v_cmp_le_i64_e32 vcc, s[10:11], v[0:1]
	s_or_b64 s[22:23], vcc, s[22:23]
	s_andn2_b64 exec, exec, s[22:23]
	s_cbranch_execz .LBB76_61
.LBB76_3:                               ; =>This Loop Header: Depth=1
                                        ;     Child Loop BB76_16 Depth 2
                                        ;     Child Loop BB76_23 Depth 2
	v_or_b32_e32 v3, s38, v1
	v_cmp_ne_u64_e32 vcc, 0, v[2:3]
                                        ; implicit-def: $vgpr4_vgpr5
	s_and_saveexec_b64 s[0:1], vcc
	s_xor_b64 s[24:25], exec, s[0:1]
	s_cbranch_execz .LBB76_5
; %bb.4:                                ;   in Loop: Header=BB76_3 Depth=1
	s_add_u32 s0, s33, s38
	s_mov_b32 s26, s38
	s_mov_b32 s27, s38
	s_addc_u32 s1, s38, s38
	s_xor_b64 s[28:29], s[0:1], s[26:27]
	v_cvt_f32_u32_e32 v3, s28
	v_cvt_f32_u32_e32 v4, s29
	s_sub_u32 s0, 0, s28
	s_subb_u32 s1, 0, s29
	v_mac_f32_e32 v3, 0x4f800000, v4
	v_rcp_f32_e32 v3, v3
	v_mul_f32_e32 v3, 0x5f7ffffc, v3
	v_mul_f32_e32 v4, 0x2f800000, v3
	v_trunc_f32_e32 v4, v4
	v_mac_f32_e32 v3, 0xcf800000, v4
	v_cvt_u32_f32_e32 v4, v4
	v_cvt_u32_f32_e32 v3, v3
	v_mul_lo_u32 v5, s0, v4
	v_mul_hi_u32 v7, s0, v3
	v_mul_lo_u32 v6, s1, v3
	v_add_u32_e32 v5, v7, v5
	v_mul_lo_u32 v8, s0, v3
	v_add_u32_e32 v5, v5, v6
	v_mul_lo_u32 v7, v3, v5
	v_mul_hi_u32 v9, v3, v8
	v_mul_hi_u32 v6, v3, v5
	v_add_co_u32_e32 v7, vcc, v9, v7
	v_addc_co_u32_e32 v6, vcc, 0, v6, vcc
	v_mul_hi_u32 v10, v4, v8
	v_mul_lo_u32 v8, v4, v8
	v_add_co_u32_e32 v7, vcc, v7, v8
	v_mul_hi_u32 v9, v4, v5
	v_addc_co_u32_e32 v6, vcc, v6, v10, vcc
	v_addc_co_u32_e32 v7, vcc, 0, v9, vcc
	v_mul_lo_u32 v5, v4, v5
	v_add_co_u32_e32 v5, vcc, v6, v5
	v_addc_co_u32_e32 v6, vcc, 0, v7, vcc
	v_add_co_u32_e32 v3, vcc, v3, v5
	v_addc_co_u32_e32 v4, vcc, v4, v6, vcc
	v_mul_lo_u32 v5, s0, v4
	v_mul_hi_u32 v6, s0, v3
	v_add_u32_e32 v5, v6, v5
	v_mul_lo_u32 v6, s1, v3
	v_add_u32_e32 v5, v5, v6
	v_mul_lo_u32 v7, s0, v3
	v_mul_hi_u32 v8, v4, v7
	v_mul_lo_u32 v9, v4, v7
	v_mul_lo_u32 v11, v3, v5
	v_mul_hi_u32 v7, v3, v7
	v_mul_hi_u32 v10, v3, v5
	v_add_co_u32_e32 v7, vcc, v7, v11
	v_addc_co_u32_e32 v10, vcc, 0, v10, vcc
	v_add_co_u32_e32 v7, vcc, v7, v9
	v_mul_hi_u32 v6, v4, v5
	v_addc_co_u32_e32 v7, vcc, v10, v8, vcc
	v_addc_co_u32_e32 v6, vcc, 0, v6, vcc
	v_mul_lo_u32 v5, v4, v5
	v_add_co_u32_e32 v5, vcc, v7, v5
	v_addc_co_u32_e32 v6, vcc, 0, v6, vcc
	v_add_co_u32_e32 v3, vcc, v3, v5
	v_addc_co_u32_e32 v6, vcc, v4, v6, vcc
	v_ashrrev_i32_e32 v8, 31, v1
	v_add_co_u32_e32 v4, vcc, v0, v8
	v_addc_co_u32_e32 v5, vcc, v1, v8, vcc
	v_xor_b32_e32 v10, v4, v8
	v_xor_b32_e32 v9, v5, v8
	v_mad_u64_u32 v[4:5], s[0:1], v10, v6, 0
	v_mul_hi_u32 v7, v10, v3
	v_add_co_u32_e32 v11, vcc, v7, v4
	v_addc_co_u32_e32 v12, vcc, 0, v5, vcc
	v_mad_u64_u32 v[4:5], s[0:1], v9, v6, 0
	v_mad_u64_u32 v[6:7], s[0:1], v9, v3, 0
	v_add_co_u32_e32 v3, vcc, v11, v6
	v_addc_co_u32_e32 v3, vcc, v12, v7, vcc
	v_addc_co_u32_e32 v5, vcc, 0, v5, vcc
	v_add_co_u32_e32 v3, vcc, v3, v4
	v_addc_co_u32_e32 v6, vcc, 0, v5, vcc
	v_mul_lo_u32 v7, s29, v3
	v_mul_lo_u32 v11, s28, v6
	v_mad_u64_u32 v[4:5], s[0:1], s28, v3, 0
	v_add3_u32 v5, v5, v11, v7
	v_sub_u32_e32 v7, v9, v5
	v_mov_b32_e32 v11, s29
	v_sub_co_u32_e32 v4, vcc, v10, v4
	v_subb_co_u32_e64 v7, s[0:1], v7, v11, vcc
	v_subrev_co_u32_e64 v10, s[0:1], s28, v4
	v_subbrev_co_u32_e64 v7, s[0:1], 0, v7, s[0:1]
	v_cmp_le_u32_e64 s[0:1], s29, v7
	v_cndmask_b32_e64 v11, 0, -1, s[0:1]
	v_cmp_le_u32_e64 s[0:1], s28, v10
	v_cndmask_b32_e64 v10, 0, -1, s[0:1]
	v_cmp_eq_u32_e64 s[0:1], s29, v7
	v_cndmask_b32_e64 v7, v11, v10, s[0:1]
	v_add_co_u32_e64 v10, s[0:1], 2, v3
	v_subb_co_u32_e32 v5, vcc, v9, v5, vcc
	v_addc_co_u32_e64 v11, s[0:1], 0, v6, s[0:1]
	v_cmp_le_u32_e32 vcc, s29, v5
	v_add_co_u32_e64 v12, s[0:1], 1, v3
	v_cndmask_b32_e64 v9, 0, -1, vcc
	v_cmp_le_u32_e32 vcc, s28, v4
	v_addc_co_u32_e64 v13, s[0:1], 0, v6, s[0:1]
	v_cndmask_b32_e64 v4, 0, -1, vcc
	v_cmp_eq_u32_e32 vcc, s29, v5
	v_cmp_ne_u32_e64 s[0:1], 0, v7
	v_cndmask_b32_e32 v4, v9, v4, vcc
	v_cndmask_b32_e64 v7, v13, v11, s[0:1]
	v_cmp_ne_u32_e32 vcc, 0, v4
	v_cndmask_b32_e64 v5, v12, v10, s[0:1]
	v_cndmask_b32_e32 v4, v6, v7, vcc
	v_cndmask_b32_e32 v3, v3, v5, vcc
	v_xor_b32_e32 v6, s26, v8
	v_xor_b32_e32 v5, s27, v8
	;; [unrolled: 1-line block ×4, first 2 shown]
	v_sub_co_u32_e32 v4, vcc, v3, v6
	v_subb_co_u32_e32 v5, vcc, v7, v5, vcc
.LBB76_5:                               ;   in Loop: Header=BB76_3 Depth=1
	s_andn2_saveexec_b64 s[0:1], s[24:25]
	s_cbranch_execz .LBB76_7
; %bb.6:                                ;   in Loop: Header=BB76_3 Depth=1
	s_sub_i32 s16, 0, s33
	v_mul_lo_u32 v3, s16, v24
	v_mul_hi_u32 v3, v24, v3
	v_add_u32_e32 v3, v24, v3
	v_mul_hi_u32 v3, v0, v3
	v_mul_lo_u32 v4, v3, s33
	v_sub_u32_e32 v4, v0, v4
	v_subrev_u32_e32 v5, s33, v4
	v_cmp_le_u32_e32 vcc, s33, v4
	v_cndmask_b32_e32 v4, v4, v5, vcc
	v_add_u32_e32 v5, 1, v3
	v_cndmask_b32_e32 v3, v3, v5, vcc
	v_add_u32_e32 v5, 1, v3
	v_cmp_le_u32_e32 vcc, s33, v4
	v_cndmask_b32_e32 v4, v3, v5, vcc
	v_mov_b32_e32 v5, v2
.LBB76_7:                               ;   in Loop: Header=BB76_3 Depth=1
	s_or_b64 exec, exec, s[0:1]
	v_or_b32_e32 v3, s42, v5
	v_cmp_ne_u64_e32 vcc, 0, v[2:3]
                                        ; implicit-def: $vgpr6_vgpr7
	s_and_saveexec_b64 s[0:1], vcc
	s_xor_b64 s[24:25], exec, s[0:1]
	s_cbranch_execz .LBB76_9
; %bb.8:                                ;   in Loop: Header=BB76_3 Depth=1
	s_add_u32 s0, s41, s42
	s_mov_b32 s26, s42
	s_mov_b32 s27, s42
	s_addc_u32 s1, s42, s42
	s_xor_b64 s[28:29], s[0:1], s[26:27]
	v_cvt_f32_u32_e32 v3, s28
	v_cvt_f32_u32_e32 v6, s29
	s_sub_u32 s0, 0, s28
	s_subb_u32 s1, 0, s29
	v_mac_f32_e32 v3, 0x4f800000, v6
	v_rcp_f32_e32 v3, v3
	v_mul_f32_e32 v3, 0x5f7ffffc, v3
	v_mul_f32_e32 v6, 0x2f800000, v3
	v_trunc_f32_e32 v6, v6
	v_mac_f32_e32 v3, 0xcf800000, v6
	v_cvt_u32_f32_e32 v6, v6
	v_cvt_u32_f32_e32 v3, v3
	v_mul_lo_u32 v7, s0, v6
	v_mul_hi_u32 v9, s0, v3
	v_mul_lo_u32 v8, s1, v3
	v_add_u32_e32 v7, v9, v7
	v_mul_lo_u32 v10, s0, v3
	v_add_u32_e32 v7, v7, v8
	v_mul_lo_u32 v9, v3, v7
	v_mul_hi_u32 v11, v3, v10
	v_mul_hi_u32 v8, v3, v7
	v_add_co_u32_e32 v9, vcc, v11, v9
	v_addc_co_u32_e32 v8, vcc, 0, v8, vcc
	v_mul_hi_u32 v12, v6, v10
	v_mul_lo_u32 v10, v6, v10
	v_add_co_u32_e32 v9, vcc, v9, v10
	v_mul_hi_u32 v11, v6, v7
	v_addc_co_u32_e32 v8, vcc, v8, v12, vcc
	v_addc_co_u32_e32 v9, vcc, 0, v11, vcc
	v_mul_lo_u32 v7, v6, v7
	v_add_co_u32_e32 v7, vcc, v8, v7
	v_addc_co_u32_e32 v8, vcc, 0, v9, vcc
	v_add_co_u32_e32 v3, vcc, v3, v7
	v_addc_co_u32_e32 v6, vcc, v6, v8, vcc
	v_mul_lo_u32 v7, s0, v6
	v_mul_hi_u32 v8, s0, v3
	v_add_u32_e32 v7, v8, v7
	v_mul_lo_u32 v8, s1, v3
	v_add_u32_e32 v7, v7, v8
	v_mul_lo_u32 v9, s0, v3
	v_mul_hi_u32 v10, v6, v9
	v_mul_lo_u32 v11, v6, v9
	v_mul_lo_u32 v13, v3, v7
	v_mul_hi_u32 v9, v3, v9
	v_mul_hi_u32 v12, v3, v7
	v_add_co_u32_e32 v9, vcc, v9, v13
	v_addc_co_u32_e32 v12, vcc, 0, v12, vcc
	v_add_co_u32_e32 v9, vcc, v9, v11
	v_mul_hi_u32 v8, v6, v7
	v_addc_co_u32_e32 v9, vcc, v12, v10, vcc
	v_addc_co_u32_e32 v8, vcc, 0, v8, vcc
	v_mul_lo_u32 v7, v6, v7
	v_add_co_u32_e32 v7, vcc, v9, v7
	v_addc_co_u32_e32 v8, vcc, 0, v8, vcc
	v_add_co_u32_e32 v3, vcc, v3, v7
	v_addc_co_u32_e32 v8, vcc, v6, v8, vcc
	v_ashrrev_i32_e32 v10, 31, v5
	v_add_co_u32_e32 v6, vcc, v4, v10
	v_xor_b32_e32 v11, v6, v10
	v_addc_co_u32_e32 v5, vcc, v5, v10, vcc
	v_mad_u64_u32 v[6:7], s[0:1], v11, v8, 0
	v_mul_hi_u32 v9, v11, v3
	v_xor_b32_e32 v5, v5, v10
	v_add_co_u32_e32 v12, vcc, v9, v6
	v_addc_co_u32_e32 v13, vcc, 0, v7, vcc
	v_mad_u64_u32 v[6:7], s[0:1], v5, v8, 0
	v_mad_u64_u32 v[8:9], s[0:1], v5, v3, 0
	v_add_co_u32_e32 v3, vcc, v12, v8
	v_addc_co_u32_e32 v3, vcc, v13, v9, vcc
	v_addc_co_u32_e32 v7, vcc, 0, v7, vcc
	v_add_co_u32_e32 v3, vcc, v3, v6
	v_addc_co_u32_e32 v8, vcc, 0, v7, vcc
	v_mul_lo_u32 v9, s29, v3
	v_mul_lo_u32 v12, s28, v8
	v_mad_u64_u32 v[6:7], s[0:1], s28, v3, 0
	v_add3_u32 v7, v7, v12, v9
	v_sub_u32_e32 v9, v5, v7
	v_mov_b32_e32 v12, s29
	v_sub_co_u32_e32 v6, vcc, v11, v6
	v_subb_co_u32_e64 v9, s[0:1], v9, v12, vcc
	v_subrev_co_u32_e64 v11, s[0:1], s28, v6
	v_subbrev_co_u32_e64 v9, s[0:1], 0, v9, s[0:1]
	v_cmp_le_u32_e64 s[0:1], s29, v9
	v_cndmask_b32_e64 v12, 0, -1, s[0:1]
	v_cmp_le_u32_e64 s[0:1], s28, v11
	v_cndmask_b32_e64 v11, 0, -1, s[0:1]
	v_cmp_eq_u32_e64 s[0:1], s29, v9
	v_cndmask_b32_e64 v9, v12, v11, s[0:1]
	v_add_co_u32_e64 v11, s[0:1], 2, v3
	v_subb_co_u32_e32 v5, vcc, v5, v7, vcc
	v_addc_co_u32_e64 v12, s[0:1], 0, v8, s[0:1]
	v_cmp_le_u32_e32 vcc, s29, v5
	v_add_co_u32_e64 v13, s[0:1], 1, v3
	v_cndmask_b32_e64 v7, 0, -1, vcc
	v_cmp_le_u32_e32 vcc, s28, v6
	v_addc_co_u32_e64 v14, s[0:1], 0, v8, s[0:1]
	v_cndmask_b32_e64 v6, 0, -1, vcc
	v_cmp_eq_u32_e32 vcc, s29, v5
	v_cmp_ne_u32_e64 s[0:1], 0, v9
	v_cndmask_b32_e32 v5, v7, v6, vcc
	v_cmp_ne_u32_e32 vcc, 0, v5
	v_cndmask_b32_e64 v6, v13, v11, s[0:1]
	v_cndmask_b32_e64 v9, v14, v12, s[0:1]
	v_cndmask_b32_e32 v3, v3, v6, vcc
	v_xor_b32_e32 v6, s26, v10
	v_cndmask_b32_e32 v5, v8, v9, vcc
	v_xor_b32_e32 v7, s27, v10
	v_xor_b32_e32 v3, v3, v6
	;; [unrolled: 1-line block ×3, first 2 shown]
	v_sub_co_u32_e32 v6, vcc, v3, v6
	v_subb_co_u32_e32 v7, vcc, v5, v7, vcc
.LBB76_9:                               ;   in Loop: Header=BB76_3 Depth=1
	s_andn2_saveexec_b64 s[0:1], s[24:25]
	s_cbranch_execz .LBB76_11
; %bb.10:                               ;   in Loop: Header=BB76_3 Depth=1
	v_cvt_f32_u32_e32 v3, s41
	s_sub_i32 s16, 0, s41
	v_rcp_iflag_f32_e32 v3, v3
	v_mul_f32_e32 v3, 0x4f7ffffe, v3
	v_cvt_u32_f32_e32 v3, v3
	v_mul_lo_u32 v5, s16, v3
	v_mul_hi_u32 v5, v3, v5
	v_add_u32_e32 v3, v3, v5
	v_mul_hi_u32 v3, v4, v3
	v_mul_lo_u32 v5, v3, s41
	v_sub_u32_e32 v5, v4, v5
	v_add_u32_e32 v6, 1, v3
	v_subrev_u32_e32 v7, s41, v5
	v_cmp_le_u32_e32 vcc, s41, v5
	v_cndmask_b32_e32 v5, v5, v7, vcc
	v_cndmask_b32_e32 v3, v3, v6, vcc
	v_add_u32_e32 v6, 1, v3
	v_cmp_le_u32_e32 vcc, s41, v5
	v_cndmask_b32_e32 v6, v3, v6, vcc
	v_mov_b32_e32 v7, v2
.LBB76_11:                              ;   in Loop: Header=BB76_3 Depth=1
	s_or_b64 exec, exec, s[0:1]
	v_mad_u64_u32 v[8:9], s[0:1], v4, s33, 0
	v_sub_co_u32_e32 v26, vcc, v0, v8
	v_mad_u64_u32 v[8:9], s[0:1], v6, s41, 0
	v_sub_co_u32_e32 v25, vcc, v4, v8
	v_sub_u32_e32 v4, v26, v25
	v_ashrrev_i32_e32 v5, 31, v4
	v_cmp_gt_i64_e32 vcc, s[8:9], v[4:5]
	s_and_saveexec_b64 s[24:25], vcc
	s_cbranch_execz .LBB76_2
; %bb.12:                               ;   in Loop: Header=BB76_3 Depth=1
	s_load_dword s49, s[4:5], 0x0
	s_load_dword s0, s[12:13], 0x0
	s_andn2_b64 vcc, exec, s[6:7]
	s_waitcnt lgkmcnt(0)
	v_mul_lo_u32 v4, s49, v26
	v_mad_u64_u32 v[4:5], s[0:1], s0, v25, v[4:5]
	s_cbranch_vccnz .LBB76_57
; %bb.13:                               ;   in Loop: Header=BB76_3 Depth=1
	s_andn2_b64 vcc, exec, s[18:19]
	s_cbranch_vccnz .LBB76_20
; %bb.14:                               ;   in Loop: Header=BB76_3 Depth=1
	s_mov_b32 s36, s48
	s_mov_b32 s16, s45
	s_branch .LBB76_16
.LBB76_15:                              ;   in Loop: Header=BB76_16 Depth=2
	s_or_b64 exec, exec, s[0:1]
	s_add_u32 s0, s43, s26
	s_addc_u32 s1, s44, s27
	s_load_dword s0, s[0:1], 0x0
	v_mul_lo_u32 v3, v6, s37
	v_sub_u32_e32 v3, v8, v3
	s_add_i32 s16, s16, -1
	s_add_i32 s36, s36, -1
	s_cmp_lg_u32 s36, 0
	s_waitcnt lgkmcnt(0)
	v_mad_u64_u32 v[4:5], s[0:1], s0, v3, v[4:5]
	s_cbranch_scc0 .LBB76_21
.LBB76_16:                              ;   Parent Loop BB76_3 Depth=1
                                        ; =>  This Inner Loop Header: Depth=2
	s_lshl_b64 s[26:27], s[16:17], 2
	s_add_u32 s0, s39, s26
	s_addc_u32 s1, s40, s27
	s_load_dword s37, s[0:1], 0x0
	v_pk_mov_b32 v[8:9], v[6:7], v[6:7] op_sel:[0,1]
                                        ; implicit-def: $vgpr6_vgpr7
	s_waitcnt lgkmcnt(0)
	s_ashr_i32 s0, s37, 31
	v_or_b32_e32 v3, s0, v9
	v_cmp_ne_u64_e32 vcc, 0, v[2:3]
	s_and_saveexec_b64 s[28:29], vcc
	s_xor_b64 s[28:29], exec, s[28:29]
	s_cbranch_execz .LBB76_18
; %bb.17:                               ;   in Loop: Header=BB76_16 Depth=2
	s_add_u32 s34, s37, s0
	s_mov_b32 s30, s0
	s_mov_b32 s31, s0
	s_addc_u32 s35, s0, s0
	s_xor_b64 s[34:35], s[34:35], s[30:31]
	v_cvt_f32_u32_e32 v3, s34
	v_cvt_f32_u32_e32 v5, s35
	s_sub_u32 s0, 0, s34
	s_subb_u32 s1, 0, s35
	v_mac_f32_e32 v3, 0x4f800000, v5
	v_rcp_f32_e32 v3, v3
	v_mul_f32_e32 v3, 0x5f7ffffc, v3
	v_mul_f32_e32 v5, 0x2f800000, v3
	v_trunc_f32_e32 v5, v5
	v_mac_f32_e32 v3, 0xcf800000, v5
	v_cvt_u32_f32_e32 v5, v5
	v_cvt_u32_f32_e32 v3, v3
	v_mul_lo_u32 v6, s0, v5
	v_mul_hi_u32 v10, s0, v3
	v_mul_lo_u32 v7, s1, v3
	v_add_u32_e32 v6, v10, v6
	v_mul_lo_u32 v11, s0, v3
	v_add_u32_e32 v6, v6, v7
	v_mul_lo_u32 v10, v3, v6
	v_mul_hi_u32 v12, v3, v11
	v_mul_hi_u32 v7, v3, v6
	v_add_co_u32_e32 v10, vcc, v12, v10
	v_addc_co_u32_e32 v7, vcc, 0, v7, vcc
	v_mul_hi_u32 v13, v5, v11
	v_mul_lo_u32 v11, v5, v11
	v_add_co_u32_e32 v10, vcc, v10, v11
	v_mul_hi_u32 v12, v5, v6
	v_addc_co_u32_e32 v7, vcc, v7, v13, vcc
	v_addc_co_u32_e32 v10, vcc, 0, v12, vcc
	v_mul_lo_u32 v6, v5, v6
	v_add_co_u32_e32 v6, vcc, v7, v6
	v_addc_co_u32_e32 v7, vcc, 0, v10, vcc
	v_add_co_u32_e32 v3, vcc, v3, v6
	v_addc_co_u32_e32 v5, vcc, v5, v7, vcc
	v_mul_lo_u32 v6, s0, v5
	v_mul_hi_u32 v7, s0, v3
	v_add_u32_e32 v6, v7, v6
	v_mul_lo_u32 v7, s1, v3
	v_add_u32_e32 v6, v6, v7
	v_mul_lo_u32 v10, s0, v3
	v_mul_hi_u32 v11, v5, v10
	v_mul_lo_u32 v12, v5, v10
	v_mul_lo_u32 v14, v3, v6
	v_mul_hi_u32 v10, v3, v10
	v_mul_hi_u32 v13, v3, v6
	v_add_co_u32_e32 v10, vcc, v10, v14
	v_addc_co_u32_e32 v13, vcc, 0, v13, vcc
	v_add_co_u32_e32 v10, vcc, v10, v12
	v_mul_hi_u32 v7, v5, v6
	v_addc_co_u32_e32 v10, vcc, v13, v11, vcc
	v_addc_co_u32_e32 v7, vcc, 0, v7, vcc
	v_mul_lo_u32 v6, v5, v6
	v_add_co_u32_e32 v6, vcc, v10, v6
	v_addc_co_u32_e32 v7, vcc, 0, v7, vcc
	v_add_co_u32_e32 v3, vcc, v3, v6
	v_addc_co_u32_e32 v5, vcc, v5, v7, vcc
	v_ashrrev_i32_e32 v12, 31, v9
	v_add_co_u32_e32 v6, vcc, v8, v12
	v_addc_co_u32_e32 v7, vcc, v9, v12, vcc
	v_xor_b32_e32 v13, v6, v12
	v_xor_b32_e32 v9, v7, v12
	v_mad_u64_u32 v[6:7], s[0:1], v13, v5, 0
	v_mul_hi_u32 v10, v13, v3
	v_add_co_u32_e32 v14, vcc, v10, v6
	v_addc_co_u32_e32 v15, vcc, 0, v7, vcc
	v_mad_u64_u32 v[10:11], s[0:1], v9, v3, 0
	v_add_co_u32_e32 v3, vcc, v14, v10
	v_mad_u64_u32 v[6:7], s[0:1], v9, v5, 0
	v_addc_co_u32_e32 v3, vcc, v15, v11, vcc
	v_addc_co_u32_e32 v5, vcc, 0, v7, vcc
	v_add_co_u32_e32 v3, vcc, v3, v6
	v_addc_co_u32_e32 v5, vcc, 0, v5, vcc
	v_mul_lo_u32 v10, s35, v3
	v_mul_lo_u32 v11, s34, v5
	v_mad_u64_u32 v[6:7], s[0:1], s34, v3, 0
	v_add3_u32 v7, v7, v11, v10
	v_sub_u32_e32 v10, v9, v7
	v_mov_b32_e32 v11, s35
	v_sub_co_u32_e32 v6, vcc, v13, v6
	v_subb_co_u32_e64 v10, s[0:1], v10, v11, vcc
	v_subrev_co_u32_e64 v11, s[0:1], s34, v6
	v_subbrev_co_u32_e64 v10, s[0:1], 0, v10, s[0:1]
	v_cmp_le_u32_e64 s[0:1], s35, v10
	v_cndmask_b32_e64 v13, 0, -1, s[0:1]
	v_cmp_le_u32_e64 s[0:1], s34, v11
	v_cndmask_b32_e64 v11, 0, -1, s[0:1]
	v_cmp_eq_u32_e64 s[0:1], s35, v10
	v_cndmask_b32_e64 v10, v13, v11, s[0:1]
	v_add_co_u32_e64 v11, s[0:1], 2, v3
	v_subb_co_u32_e32 v7, vcc, v9, v7, vcc
	v_addc_co_u32_e64 v13, s[0:1], 0, v5, s[0:1]
	v_cmp_le_u32_e32 vcc, s35, v7
	v_add_co_u32_e64 v14, s[0:1], 1, v3
	v_cndmask_b32_e64 v9, 0, -1, vcc
	v_cmp_le_u32_e32 vcc, s34, v6
	v_addc_co_u32_e64 v15, s[0:1], 0, v5, s[0:1]
	v_cndmask_b32_e64 v6, 0, -1, vcc
	v_cmp_eq_u32_e32 vcc, s35, v7
	v_cmp_ne_u32_e64 s[0:1], 0, v10
	v_cndmask_b32_e32 v6, v9, v6, vcc
	v_cmp_ne_u32_e32 vcc, 0, v6
	v_cndmask_b32_e64 v6, v14, v11, s[0:1]
	v_cndmask_b32_e64 v10, v15, v13, s[0:1]
	v_cndmask_b32_e32 v3, v3, v6, vcc
	v_xor_b32_e32 v6, s30, v12
	v_cndmask_b32_e32 v5, v5, v10, vcc
	v_xor_b32_e32 v7, s31, v12
	v_xor_b32_e32 v3, v3, v6
	;; [unrolled: 1-line block ×3, first 2 shown]
	v_sub_co_u32_e32 v6, vcc, v3, v6
	v_subb_co_u32_e32 v7, vcc, v5, v7, vcc
.LBB76_18:                              ;   in Loop: Header=BB76_16 Depth=2
	s_andn2_saveexec_b64 s[0:1], s[28:29]
	s_cbranch_execz .LBB76_15
; %bb.19:                               ;   in Loop: Header=BB76_16 Depth=2
	v_cvt_f32_u32_e32 v3, s37
	s_sub_i32 s28, 0, s37
	v_rcp_iflag_f32_e32 v3, v3
	v_mul_f32_e32 v3, 0x4f7ffffe, v3
	v_cvt_u32_f32_e32 v3, v3
	v_mul_lo_u32 v5, s28, v3
	v_mul_hi_u32 v5, v3, v5
	v_add_u32_e32 v3, v3, v5
	v_mul_hi_u32 v3, v8, v3
	v_mul_lo_u32 v5, v3, s37
	v_sub_u32_e32 v5, v8, v5
	v_add_u32_e32 v6, 1, v3
	v_subrev_u32_e32 v7, s37, v5
	v_cmp_le_u32_e32 vcc, s37, v5
	v_cndmask_b32_e32 v5, v5, v7, vcc
	v_cndmask_b32_e32 v3, v3, v6, vcc
	v_add_u32_e32 v6, 1, v3
	v_cmp_le_u32_e32 vcc, s37, v5
	v_cndmask_b32_e32 v6, v3, v6, vcc
	v_mov_b32_e32 v7, v2
	s_branch .LBB76_15
.LBB76_20:                              ;   in Loop: Header=BB76_3 Depth=1
	s_mov_b32 s16, s45
.LBB76_21:                              ;   in Loop: Header=BB76_3 Depth=1
	s_andn2_b64 vcc, exec, s[20:21]
	s_cbranch_vccnz .LBB76_57
; %bb.22:                               ;   in Loop: Header=BB76_3 Depth=1
	s_add_i32 s26, s16, -7
.LBB76_23:                              ;   Parent Loop BB76_3 Depth=1
                                        ; =>  This Inner Loop Header: Depth=2
	s_add_i32 s16, s26, 7
	s_lshl_b64 s[28:29], s[16:17], 2
	s_add_u32 s0, s39, s28
	s_addc_u32 s1, s40, s29
	s_load_dword s50, s[0:1], 0x0
                                        ; implicit-def: $vgpr8_vgpr9
	s_waitcnt lgkmcnt(0)
	s_ashr_i32 s0, s50, 31
	v_or_b32_e32 v3, s0, v7
	v_cmp_ne_u64_e32 vcc, 0, v[2:3]
	s_and_saveexec_b64 s[30:31], vcc
	s_xor_b64 s[30:31], exec, s[30:31]
	s_cbranch_execz .LBB76_25
; %bb.24:                               ;   in Loop: Header=BB76_23 Depth=2
	s_add_u32 s36, s50, s0
	s_mov_b32 s34, s0
	s_mov_b32 s35, s0
	s_addc_u32 s37, s0, s0
	s_xor_b64 s[36:37], s[36:37], s[34:35]
	v_cvt_f32_u32_e32 v3, s36
	v_cvt_f32_u32_e32 v5, s37
	s_sub_u32 s0, 0, s36
	s_subb_u32 s1, 0, s37
	v_mac_f32_e32 v3, 0x4f800000, v5
	v_rcp_f32_e32 v3, v3
	v_mul_f32_e32 v3, 0x5f7ffffc, v3
	v_mul_f32_e32 v5, 0x2f800000, v3
	v_trunc_f32_e32 v5, v5
	v_mac_f32_e32 v3, 0xcf800000, v5
	v_cvt_u32_f32_e32 v5, v5
	v_cvt_u32_f32_e32 v3, v3
	v_mul_lo_u32 v8, s0, v5
	v_mul_hi_u32 v10, s0, v3
	v_mul_lo_u32 v9, s1, v3
	v_add_u32_e32 v8, v10, v8
	v_mul_lo_u32 v11, s0, v3
	v_add_u32_e32 v8, v8, v9
	v_mul_lo_u32 v10, v3, v8
	v_mul_hi_u32 v12, v3, v11
	v_mul_hi_u32 v9, v3, v8
	v_add_co_u32_e32 v10, vcc, v12, v10
	v_addc_co_u32_e32 v9, vcc, 0, v9, vcc
	v_mul_hi_u32 v13, v5, v11
	v_mul_lo_u32 v11, v5, v11
	v_add_co_u32_e32 v10, vcc, v10, v11
	v_mul_hi_u32 v12, v5, v8
	v_addc_co_u32_e32 v9, vcc, v9, v13, vcc
	v_addc_co_u32_e32 v10, vcc, 0, v12, vcc
	v_mul_lo_u32 v8, v5, v8
	v_add_co_u32_e32 v8, vcc, v9, v8
	v_addc_co_u32_e32 v9, vcc, 0, v10, vcc
	v_add_co_u32_e32 v3, vcc, v3, v8
	v_addc_co_u32_e32 v5, vcc, v5, v9, vcc
	v_mul_lo_u32 v8, s0, v5
	v_mul_hi_u32 v9, s0, v3
	v_add_u32_e32 v8, v9, v8
	v_mul_lo_u32 v9, s1, v3
	v_add_u32_e32 v8, v8, v9
	v_mul_lo_u32 v10, s0, v3
	v_mul_hi_u32 v11, v5, v10
	v_mul_lo_u32 v12, v5, v10
	v_mul_lo_u32 v14, v3, v8
	v_mul_hi_u32 v10, v3, v10
	v_mul_hi_u32 v13, v3, v8
	v_add_co_u32_e32 v10, vcc, v10, v14
	v_addc_co_u32_e32 v13, vcc, 0, v13, vcc
	v_add_co_u32_e32 v10, vcc, v10, v12
	v_mul_hi_u32 v9, v5, v8
	v_addc_co_u32_e32 v10, vcc, v13, v11, vcc
	v_addc_co_u32_e32 v9, vcc, 0, v9, vcc
	v_mul_lo_u32 v8, v5, v8
	v_add_co_u32_e32 v8, vcc, v10, v8
	v_addc_co_u32_e32 v9, vcc, 0, v9, vcc
	v_add_co_u32_e32 v3, vcc, v3, v8
	v_addc_co_u32_e32 v5, vcc, v5, v9, vcc
	v_ashrrev_i32_e32 v12, 31, v7
	v_add_co_u32_e32 v8, vcc, v6, v12
	v_xor_b32_e32 v13, v8, v12
	v_addc_co_u32_e32 v7, vcc, v7, v12, vcc
	v_mad_u64_u32 v[8:9], s[0:1], v13, v5, 0
	v_mul_hi_u32 v10, v13, v3
	v_xor_b32_e32 v7, v7, v12
	v_add_co_u32_e32 v14, vcc, v10, v8
	v_addc_co_u32_e32 v15, vcc, 0, v9, vcc
	v_mad_u64_u32 v[10:11], s[0:1], v7, v3, 0
	v_add_co_u32_e32 v3, vcc, v14, v10
	v_mad_u64_u32 v[8:9], s[0:1], v7, v5, 0
	v_addc_co_u32_e32 v3, vcc, v15, v11, vcc
	v_addc_co_u32_e32 v5, vcc, 0, v9, vcc
	v_add_co_u32_e32 v3, vcc, v3, v8
	v_addc_co_u32_e32 v5, vcc, 0, v5, vcc
	v_mul_lo_u32 v10, s37, v3
	v_mul_lo_u32 v11, s36, v5
	v_mad_u64_u32 v[8:9], s[0:1], s36, v3, 0
	v_add3_u32 v9, v9, v11, v10
	v_sub_u32_e32 v10, v7, v9
	v_mov_b32_e32 v11, s37
	v_sub_co_u32_e32 v8, vcc, v13, v8
	v_subb_co_u32_e64 v10, s[0:1], v10, v11, vcc
	v_subrev_co_u32_e64 v11, s[0:1], s36, v8
	v_subbrev_co_u32_e64 v10, s[0:1], 0, v10, s[0:1]
	v_cmp_le_u32_e64 s[0:1], s37, v10
	v_cndmask_b32_e64 v13, 0, -1, s[0:1]
	v_cmp_le_u32_e64 s[0:1], s36, v11
	v_cndmask_b32_e64 v11, 0, -1, s[0:1]
	v_cmp_eq_u32_e64 s[0:1], s37, v10
	v_cndmask_b32_e64 v10, v13, v11, s[0:1]
	v_add_co_u32_e64 v11, s[0:1], 2, v3
	v_subb_co_u32_e32 v7, vcc, v7, v9, vcc
	v_addc_co_u32_e64 v13, s[0:1], 0, v5, s[0:1]
	v_cmp_le_u32_e32 vcc, s37, v7
	v_add_co_u32_e64 v14, s[0:1], 1, v3
	v_cndmask_b32_e64 v9, 0, -1, vcc
	v_cmp_le_u32_e32 vcc, s36, v8
	v_addc_co_u32_e64 v15, s[0:1], 0, v5, s[0:1]
	v_cndmask_b32_e64 v8, 0, -1, vcc
	v_cmp_eq_u32_e32 vcc, s37, v7
	v_cmp_ne_u32_e64 s[0:1], 0, v10
	v_cndmask_b32_e32 v7, v9, v8, vcc
	v_cmp_ne_u32_e32 vcc, 0, v7
	v_cndmask_b32_e64 v7, v14, v11, s[0:1]
	v_cndmask_b32_e64 v10, v15, v13, s[0:1]
	v_cndmask_b32_e32 v3, v3, v7, vcc
	v_xor_b32_e32 v8, s34, v12
	v_cndmask_b32_e32 v5, v5, v10, vcc
	v_xor_b32_e32 v7, s35, v12
	v_xor_b32_e32 v3, v3, v8
	;; [unrolled: 1-line block ×3, first 2 shown]
	v_sub_co_u32_e32 v8, vcc, v3, v8
	v_subb_co_u32_e32 v9, vcc, v5, v7, vcc
.LBB76_25:                              ;   in Loop: Header=BB76_23 Depth=2
	s_andn2_saveexec_b64 s[0:1], s[30:31]
	s_cbranch_execz .LBB76_27
; %bb.26:                               ;   in Loop: Header=BB76_23 Depth=2
	v_cvt_f32_u32_e32 v3, s50
	s_sub_i32 s16, 0, s50
	v_mov_b32_e32 v9, v2
	v_rcp_iflag_f32_e32 v3, v3
	v_mul_f32_e32 v3, 0x4f7ffffe, v3
	v_cvt_u32_f32_e32 v3, v3
	v_mul_lo_u32 v5, s16, v3
	v_mul_hi_u32 v5, v3, v5
	v_add_u32_e32 v3, v3, v5
	v_mul_hi_u32 v3, v6, v3
	v_mul_lo_u32 v5, v3, s50
	v_sub_u32_e32 v5, v6, v5
	v_add_u32_e32 v7, 1, v3
	v_subrev_u32_e32 v8, s50, v5
	v_cmp_le_u32_e32 vcc, s50, v5
	v_cndmask_b32_e32 v5, v5, v8, vcc
	v_cndmask_b32_e32 v3, v3, v7, vcc
	v_add_u32_e32 v7, 1, v3
	v_cmp_le_u32_e32 vcc, s50, v5
	v_cndmask_b32_e32 v8, v3, v7, vcc
.LBB76_27:                              ;   in Loop: Header=BB76_23 Depth=2
	s_or_b64 exec, exec, s[0:1]
	s_add_u32 s0, s43, s28
	s_addc_u32 s1, s44, s29
	s_add_i32 s16, s26, 6
	s_lshl_b64 s[28:29], s[16:17], 2
	s_add_u32 s30, s39, s28
	s_addc_u32 s31, s40, s29
	s_load_dword s51, s[30:31], 0x0
	s_load_dword s52, s[0:1], 0x0
                                        ; implicit-def: $vgpr10_vgpr11
	s_waitcnt lgkmcnt(0)
	s_ashr_i32 s0, s51, 31
	v_or_b32_e32 v3, s0, v9
	v_cmp_ne_u64_e32 vcc, 0, v[2:3]
	s_and_saveexec_b64 s[30:31], vcc
	s_xor_b64 s[30:31], exec, s[30:31]
	s_cbranch_execz .LBB76_29
; %bb.28:                               ;   in Loop: Header=BB76_23 Depth=2
	s_add_u32 s36, s51, s0
	s_mov_b32 s34, s0
	s_mov_b32 s35, s0
	s_addc_u32 s37, s0, s0
	s_xor_b64 s[36:37], s[36:37], s[34:35]
	v_cvt_f32_u32_e32 v3, s36
	v_cvt_f32_u32_e32 v5, s37
	s_sub_u32 s0, 0, s36
	s_subb_u32 s1, 0, s37
	v_mac_f32_e32 v3, 0x4f800000, v5
	v_rcp_f32_e32 v3, v3
	v_mul_f32_e32 v3, 0x5f7ffffc, v3
	v_mul_f32_e32 v5, 0x2f800000, v3
	v_trunc_f32_e32 v5, v5
	v_mac_f32_e32 v3, 0xcf800000, v5
	v_cvt_u32_f32_e32 v5, v5
	v_cvt_u32_f32_e32 v3, v3
	v_mul_lo_u32 v7, s0, v5
	v_mul_hi_u32 v11, s0, v3
	v_mul_lo_u32 v10, s1, v3
	v_add_u32_e32 v7, v11, v7
	v_mul_lo_u32 v12, s0, v3
	v_add_u32_e32 v7, v7, v10
	v_mul_lo_u32 v11, v3, v7
	v_mul_hi_u32 v13, v3, v12
	v_mul_hi_u32 v10, v3, v7
	v_add_co_u32_e32 v11, vcc, v13, v11
	v_addc_co_u32_e32 v10, vcc, 0, v10, vcc
	v_mul_hi_u32 v14, v5, v12
	v_mul_lo_u32 v12, v5, v12
	v_add_co_u32_e32 v11, vcc, v11, v12
	v_mul_hi_u32 v13, v5, v7
	v_addc_co_u32_e32 v10, vcc, v10, v14, vcc
	v_addc_co_u32_e32 v11, vcc, 0, v13, vcc
	v_mul_lo_u32 v7, v5, v7
	v_add_co_u32_e32 v7, vcc, v10, v7
	v_addc_co_u32_e32 v10, vcc, 0, v11, vcc
	v_add_co_u32_e32 v3, vcc, v3, v7
	v_addc_co_u32_e32 v5, vcc, v5, v10, vcc
	v_mul_lo_u32 v7, s0, v5
	v_mul_hi_u32 v10, s0, v3
	v_add_u32_e32 v7, v10, v7
	v_mul_lo_u32 v10, s1, v3
	v_add_u32_e32 v7, v7, v10
	v_mul_lo_u32 v11, s0, v3
	v_mul_hi_u32 v12, v5, v11
	v_mul_lo_u32 v13, v5, v11
	v_mul_lo_u32 v15, v3, v7
	v_mul_hi_u32 v11, v3, v11
	v_mul_hi_u32 v14, v3, v7
	v_add_co_u32_e32 v11, vcc, v11, v15
	v_addc_co_u32_e32 v14, vcc, 0, v14, vcc
	v_add_co_u32_e32 v11, vcc, v11, v13
	v_mul_hi_u32 v10, v5, v7
	v_addc_co_u32_e32 v11, vcc, v14, v12, vcc
	v_addc_co_u32_e32 v10, vcc, 0, v10, vcc
	v_mul_lo_u32 v7, v5, v7
	v_add_co_u32_e32 v7, vcc, v11, v7
	v_addc_co_u32_e32 v10, vcc, 0, v10, vcc
	v_add_co_u32_e32 v3, vcc, v3, v7
	v_addc_co_u32_e32 v5, vcc, v5, v10, vcc
	v_ashrrev_i32_e32 v7, 31, v9
	v_add_co_u32_e32 v10, vcc, v8, v7
	v_xor_b32_e32 v14, v10, v7
	v_addc_co_u32_e32 v9, vcc, v9, v7, vcc
	v_mad_u64_u32 v[10:11], s[0:1], v14, v5, 0
	v_mul_hi_u32 v12, v14, v3
	v_xor_b32_e32 v9, v9, v7
	v_add_co_u32_e32 v15, vcc, v12, v10
	v_addc_co_u32_e32 v16, vcc, 0, v11, vcc
	v_mad_u64_u32 v[12:13], s[0:1], v9, v3, 0
	v_add_co_u32_e32 v3, vcc, v15, v12
	v_mad_u64_u32 v[10:11], s[0:1], v9, v5, 0
	v_addc_co_u32_e32 v3, vcc, v16, v13, vcc
	v_addc_co_u32_e32 v5, vcc, 0, v11, vcc
	v_add_co_u32_e32 v3, vcc, v3, v10
	v_addc_co_u32_e32 v5, vcc, 0, v5, vcc
	v_mul_lo_u32 v12, s37, v3
	v_mul_lo_u32 v13, s36, v5
	v_mad_u64_u32 v[10:11], s[0:1], s36, v3, 0
	v_add3_u32 v11, v11, v13, v12
	v_sub_u32_e32 v12, v9, v11
	v_mov_b32_e32 v13, s37
	v_sub_co_u32_e32 v10, vcc, v14, v10
	v_subb_co_u32_e64 v12, s[0:1], v12, v13, vcc
	v_subrev_co_u32_e64 v13, s[0:1], s36, v10
	v_subbrev_co_u32_e64 v12, s[0:1], 0, v12, s[0:1]
	v_cmp_le_u32_e64 s[0:1], s37, v12
	v_cndmask_b32_e64 v14, 0, -1, s[0:1]
	v_cmp_le_u32_e64 s[0:1], s36, v13
	v_cndmask_b32_e64 v13, 0, -1, s[0:1]
	v_cmp_eq_u32_e64 s[0:1], s37, v12
	v_cndmask_b32_e64 v12, v14, v13, s[0:1]
	v_add_co_u32_e64 v13, s[0:1], 2, v3
	v_subb_co_u32_e32 v9, vcc, v9, v11, vcc
	v_addc_co_u32_e64 v14, s[0:1], 0, v5, s[0:1]
	v_cmp_le_u32_e32 vcc, s37, v9
	v_add_co_u32_e64 v15, s[0:1], 1, v3
	v_cndmask_b32_e64 v11, 0, -1, vcc
	v_cmp_le_u32_e32 vcc, s36, v10
	v_addc_co_u32_e64 v16, s[0:1], 0, v5, s[0:1]
	v_cndmask_b32_e64 v10, 0, -1, vcc
	v_cmp_eq_u32_e32 vcc, s37, v9
	v_cmp_ne_u32_e64 s[0:1], 0, v12
	v_cndmask_b32_e32 v9, v11, v10, vcc
	v_cmp_ne_u32_e32 vcc, 0, v9
	v_cndmask_b32_e64 v9, v15, v13, s[0:1]
	v_cndmask_b32_e64 v12, v16, v14, s[0:1]
	v_cndmask_b32_e32 v3, v3, v9, vcc
	v_xor_b32_e32 v9, s35, v7
	v_xor_b32_e32 v7, s34, v7
	v_cndmask_b32_e32 v5, v5, v12, vcc
	v_xor_b32_e32 v3, v3, v7
	v_xor_b32_e32 v5, v5, v9
	v_sub_co_u32_e32 v10, vcc, v3, v7
	v_subb_co_u32_e32 v11, vcc, v5, v9, vcc
.LBB76_29:                              ;   in Loop: Header=BB76_23 Depth=2
	s_andn2_saveexec_b64 s[0:1], s[30:31]
	s_cbranch_execz .LBB76_31
; %bb.30:                               ;   in Loop: Header=BB76_23 Depth=2
	v_cvt_f32_u32_e32 v3, s51
	s_sub_i32 s16, 0, s51
	v_mov_b32_e32 v11, v2
	v_rcp_iflag_f32_e32 v3, v3
	v_mul_f32_e32 v3, 0x4f7ffffe, v3
	v_cvt_u32_f32_e32 v3, v3
	v_mul_lo_u32 v5, s16, v3
	v_mul_hi_u32 v5, v3, v5
	v_add_u32_e32 v3, v3, v5
	v_mul_hi_u32 v3, v8, v3
	v_mul_lo_u32 v5, v3, s51
	v_sub_u32_e32 v5, v8, v5
	v_add_u32_e32 v7, 1, v3
	v_subrev_u32_e32 v9, s51, v5
	v_cmp_le_u32_e32 vcc, s51, v5
	v_cndmask_b32_e32 v5, v5, v9, vcc
	v_cndmask_b32_e32 v3, v3, v7, vcc
	v_add_u32_e32 v7, 1, v3
	v_cmp_le_u32_e32 vcc, s51, v5
	v_cndmask_b32_e32 v10, v3, v7, vcc
.LBB76_31:                              ;   in Loop: Header=BB76_23 Depth=2
	s_or_b64 exec, exec, s[0:1]
	s_add_u32 s0, s43, s28
	s_addc_u32 s1, s44, s29
	s_add_i32 s16, s26, 5
	s_lshl_b64 s[28:29], s[16:17], 2
	s_add_u32 s30, s39, s28
	s_addc_u32 s31, s40, s29
	s_load_dword s53, s[30:31], 0x0
	s_load_dword s54, s[0:1], 0x0
                                        ; implicit-def: $vgpr12_vgpr13
	s_waitcnt lgkmcnt(0)
	s_ashr_i32 s0, s53, 31
	v_or_b32_e32 v3, s0, v11
	v_cmp_ne_u64_e32 vcc, 0, v[2:3]
	s_and_saveexec_b64 s[30:31], vcc
	s_xor_b64 s[30:31], exec, s[30:31]
	s_cbranch_execz .LBB76_33
; %bb.32:                               ;   in Loop: Header=BB76_23 Depth=2
	s_add_u32 s36, s53, s0
	s_mov_b32 s34, s0
	s_mov_b32 s35, s0
	s_addc_u32 s37, s0, s0
	s_xor_b64 s[36:37], s[36:37], s[34:35]
	v_cvt_f32_u32_e32 v3, s36
	v_cvt_f32_u32_e32 v5, s37
	s_sub_u32 s0, 0, s36
	s_subb_u32 s1, 0, s37
	v_mac_f32_e32 v3, 0x4f800000, v5
	v_rcp_f32_e32 v3, v3
	v_mul_f32_e32 v3, 0x5f7ffffc, v3
	v_mul_f32_e32 v5, 0x2f800000, v3
	v_trunc_f32_e32 v5, v5
	v_mac_f32_e32 v3, 0xcf800000, v5
	v_cvt_u32_f32_e32 v5, v5
	v_cvt_u32_f32_e32 v3, v3
	v_mul_lo_u32 v7, s0, v5
	v_mul_hi_u32 v12, s0, v3
	v_mul_lo_u32 v9, s1, v3
	v_add_u32_e32 v7, v12, v7
	v_mul_lo_u32 v13, s0, v3
	v_add_u32_e32 v7, v7, v9
	v_mul_lo_u32 v12, v3, v7
	v_mul_hi_u32 v14, v3, v13
	v_mul_hi_u32 v9, v3, v7
	v_add_co_u32_e32 v12, vcc, v14, v12
	v_addc_co_u32_e32 v9, vcc, 0, v9, vcc
	v_mul_hi_u32 v15, v5, v13
	v_mul_lo_u32 v13, v5, v13
	v_add_co_u32_e32 v12, vcc, v12, v13
	v_mul_hi_u32 v14, v5, v7
	v_addc_co_u32_e32 v9, vcc, v9, v15, vcc
	v_addc_co_u32_e32 v12, vcc, 0, v14, vcc
	v_mul_lo_u32 v7, v5, v7
	v_add_co_u32_e32 v7, vcc, v9, v7
	v_addc_co_u32_e32 v9, vcc, 0, v12, vcc
	v_add_co_u32_e32 v3, vcc, v3, v7
	v_addc_co_u32_e32 v5, vcc, v5, v9, vcc
	v_mul_lo_u32 v7, s0, v5
	v_mul_hi_u32 v9, s0, v3
	v_add_u32_e32 v7, v9, v7
	v_mul_lo_u32 v9, s1, v3
	v_add_u32_e32 v7, v7, v9
	v_mul_lo_u32 v12, s0, v3
	v_mul_hi_u32 v13, v5, v12
	v_mul_lo_u32 v14, v5, v12
	v_mul_lo_u32 v16, v3, v7
	v_mul_hi_u32 v12, v3, v12
	v_mul_hi_u32 v15, v3, v7
	v_add_co_u32_e32 v12, vcc, v12, v16
	v_addc_co_u32_e32 v15, vcc, 0, v15, vcc
	v_add_co_u32_e32 v12, vcc, v12, v14
	v_mul_hi_u32 v9, v5, v7
	v_addc_co_u32_e32 v12, vcc, v15, v13, vcc
	v_addc_co_u32_e32 v9, vcc, 0, v9, vcc
	v_mul_lo_u32 v7, v5, v7
	v_add_co_u32_e32 v7, vcc, v12, v7
	v_addc_co_u32_e32 v9, vcc, 0, v9, vcc
	v_add_co_u32_e32 v3, vcc, v3, v7
	v_addc_co_u32_e32 v5, vcc, v5, v9, vcc
	v_ashrrev_i32_e32 v7, 31, v11
	v_add_co_u32_e32 v9, vcc, v10, v7
	v_xor_b32_e32 v9, v9, v7
	v_addc_co_u32_e32 v11, vcc, v11, v7, vcc
	v_mad_u64_u32 v[12:13], s[0:1], v9, v5, 0
	v_mul_hi_u32 v14, v9, v3
	v_xor_b32_e32 v11, v11, v7
	v_add_co_u32_e32 v16, vcc, v14, v12
	v_addc_co_u32_e32 v17, vcc, 0, v13, vcc
	v_mad_u64_u32 v[14:15], s[0:1], v11, v3, 0
	v_add_co_u32_e32 v3, vcc, v16, v14
	v_mad_u64_u32 v[12:13], s[0:1], v11, v5, 0
	v_addc_co_u32_e32 v3, vcc, v17, v15, vcc
	v_addc_co_u32_e32 v5, vcc, 0, v13, vcc
	v_add_co_u32_e32 v3, vcc, v3, v12
	v_addc_co_u32_e32 v5, vcc, 0, v5, vcc
	v_mul_lo_u32 v14, s37, v3
	v_mul_lo_u32 v15, s36, v5
	v_mad_u64_u32 v[12:13], s[0:1], s36, v3, 0
	v_add3_u32 v13, v13, v15, v14
	v_sub_u32_e32 v14, v11, v13
	v_mov_b32_e32 v15, s37
	v_sub_co_u32_e32 v9, vcc, v9, v12
	v_subb_co_u32_e64 v12, s[0:1], v14, v15, vcc
	v_subrev_co_u32_e64 v14, s[0:1], s36, v9
	v_subbrev_co_u32_e64 v12, s[0:1], 0, v12, s[0:1]
	v_cmp_le_u32_e64 s[0:1], s37, v12
	v_cndmask_b32_e64 v15, 0, -1, s[0:1]
	v_cmp_le_u32_e64 s[0:1], s36, v14
	v_cndmask_b32_e64 v14, 0, -1, s[0:1]
	v_cmp_eq_u32_e64 s[0:1], s37, v12
	v_cndmask_b32_e64 v12, v15, v14, s[0:1]
	v_add_co_u32_e64 v14, s[0:1], 2, v3
	v_subb_co_u32_e32 v11, vcc, v11, v13, vcc
	v_addc_co_u32_e64 v15, s[0:1], 0, v5, s[0:1]
	v_cmp_le_u32_e32 vcc, s37, v11
	v_add_co_u32_e64 v16, s[0:1], 1, v3
	v_cndmask_b32_e64 v13, 0, -1, vcc
	v_cmp_le_u32_e32 vcc, s36, v9
	v_addc_co_u32_e64 v17, s[0:1], 0, v5, s[0:1]
	v_cndmask_b32_e64 v9, 0, -1, vcc
	v_cmp_eq_u32_e32 vcc, s37, v11
	v_cmp_ne_u32_e64 s[0:1], 0, v12
	v_cndmask_b32_e32 v9, v13, v9, vcc
	v_cmp_ne_u32_e32 vcc, 0, v9
	v_cndmask_b32_e64 v9, v16, v14, s[0:1]
	v_cndmask_b32_e64 v12, v17, v15, s[0:1]
	v_cndmask_b32_e32 v3, v3, v9, vcc
	v_xor_b32_e32 v9, s35, v7
	v_xor_b32_e32 v7, s34, v7
	v_cndmask_b32_e32 v5, v5, v12, vcc
	v_xor_b32_e32 v3, v3, v7
	v_xor_b32_e32 v5, v5, v9
	v_sub_co_u32_e32 v12, vcc, v3, v7
	v_subb_co_u32_e32 v13, vcc, v5, v9, vcc
.LBB76_33:                              ;   in Loop: Header=BB76_23 Depth=2
	s_andn2_saveexec_b64 s[0:1], s[30:31]
	s_cbranch_execz .LBB76_35
; %bb.34:                               ;   in Loop: Header=BB76_23 Depth=2
	v_cvt_f32_u32_e32 v3, s53
	s_sub_i32 s16, 0, s53
	v_mov_b32_e32 v13, v2
	v_rcp_iflag_f32_e32 v3, v3
	v_mul_f32_e32 v3, 0x4f7ffffe, v3
	v_cvt_u32_f32_e32 v3, v3
	v_mul_lo_u32 v5, s16, v3
	v_mul_hi_u32 v5, v3, v5
	v_add_u32_e32 v3, v3, v5
	v_mul_hi_u32 v3, v10, v3
	v_mul_lo_u32 v5, v3, s53
	v_sub_u32_e32 v5, v10, v5
	v_add_u32_e32 v7, 1, v3
	v_subrev_u32_e32 v9, s53, v5
	v_cmp_le_u32_e32 vcc, s53, v5
	v_cndmask_b32_e32 v5, v5, v9, vcc
	v_cndmask_b32_e32 v3, v3, v7, vcc
	v_add_u32_e32 v7, 1, v3
	v_cmp_le_u32_e32 vcc, s53, v5
	v_cndmask_b32_e32 v12, v3, v7, vcc
.LBB76_35:                              ;   in Loop: Header=BB76_23 Depth=2
	s_or_b64 exec, exec, s[0:1]
	s_add_u32 s0, s43, s28
	s_addc_u32 s1, s44, s29
	s_add_i32 s16, s26, 4
	s_lshl_b64 s[28:29], s[16:17], 2
	s_add_u32 s30, s39, s28
	s_addc_u32 s31, s40, s29
	s_load_dword s55, s[30:31], 0x0
	s_load_dword s56, s[0:1], 0x0
                                        ; implicit-def: $vgpr14_vgpr15
	s_waitcnt lgkmcnt(0)
	s_ashr_i32 s0, s55, 31
	v_or_b32_e32 v3, s0, v13
	v_cmp_ne_u64_e32 vcc, 0, v[2:3]
	s_and_saveexec_b64 s[30:31], vcc
	s_xor_b64 s[30:31], exec, s[30:31]
	s_cbranch_execz .LBB76_37
; %bb.36:                               ;   in Loop: Header=BB76_23 Depth=2
	s_add_u32 s36, s55, s0
	s_mov_b32 s34, s0
	s_mov_b32 s35, s0
	s_addc_u32 s37, s0, s0
	s_xor_b64 s[36:37], s[36:37], s[34:35]
	v_cvt_f32_u32_e32 v3, s36
	v_cvt_f32_u32_e32 v5, s37
	s_sub_u32 s0, 0, s36
	s_subb_u32 s1, 0, s37
	v_mac_f32_e32 v3, 0x4f800000, v5
	v_rcp_f32_e32 v3, v3
	v_mul_f32_e32 v3, 0x5f7ffffc, v3
	v_mul_f32_e32 v5, 0x2f800000, v3
	v_trunc_f32_e32 v5, v5
	v_mac_f32_e32 v3, 0xcf800000, v5
	v_cvt_u32_f32_e32 v5, v5
	v_cvt_u32_f32_e32 v3, v3
	v_mul_lo_u32 v7, s0, v5
	v_mul_hi_u32 v11, s0, v3
	v_mul_lo_u32 v9, s1, v3
	v_add_u32_e32 v7, v11, v7
	v_mul_lo_u32 v14, s0, v3
	v_add_u32_e32 v7, v7, v9
	v_mul_lo_u32 v11, v3, v7
	v_mul_hi_u32 v15, v3, v14
	v_mul_hi_u32 v9, v3, v7
	v_add_co_u32_e32 v11, vcc, v15, v11
	v_addc_co_u32_e32 v9, vcc, 0, v9, vcc
	v_mul_hi_u32 v16, v5, v14
	v_mul_lo_u32 v14, v5, v14
	v_add_co_u32_e32 v11, vcc, v11, v14
	v_mul_hi_u32 v15, v5, v7
	v_addc_co_u32_e32 v9, vcc, v9, v16, vcc
	v_addc_co_u32_e32 v11, vcc, 0, v15, vcc
	v_mul_lo_u32 v7, v5, v7
	v_add_co_u32_e32 v7, vcc, v9, v7
	v_addc_co_u32_e32 v9, vcc, 0, v11, vcc
	v_add_co_u32_e32 v3, vcc, v3, v7
	v_addc_co_u32_e32 v5, vcc, v5, v9, vcc
	v_mul_lo_u32 v7, s0, v5
	v_mul_hi_u32 v9, s0, v3
	v_add_u32_e32 v7, v9, v7
	v_mul_lo_u32 v9, s1, v3
	v_add_u32_e32 v7, v7, v9
	v_mul_lo_u32 v11, s0, v3
	v_mul_hi_u32 v14, v5, v11
	v_mul_lo_u32 v15, v5, v11
	v_mul_lo_u32 v17, v3, v7
	v_mul_hi_u32 v11, v3, v11
	v_mul_hi_u32 v16, v3, v7
	v_add_co_u32_e32 v11, vcc, v11, v17
	v_addc_co_u32_e32 v16, vcc, 0, v16, vcc
	v_add_co_u32_e32 v11, vcc, v11, v15
	v_mul_hi_u32 v9, v5, v7
	v_addc_co_u32_e32 v11, vcc, v16, v14, vcc
	v_addc_co_u32_e32 v9, vcc, 0, v9, vcc
	v_mul_lo_u32 v7, v5, v7
	v_add_co_u32_e32 v7, vcc, v11, v7
	v_addc_co_u32_e32 v9, vcc, 0, v9, vcc
	v_add_co_u32_e32 v3, vcc, v3, v7
	v_addc_co_u32_e32 v5, vcc, v5, v9, vcc
	v_ashrrev_i32_e32 v7, 31, v13
	v_add_co_u32_e32 v9, vcc, v12, v7
	v_xor_b32_e32 v9, v9, v7
	v_addc_co_u32_e32 v11, vcc, v13, v7, vcc
	v_mad_u64_u32 v[14:15], s[0:1], v9, v5, 0
	v_mul_hi_u32 v13, v9, v3
	v_xor_b32_e32 v11, v11, v7
	v_add_co_u32_e32 v13, vcc, v13, v14
	v_addc_co_u32_e32 v18, vcc, 0, v15, vcc
	v_mad_u64_u32 v[16:17], s[0:1], v11, v3, 0
	v_add_co_u32_e32 v3, vcc, v13, v16
	v_mad_u64_u32 v[14:15], s[0:1], v11, v5, 0
	v_addc_co_u32_e32 v3, vcc, v18, v17, vcc
	v_addc_co_u32_e32 v5, vcc, 0, v15, vcc
	v_add_co_u32_e32 v3, vcc, v3, v14
	v_addc_co_u32_e32 v5, vcc, 0, v5, vcc
	v_mul_lo_u32 v13, s37, v3
	v_mul_lo_u32 v16, s36, v5
	v_mad_u64_u32 v[14:15], s[0:1], s36, v3, 0
	v_add3_u32 v13, v15, v16, v13
	v_sub_u32_e32 v15, v11, v13
	v_mov_b32_e32 v16, s37
	v_sub_co_u32_e32 v9, vcc, v9, v14
	v_subb_co_u32_e64 v14, s[0:1], v15, v16, vcc
	v_subrev_co_u32_e64 v15, s[0:1], s36, v9
	v_subbrev_co_u32_e64 v14, s[0:1], 0, v14, s[0:1]
	v_cmp_le_u32_e64 s[0:1], s37, v14
	v_cndmask_b32_e64 v16, 0, -1, s[0:1]
	v_cmp_le_u32_e64 s[0:1], s36, v15
	v_cndmask_b32_e64 v15, 0, -1, s[0:1]
	v_cmp_eq_u32_e64 s[0:1], s37, v14
	v_cndmask_b32_e64 v14, v16, v15, s[0:1]
	v_add_co_u32_e64 v15, s[0:1], 2, v3
	v_subb_co_u32_e32 v11, vcc, v11, v13, vcc
	v_addc_co_u32_e64 v16, s[0:1], 0, v5, s[0:1]
	v_cmp_le_u32_e32 vcc, s37, v11
	v_add_co_u32_e64 v17, s[0:1], 1, v3
	v_cndmask_b32_e64 v13, 0, -1, vcc
	v_cmp_le_u32_e32 vcc, s36, v9
	v_addc_co_u32_e64 v18, s[0:1], 0, v5, s[0:1]
	v_cndmask_b32_e64 v9, 0, -1, vcc
	v_cmp_eq_u32_e32 vcc, s37, v11
	v_cmp_ne_u32_e64 s[0:1], 0, v14
	v_cndmask_b32_e32 v9, v13, v9, vcc
	v_cmp_ne_u32_e32 vcc, 0, v9
	v_cndmask_b32_e64 v9, v17, v15, s[0:1]
	v_cndmask_b32_e64 v14, v18, v16, s[0:1]
	v_cndmask_b32_e32 v3, v3, v9, vcc
	v_xor_b32_e32 v9, s35, v7
	v_xor_b32_e32 v7, s34, v7
	v_cndmask_b32_e32 v5, v5, v14, vcc
	v_xor_b32_e32 v3, v3, v7
	v_xor_b32_e32 v5, v5, v9
	v_sub_co_u32_e32 v14, vcc, v3, v7
	v_subb_co_u32_e32 v15, vcc, v5, v9, vcc
.LBB76_37:                              ;   in Loop: Header=BB76_23 Depth=2
	s_andn2_saveexec_b64 s[0:1], s[30:31]
	s_cbranch_execz .LBB76_39
; %bb.38:                               ;   in Loop: Header=BB76_23 Depth=2
	v_cvt_f32_u32_e32 v3, s55
	s_sub_i32 s16, 0, s55
	v_mov_b32_e32 v15, v2
	v_rcp_iflag_f32_e32 v3, v3
	v_mul_f32_e32 v3, 0x4f7ffffe, v3
	v_cvt_u32_f32_e32 v3, v3
	v_mul_lo_u32 v5, s16, v3
	v_mul_hi_u32 v5, v3, v5
	v_add_u32_e32 v3, v3, v5
	v_mul_hi_u32 v3, v12, v3
	v_mul_lo_u32 v5, v3, s55
	v_sub_u32_e32 v5, v12, v5
	v_add_u32_e32 v7, 1, v3
	v_subrev_u32_e32 v9, s55, v5
	v_cmp_le_u32_e32 vcc, s55, v5
	v_cndmask_b32_e32 v5, v5, v9, vcc
	v_cndmask_b32_e32 v3, v3, v7, vcc
	v_add_u32_e32 v7, 1, v3
	v_cmp_le_u32_e32 vcc, s55, v5
	v_cndmask_b32_e32 v14, v3, v7, vcc
.LBB76_39:                              ;   in Loop: Header=BB76_23 Depth=2
	s_or_b64 exec, exec, s[0:1]
	s_add_u32 s0, s43, s28
	s_addc_u32 s1, s44, s29
	s_add_i32 s16, s26, 3
	s_lshl_b64 s[28:29], s[16:17], 2
	s_add_u32 s30, s39, s28
	s_addc_u32 s31, s40, s29
	s_load_dword s57, s[30:31], 0x0
	s_load_dword s58, s[0:1], 0x0
                                        ; implicit-def: $vgpr16_vgpr17
	s_waitcnt lgkmcnt(0)
	s_ashr_i32 s0, s57, 31
	v_or_b32_e32 v3, s0, v15
	v_cmp_ne_u64_e32 vcc, 0, v[2:3]
	s_and_saveexec_b64 s[30:31], vcc
	s_xor_b64 s[30:31], exec, s[30:31]
	s_cbranch_execz .LBB76_41
; %bb.40:                               ;   in Loop: Header=BB76_23 Depth=2
	s_add_u32 s36, s57, s0
	s_mov_b32 s34, s0
	s_mov_b32 s35, s0
	s_addc_u32 s37, s0, s0
	s_xor_b64 s[36:37], s[36:37], s[34:35]
	v_cvt_f32_u32_e32 v3, s36
	v_cvt_f32_u32_e32 v5, s37
	s_sub_u32 s0, 0, s36
	s_subb_u32 s1, 0, s37
	v_mac_f32_e32 v3, 0x4f800000, v5
	v_rcp_f32_e32 v3, v3
	v_mul_f32_e32 v3, 0x5f7ffffc, v3
	v_mul_f32_e32 v5, 0x2f800000, v3
	v_trunc_f32_e32 v5, v5
	v_mac_f32_e32 v3, 0xcf800000, v5
	v_cvt_u32_f32_e32 v5, v5
	v_cvt_u32_f32_e32 v3, v3
	v_mul_lo_u32 v7, s0, v5
	v_mul_hi_u32 v11, s0, v3
	v_mul_lo_u32 v9, s1, v3
	v_add_u32_e32 v7, v11, v7
	v_mul_lo_u32 v13, s0, v3
	v_add_u32_e32 v7, v7, v9
	v_mul_lo_u32 v11, v3, v7
	v_mul_hi_u32 v16, v3, v13
	v_mul_hi_u32 v9, v3, v7
	v_add_co_u32_e32 v11, vcc, v16, v11
	v_addc_co_u32_e32 v9, vcc, 0, v9, vcc
	v_mul_hi_u32 v17, v5, v13
	v_mul_lo_u32 v13, v5, v13
	v_add_co_u32_e32 v11, vcc, v11, v13
	v_mul_hi_u32 v16, v5, v7
	v_addc_co_u32_e32 v9, vcc, v9, v17, vcc
	v_addc_co_u32_e32 v11, vcc, 0, v16, vcc
	v_mul_lo_u32 v7, v5, v7
	v_add_co_u32_e32 v7, vcc, v9, v7
	v_addc_co_u32_e32 v9, vcc, 0, v11, vcc
	v_add_co_u32_e32 v3, vcc, v3, v7
	v_addc_co_u32_e32 v5, vcc, v5, v9, vcc
	v_mul_lo_u32 v7, s0, v5
	v_mul_hi_u32 v9, s0, v3
	v_add_u32_e32 v7, v9, v7
	v_mul_lo_u32 v9, s1, v3
	v_add_u32_e32 v7, v7, v9
	v_mul_lo_u32 v11, s0, v3
	v_mul_hi_u32 v13, v5, v11
	v_mul_lo_u32 v16, v5, v11
	v_mul_lo_u32 v18, v3, v7
	v_mul_hi_u32 v11, v3, v11
	v_mul_hi_u32 v17, v3, v7
	v_add_co_u32_e32 v11, vcc, v11, v18
	v_addc_co_u32_e32 v17, vcc, 0, v17, vcc
	v_add_co_u32_e32 v11, vcc, v11, v16
	v_mul_hi_u32 v9, v5, v7
	v_addc_co_u32_e32 v11, vcc, v17, v13, vcc
	v_addc_co_u32_e32 v9, vcc, 0, v9, vcc
	v_mul_lo_u32 v7, v5, v7
	v_add_co_u32_e32 v7, vcc, v11, v7
	v_addc_co_u32_e32 v9, vcc, 0, v9, vcc
	v_add_co_u32_e32 v3, vcc, v3, v7
	v_addc_co_u32_e32 v5, vcc, v5, v9, vcc
	v_ashrrev_i32_e32 v7, 31, v15
	v_add_co_u32_e32 v9, vcc, v14, v7
	v_xor_b32_e32 v9, v9, v7
	v_addc_co_u32_e32 v11, vcc, v15, v7, vcc
	v_mad_u64_u32 v[16:17], s[0:1], v9, v5, 0
	v_mul_hi_u32 v13, v9, v3
	v_xor_b32_e32 v11, v11, v7
	v_add_co_u32_e32 v13, vcc, v13, v16
	v_addc_co_u32_e32 v15, vcc, 0, v17, vcc
	v_mad_u64_u32 v[18:19], s[0:1], v11, v3, 0
	v_add_co_u32_e32 v3, vcc, v13, v18
	v_mad_u64_u32 v[16:17], s[0:1], v11, v5, 0
	v_addc_co_u32_e32 v3, vcc, v15, v19, vcc
	v_addc_co_u32_e32 v5, vcc, 0, v17, vcc
	v_add_co_u32_e32 v3, vcc, v3, v16
	v_addc_co_u32_e32 v5, vcc, 0, v5, vcc
	v_mul_lo_u32 v13, s37, v3
	v_mul_lo_u32 v15, s36, v5
	v_mad_u64_u32 v[16:17], s[0:1], s36, v3, 0
	v_add3_u32 v13, v17, v15, v13
	v_sub_u32_e32 v15, v11, v13
	v_mov_b32_e32 v17, s37
	v_sub_co_u32_e32 v9, vcc, v9, v16
	v_subb_co_u32_e64 v15, s[0:1], v15, v17, vcc
	v_subrev_co_u32_e64 v16, s[0:1], s36, v9
	v_subbrev_co_u32_e64 v15, s[0:1], 0, v15, s[0:1]
	v_cmp_le_u32_e64 s[0:1], s37, v15
	v_cndmask_b32_e64 v17, 0, -1, s[0:1]
	v_cmp_le_u32_e64 s[0:1], s36, v16
	v_cndmask_b32_e64 v16, 0, -1, s[0:1]
	v_cmp_eq_u32_e64 s[0:1], s37, v15
	v_cndmask_b32_e64 v15, v17, v16, s[0:1]
	v_add_co_u32_e64 v16, s[0:1], 2, v3
	v_subb_co_u32_e32 v11, vcc, v11, v13, vcc
	v_addc_co_u32_e64 v17, s[0:1], 0, v5, s[0:1]
	v_cmp_le_u32_e32 vcc, s37, v11
	v_add_co_u32_e64 v18, s[0:1], 1, v3
	v_cndmask_b32_e64 v13, 0, -1, vcc
	v_cmp_le_u32_e32 vcc, s36, v9
	v_addc_co_u32_e64 v19, s[0:1], 0, v5, s[0:1]
	v_cndmask_b32_e64 v9, 0, -1, vcc
	v_cmp_eq_u32_e32 vcc, s37, v11
	v_cmp_ne_u32_e64 s[0:1], 0, v15
	v_cndmask_b32_e32 v9, v13, v9, vcc
	v_cmp_ne_u32_e32 vcc, 0, v9
	v_cndmask_b32_e64 v9, v18, v16, s[0:1]
	v_cndmask_b32_e64 v15, v19, v17, s[0:1]
	v_cndmask_b32_e32 v3, v3, v9, vcc
	v_xor_b32_e32 v9, s35, v7
	v_xor_b32_e32 v7, s34, v7
	v_cndmask_b32_e32 v5, v5, v15, vcc
	v_xor_b32_e32 v3, v3, v7
	v_xor_b32_e32 v5, v5, v9
	v_sub_co_u32_e32 v16, vcc, v3, v7
	v_subb_co_u32_e32 v17, vcc, v5, v9, vcc
.LBB76_41:                              ;   in Loop: Header=BB76_23 Depth=2
	s_andn2_saveexec_b64 s[0:1], s[30:31]
	s_cbranch_execz .LBB76_43
; %bb.42:                               ;   in Loop: Header=BB76_23 Depth=2
	v_cvt_f32_u32_e32 v3, s57
	s_sub_i32 s16, 0, s57
	v_mov_b32_e32 v17, v2
	v_rcp_iflag_f32_e32 v3, v3
	v_mul_f32_e32 v3, 0x4f7ffffe, v3
	v_cvt_u32_f32_e32 v3, v3
	v_mul_lo_u32 v5, s16, v3
	v_mul_hi_u32 v5, v3, v5
	v_add_u32_e32 v3, v3, v5
	v_mul_hi_u32 v3, v14, v3
	v_mul_lo_u32 v5, v3, s57
	v_sub_u32_e32 v5, v14, v5
	v_add_u32_e32 v7, 1, v3
	v_subrev_u32_e32 v9, s57, v5
	v_cmp_le_u32_e32 vcc, s57, v5
	v_cndmask_b32_e32 v5, v5, v9, vcc
	v_cndmask_b32_e32 v3, v3, v7, vcc
	v_add_u32_e32 v7, 1, v3
	v_cmp_le_u32_e32 vcc, s57, v5
	v_cndmask_b32_e32 v16, v3, v7, vcc
.LBB76_43:                              ;   in Loop: Header=BB76_23 Depth=2
	s_or_b64 exec, exec, s[0:1]
	s_add_u32 s0, s43, s28
	s_addc_u32 s1, s44, s29
	s_add_i32 s16, s26, 2
	s_lshl_b64 s[28:29], s[16:17], 2
	s_add_u32 s30, s39, s28
	s_addc_u32 s31, s40, s29
	s_load_dword s59, s[30:31], 0x0
	s_load_dword s60, s[0:1], 0x0
                                        ; implicit-def: $vgpr18_vgpr19
	s_waitcnt lgkmcnt(0)
	s_ashr_i32 s0, s59, 31
	v_or_b32_e32 v3, s0, v17
	v_cmp_ne_u64_e32 vcc, 0, v[2:3]
	s_and_saveexec_b64 s[30:31], vcc
	s_xor_b64 s[30:31], exec, s[30:31]
	s_cbranch_execz .LBB76_45
; %bb.44:                               ;   in Loop: Header=BB76_23 Depth=2
	s_add_u32 s36, s59, s0
	s_mov_b32 s34, s0
	s_mov_b32 s35, s0
	s_addc_u32 s37, s0, s0
	s_xor_b64 s[36:37], s[36:37], s[34:35]
	v_cvt_f32_u32_e32 v3, s36
	v_cvt_f32_u32_e32 v5, s37
	s_sub_u32 s0, 0, s36
	s_subb_u32 s1, 0, s37
	v_mac_f32_e32 v3, 0x4f800000, v5
	v_rcp_f32_e32 v3, v3
	v_mul_f32_e32 v3, 0x5f7ffffc, v3
	v_mul_f32_e32 v5, 0x2f800000, v3
	v_trunc_f32_e32 v5, v5
	v_mac_f32_e32 v3, 0xcf800000, v5
	v_cvt_u32_f32_e32 v5, v5
	v_cvt_u32_f32_e32 v3, v3
	v_mul_lo_u32 v7, s0, v5
	v_mul_hi_u32 v11, s0, v3
	v_mul_lo_u32 v9, s1, v3
	v_add_u32_e32 v7, v11, v7
	v_mul_lo_u32 v13, s0, v3
	v_add_u32_e32 v7, v7, v9
	v_mul_lo_u32 v11, v3, v7
	v_mul_hi_u32 v15, v3, v13
	v_mul_hi_u32 v9, v3, v7
	v_add_co_u32_e32 v11, vcc, v15, v11
	v_addc_co_u32_e32 v9, vcc, 0, v9, vcc
	v_mul_hi_u32 v18, v5, v13
	v_mul_lo_u32 v13, v5, v13
	v_add_co_u32_e32 v11, vcc, v11, v13
	v_mul_hi_u32 v15, v5, v7
	v_addc_co_u32_e32 v9, vcc, v9, v18, vcc
	v_addc_co_u32_e32 v11, vcc, 0, v15, vcc
	v_mul_lo_u32 v7, v5, v7
	v_add_co_u32_e32 v7, vcc, v9, v7
	v_addc_co_u32_e32 v9, vcc, 0, v11, vcc
	v_add_co_u32_e32 v3, vcc, v3, v7
	v_addc_co_u32_e32 v5, vcc, v5, v9, vcc
	v_mul_lo_u32 v7, s0, v5
	v_mul_hi_u32 v9, s0, v3
	v_add_u32_e32 v7, v9, v7
	v_mul_lo_u32 v9, s1, v3
	v_add_u32_e32 v7, v7, v9
	v_mul_lo_u32 v11, s0, v3
	v_mul_hi_u32 v13, v5, v11
	v_mul_lo_u32 v15, v5, v11
	v_mul_lo_u32 v19, v3, v7
	v_mul_hi_u32 v11, v3, v11
	v_mul_hi_u32 v18, v3, v7
	v_add_co_u32_e32 v11, vcc, v11, v19
	v_addc_co_u32_e32 v18, vcc, 0, v18, vcc
	v_add_co_u32_e32 v11, vcc, v11, v15
	v_mul_hi_u32 v9, v5, v7
	v_addc_co_u32_e32 v11, vcc, v18, v13, vcc
	v_addc_co_u32_e32 v9, vcc, 0, v9, vcc
	v_mul_lo_u32 v7, v5, v7
	v_add_co_u32_e32 v7, vcc, v11, v7
	v_addc_co_u32_e32 v9, vcc, 0, v9, vcc
	v_add_co_u32_e32 v3, vcc, v3, v7
	v_addc_co_u32_e32 v5, vcc, v5, v9, vcc
	v_ashrrev_i32_e32 v7, 31, v17
	v_add_co_u32_e32 v9, vcc, v16, v7
	v_xor_b32_e32 v9, v9, v7
	v_addc_co_u32_e32 v11, vcc, v17, v7, vcc
	v_mad_u64_u32 v[18:19], s[0:1], v9, v5, 0
	v_mul_hi_u32 v13, v9, v3
	v_xor_b32_e32 v11, v11, v7
	v_add_co_u32_e32 v13, vcc, v13, v18
	v_addc_co_u32_e32 v15, vcc, 0, v19, vcc
	v_mad_u64_u32 v[20:21], s[0:1], v11, v3, 0
	v_add_co_u32_e32 v3, vcc, v13, v20
	v_mad_u64_u32 v[18:19], s[0:1], v11, v5, 0
	v_addc_co_u32_e32 v3, vcc, v15, v21, vcc
	v_addc_co_u32_e32 v5, vcc, 0, v19, vcc
	v_add_co_u32_e32 v3, vcc, v3, v18
	v_addc_co_u32_e32 v5, vcc, 0, v5, vcc
	v_mul_lo_u32 v13, s37, v3
	v_mul_lo_u32 v15, s36, v5
	v_mad_u64_u32 v[18:19], s[0:1], s36, v3, 0
	v_add3_u32 v13, v19, v15, v13
	v_sub_u32_e32 v15, v11, v13
	v_mov_b32_e32 v17, s37
	v_sub_co_u32_e32 v9, vcc, v9, v18
	v_subb_co_u32_e64 v15, s[0:1], v15, v17, vcc
	v_subrev_co_u32_e64 v17, s[0:1], s36, v9
	v_subbrev_co_u32_e64 v15, s[0:1], 0, v15, s[0:1]
	v_cmp_le_u32_e64 s[0:1], s37, v15
	v_cndmask_b32_e64 v18, 0, -1, s[0:1]
	v_cmp_le_u32_e64 s[0:1], s36, v17
	v_cndmask_b32_e64 v17, 0, -1, s[0:1]
	v_cmp_eq_u32_e64 s[0:1], s37, v15
	v_cndmask_b32_e64 v15, v18, v17, s[0:1]
	v_add_co_u32_e64 v17, s[0:1], 2, v3
	v_subb_co_u32_e32 v11, vcc, v11, v13, vcc
	v_addc_co_u32_e64 v18, s[0:1], 0, v5, s[0:1]
	v_cmp_le_u32_e32 vcc, s37, v11
	v_add_co_u32_e64 v19, s[0:1], 1, v3
	v_cndmask_b32_e64 v13, 0, -1, vcc
	v_cmp_le_u32_e32 vcc, s36, v9
	v_addc_co_u32_e64 v20, s[0:1], 0, v5, s[0:1]
	v_cndmask_b32_e64 v9, 0, -1, vcc
	v_cmp_eq_u32_e32 vcc, s37, v11
	v_cmp_ne_u32_e64 s[0:1], 0, v15
	v_cndmask_b32_e32 v9, v13, v9, vcc
	v_cmp_ne_u32_e32 vcc, 0, v9
	v_cndmask_b32_e64 v9, v19, v17, s[0:1]
	v_cndmask_b32_e64 v15, v20, v18, s[0:1]
	v_cndmask_b32_e32 v3, v3, v9, vcc
	v_xor_b32_e32 v9, s35, v7
	v_xor_b32_e32 v7, s34, v7
	v_cndmask_b32_e32 v5, v5, v15, vcc
	v_xor_b32_e32 v3, v3, v7
	v_xor_b32_e32 v5, v5, v9
	v_sub_co_u32_e32 v18, vcc, v3, v7
	v_subb_co_u32_e32 v19, vcc, v5, v9, vcc
.LBB76_45:                              ;   in Loop: Header=BB76_23 Depth=2
	s_andn2_saveexec_b64 s[0:1], s[30:31]
	s_cbranch_execz .LBB76_47
; %bb.46:                               ;   in Loop: Header=BB76_23 Depth=2
	v_cvt_f32_u32_e32 v3, s59
	s_sub_i32 s16, 0, s59
	v_mov_b32_e32 v19, v2
	v_rcp_iflag_f32_e32 v3, v3
	v_mul_f32_e32 v3, 0x4f7ffffe, v3
	v_cvt_u32_f32_e32 v3, v3
	v_mul_lo_u32 v5, s16, v3
	v_mul_hi_u32 v5, v3, v5
	v_add_u32_e32 v3, v3, v5
	v_mul_hi_u32 v3, v16, v3
	v_mul_lo_u32 v5, v3, s59
	v_sub_u32_e32 v5, v16, v5
	v_add_u32_e32 v7, 1, v3
	v_subrev_u32_e32 v9, s59, v5
	v_cmp_le_u32_e32 vcc, s59, v5
	v_cndmask_b32_e32 v5, v5, v9, vcc
	v_cndmask_b32_e32 v3, v3, v7, vcc
	v_add_u32_e32 v7, 1, v3
	v_cmp_le_u32_e32 vcc, s59, v5
	v_cndmask_b32_e32 v18, v3, v7, vcc
.LBB76_47:                              ;   in Loop: Header=BB76_23 Depth=2
	s_or_b64 exec, exec, s[0:1]
	s_add_u32 s0, s43, s28
	s_addc_u32 s1, s44, s29
	s_add_i32 s16, s26, 1
	s_lshl_b64 s[28:29], s[16:17], 2
	s_add_u32 s30, s39, s28
	s_addc_u32 s31, s40, s29
	s_load_dword s16, s[30:31], 0x0
	s_load_dword s61, s[0:1], 0x0
                                        ; implicit-def: $vgpr20_vgpr21
	s_waitcnt lgkmcnt(0)
	s_ashr_i32 s0, s16, 31
	v_or_b32_e32 v3, s0, v19
	v_cmp_ne_u64_e32 vcc, 0, v[2:3]
	s_and_saveexec_b64 s[30:31], vcc
	s_xor_b64 s[30:31], exec, s[30:31]
	s_cbranch_execz .LBB76_49
; %bb.48:                               ;   in Loop: Header=BB76_23 Depth=2
	s_add_u32 s36, s16, s0
	s_mov_b32 s34, s0
	s_mov_b32 s35, s0
	s_addc_u32 s37, s0, s0
	s_xor_b64 s[36:37], s[36:37], s[34:35]
	v_cvt_f32_u32_e32 v3, s36
	v_cvt_f32_u32_e32 v5, s37
	s_sub_u32 s0, 0, s36
	s_subb_u32 s1, 0, s37
	v_mac_f32_e32 v3, 0x4f800000, v5
	v_rcp_f32_e32 v3, v3
	v_mul_f32_e32 v3, 0x5f7ffffc, v3
	v_mul_f32_e32 v5, 0x2f800000, v3
	v_trunc_f32_e32 v5, v5
	v_mac_f32_e32 v3, 0xcf800000, v5
	v_cvt_u32_f32_e32 v5, v5
	v_cvt_u32_f32_e32 v3, v3
	v_mul_lo_u32 v7, s0, v5
	v_mul_hi_u32 v11, s0, v3
	v_mul_lo_u32 v9, s1, v3
	v_add_u32_e32 v7, v11, v7
	v_mul_lo_u32 v13, s0, v3
	v_add_u32_e32 v7, v7, v9
	v_mul_lo_u32 v11, v3, v7
	v_mul_hi_u32 v15, v3, v13
	v_mul_hi_u32 v9, v3, v7
	v_add_co_u32_e32 v11, vcc, v15, v11
	v_addc_co_u32_e32 v9, vcc, 0, v9, vcc
	v_mul_hi_u32 v17, v5, v13
	v_mul_lo_u32 v13, v5, v13
	v_add_co_u32_e32 v11, vcc, v11, v13
	v_mul_hi_u32 v15, v5, v7
	v_addc_co_u32_e32 v9, vcc, v9, v17, vcc
	v_addc_co_u32_e32 v11, vcc, 0, v15, vcc
	v_mul_lo_u32 v7, v5, v7
	v_add_co_u32_e32 v7, vcc, v9, v7
	v_addc_co_u32_e32 v9, vcc, 0, v11, vcc
	v_add_co_u32_e32 v3, vcc, v3, v7
	v_addc_co_u32_e32 v5, vcc, v5, v9, vcc
	v_mul_lo_u32 v7, s0, v5
	v_mul_hi_u32 v9, s0, v3
	v_add_u32_e32 v7, v9, v7
	v_mul_lo_u32 v9, s1, v3
	v_add_u32_e32 v7, v7, v9
	v_mul_lo_u32 v11, s0, v3
	v_mul_hi_u32 v13, v5, v11
	v_mul_lo_u32 v15, v5, v11
	v_mul_lo_u32 v20, v3, v7
	v_mul_hi_u32 v11, v3, v11
	v_mul_hi_u32 v17, v3, v7
	v_add_co_u32_e32 v11, vcc, v11, v20
	v_addc_co_u32_e32 v17, vcc, 0, v17, vcc
	v_add_co_u32_e32 v11, vcc, v11, v15
	v_mul_hi_u32 v9, v5, v7
	v_addc_co_u32_e32 v11, vcc, v17, v13, vcc
	v_addc_co_u32_e32 v9, vcc, 0, v9, vcc
	v_mul_lo_u32 v7, v5, v7
	v_add_co_u32_e32 v7, vcc, v11, v7
	v_addc_co_u32_e32 v9, vcc, 0, v9, vcc
	v_add_co_u32_e32 v3, vcc, v3, v7
	v_addc_co_u32_e32 v5, vcc, v5, v9, vcc
	v_ashrrev_i32_e32 v7, 31, v19
	v_add_co_u32_e32 v9, vcc, v18, v7
	v_xor_b32_e32 v9, v9, v7
	v_addc_co_u32_e32 v11, vcc, v19, v7, vcc
	v_mad_u64_u32 v[20:21], s[0:1], v9, v5, 0
	v_mul_hi_u32 v13, v9, v3
	v_xor_b32_e32 v11, v11, v7
	v_add_co_u32_e32 v13, vcc, v13, v20
	v_addc_co_u32_e32 v15, vcc, 0, v21, vcc
	v_mad_u64_u32 v[22:23], s[0:1], v11, v3, 0
	v_add_co_u32_e32 v3, vcc, v13, v22
	v_mad_u64_u32 v[20:21], s[0:1], v11, v5, 0
	v_addc_co_u32_e32 v3, vcc, v15, v23, vcc
	v_addc_co_u32_e32 v5, vcc, 0, v21, vcc
	v_add_co_u32_e32 v3, vcc, v3, v20
	v_addc_co_u32_e32 v5, vcc, 0, v5, vcc
	v_mul_lo_u32 v13, s37, v3
	v_mul_lo_u32 v15, s36, v5
	v_mad_u64_u32 v[20:21], s[0:1], s36, v3, 0
	v_add3_u32 v13, v21, v15, v13
	v_sub_u32_e32 v15, v11, v13
	v_mov_b32_e32 v17, s37
	v_sub_co_u32_e32 v9, vcc, v9, v20
	v_subb_co_u32_e64 v15, s[0:1], v15, v17, vcc
	v_subrev_co_u32_e64 v17, s[0:1], s36, v9
	v_subbrev_co_u32_e64 v15, s[0:1], 0, v15, s[0:1]
	v_cmp_le_u32_e64 s[0:1], s37, v15
	v_cndmask_b32_e64 v19, 0, -1, s[0:1]
	v_cmp_le_u32_e64 s[0:1], s36, v17
	v_cndmask_b32_e64 v17, 0, -1, s[0:1]
	v_cmp_eq_u32_e64 s[0:1], s37, v15
	v_cndmask_b32_e64 v15, v19, v17, s[0:1]
	v_add_co_u32_e64 v17, s[0:1], 2, v3
	v_subb_co_u32_e32 v11, vcc, v11, v13, vcc
	v_addc_co_u32_e64 v19, s[0:1], 0, v5, s[0:1]
	v_cmp_le_u32_e32 vcc, s37, v11
	v_add_co_u32_e64 v20, s[0:1], 1, v3
	v_cndmask_b32_e64 v13, 0, -1, vcc
	v_cmp_le_u32_e32 vcc, s36, v9
	v_addc_co_u32_e64 v21, s[0:1], 0, v5, s[0:1]
	v_cndmask_b32_e64 v9, 0, -1, vcc
	v_cmp_eq_u32_e32 vcc, s37, v11
	v_cmp_ne_u32_e64 s[0:1], 0, v15
	v_cndmask_b32_e32 v9, v13, v9, vcc
	v_cmp_ne_u32_e32 vcc, 0, v9
	v_cndmask_b32_e64 v9, v20, v17, s[0:1]
	v_cndmask_b32_e64 v15, v21, v19, s[0:1]
	v_cndmask_b32_e32 v3, v3, v9, vcc
	v_xor_b32_e32 v9, s35, v7
	v_xor_b32_e32 v7, s34, v7
	v_cndmask_b32_e32 v5, v5, v15, vcc
	v_xor_b32_e32 v3, v3, v7
	v_xor_b32_e32 v5, v5, v9
	v_sub_co_u32_e32 v20, vcc, v3, v7
	v_subb_co_u32_e32 v21, vcc, v5, v9, vcc
.LBB76_49:                              ;   in Loop: Header=BB76_23 Depth=2
	s_andn2_saveexec_b64 s[0:1], s[30:31]
	s_cbranch_execz .LBB76_51
; %bb.50:                               ;   in Loop: Header=BB76_23 Depth=2
	v_cvt_f32_u32_e32 v3, s16
	s_sub_i32 s27, 0, s16
	v_mov_b32_e32 v21, v2
	v_rcp_iflag_f32_e32 v3, v3
	v_mul_f32_e32 v3, 0x4f7ffffe, v3
	v_cvt_u32_f32_e32 v3, v3
	v_mul_lo_u32 v5, s27, v3
	v_mul_hi_u32 v5, v3, v5
	v_add_u32_e32 v3, v3, v5
	v_mul_hi_u32 v3, v18, v3
	v_mul_lo_u32 v5, v3, s16
	v_sub_u32_e32 v5, v18, v5
	v_add_u32_e32 v7, 1, v3
	v_subrev_u32_e32 v9, s16, v5
	v_cmp_le_u32_e32 vcc, s16, v5
	v_cndmask_b32_e32 v5, v5, v9, vcc
	v_cndmask_b32_e32 v3, v3, v7, vcc
	v_add_u32_e32 v7, 1, v3
	v_cmp_le_u32_e32 vcc, s16, v5
	v_cndmask_b32_e32 v20, v3, v7, vcc
.LBB76_51:                              ;   in Loop: Header=BB76_23 Depth=2
	s_or_b64 exec, exec, s[0:1]
	s_add_u32 s0, s43, s28
	s_mov_b32 s27, s17
	s_addc_u32 s1, s44, s29
	s_lshl_b64 s[28:29], s[26:27], 2
	s_add_u32 s30, s39, s28
	s_addc_u32 s31, s40, s29
	s_load_dword s27, s[30:31], 0x0
	s_load_dword s62, s[0:1], 0x0
                                        ; implicit-def: $vgpr22_vgpr23
	s_waitcnt lgkmcnt(0)
	s_ashr_i32 s0, s27, 31
	v_or_b32_e32 v3, s0, v21
	v_cmp_ne_u64_e32 vcc, 0, v[2:3]
	s_and_saveexec_b64 s[30:31], vcc
	s_xor_b64 s[30:31], exec, s[30:31]
	s_cbranch_execz .LBB76_53
; %bb.52:                               ;   in Loop: Header=BB76_23 Depth=2
	s_add_u32 s36, s27, s0
	s_mov_b32 s34, s0
	s_mov_b32 s35, s0
	s_addc_u32 s37, s0, s0
	s_xor_b64 s[36:37], s[36:37], s[34:35]
	v_cvt_f32_u32_e32 v3, s36
	v_cvt_f32_u32_e32 v5, s37
	s_sub_u32 s0, 0, s36
	s_subb_u32 s1, 0, s37
	v_mac_f32_e32 v3, 0x4f800000, v5
	v_rcp_f32_e32 v3, v3
	v_mul_f32_e32 v3, 0x5f7ffffc, v3
	v_mul_f32_e32 v5, 0x2f800000, v3
	v_trunc_f32_e32 v5, v5
	v_mac_f32_e32 v3, 0xcf800000, v5
	v_cvt_u32_f32_e32 v5, v5
	v_cvt_u32_f32_e32 v3, v3
	v_mul_lo_u32 v7, s0, v5
	v_mul_hi_u32 v11, s0, v3
	v_mul_lo_u32 v9, s1, v3
	v_add_u32_e32 v7, v11, v7
	v_mul_lo_u32 v13, s0, v3
	v_add_u32_e32 v7, v7, v9
	v_mul_lo_u32 v11, v3, v7
	v_mul_hi_u32 v15, v3, v13
	v_mul_hi_u32 v9, v3, v7
	v_add_co_u32_e32 v11, vcc, v15, v11
	v_addc_co_u32_e32 v9, vcc, 0, v9, vcc
	v_mul_hi_u32 v17, v5, v13
	v_mul_lo_u32 v13, v5, v13
	v_add_co_u32_e32 v11, vcc, v11, v13
	v_mul_hi_u32 v15, v5, v7
	v_addc_co_u32_e32 v9, vcc, v9, v17, vcc
	v_addc_co_u32_e32 v11, vcc, 0, v15, vcc
	v_mul_lo_u32 v7, v5, v7
	v_add_co_u32_e32 v7, vcc, v9, v7
	v_addc_co_u32_e32 v9, vcc, 0, v11, vcc
	v_add_co_u32_e32 v3, vcc, v3, v7
	v_addc_co_u32_e32 v5, vcc, v5, v9, vcc
	v_mul_lo_u32 v7, s0, v5
	v_mul_hi_u32 v9, s0, v3
	v_add_u32_e32 v7, v9, v7
	v_mul_lo_u32 v9, s1, v3
	v_add_u32_e32 v7, v7, v9
	v_mul_lo_u32 v11, s0, v3
	v_mul_hi_u32 v13, v5, v11
	v_mul_lo_u32 v15, v5, v11
	v_mul_lo_u32 v19, v3, v7
	v_mul_hi_u32 v11, v3, v11
	v_mul_hi_u32 v17, v3, v7
	v_add_co_u32_e32 v11, vcc, v11, v19
	v_addc_co_u32_e32 v17, vcc, 0, v17, vcc
	v_add_co_u32_e32 v11, vcc, v11, v15
	v_mul_hi_u32 v9, v5, v7
	v_addc_co_u32_e32 v11, vcc, v17, v13, vcc
	v_addc_co_u32_e32 v9, vcc, 0, v9, vcc
	v_mul_lo_u32 v7, v5, v7
	v_add_co_u32_e32 v7, vcc, v11, v7
	v_addc_co_u32_e32 v9, vcc, 0, v9, vcc
	v_add_co_u32_e32 v3, vcc, v3, v7
	v_addc_co_u32_e32 v5, vcc, v5, v9, vcc
	v_ashrrev_i32_e32 v7, 31, v21
	v_add_co_u32_e32 v9, vcc, v20, v7
	v_xor_b32_e32 v9, v9, v7
	v_addc_co_u32_e32 v11, vcc, v21, v7, vcc
	v_mad_u64_u32 v[22:23], s[0:1], v9, v5, 0
	v_mul_hi_u32 v13, v9, v3
	v_xor_b32_e32 v11, v11, v7
	v_add_co_u32_e32 v13, vcc, v13, v22
	v_addc_co_u32_e32 v15, vcc, 0, v23, vcc
	v_mad_u64_u32 v[28:29], s[0:1], v11, v3, 0
	v_add_co_u32_e32 v3, vcc, v13, v28
	v_mad_u64_u32 v[22:23], s[0:1], v11, v5, 0
	v_addc_co_u32_e32 v3, vcc, v15, v29, vcc
	v_addc_co_u32_e32 v5, vcc, 0, v23, vcc
	v_add_co_u32_e32 v3, vcc, v3, v22
	v_addc_co_u32_e32 v5, vcc, 0, v5, vcc
	v_mul_lo_u32 v13, s37, v3
	v_mul_lo_u32 v15, s36, v5
	v_mad_u64_u32 v[22:23], s[0:1], s36, v3, 0
	v_add3_u32 v13, v23, v15, v13
	v_sub_u32_e32 v15, v11, v13
	v_mov_b32_e32 v17, s37
	v_sub_co_u32_e32 v9, vcc, v9, v22
	v_subb_co_u32_e64 v15, s[0:1], v15, v17, vcc
	v_subrev_co_u32_e64 v17, s[0:1], s36, v9
	v_subbrev_co_u32_e64 v15, s[0:1], 0, v15, s[0:1]
	v_cmp_le_u32_e64 s[0:1], s37, v15
	v_cndmask_b32_e64 v19, 0, -1, s[0:1]
	v_cmp_le_u32_e64 s[0:1], s36, v17
	v_cndmask_b32_e64 v17, 0, -1, s[0:1]
	v_cmp_eq_u32_e64 s[0:1], s37, v15
	v_cndmask_b32_e64 v15, v19, v17, s[0:1]
	v_add_co_u32_e64 v17, s[0:1], 2, v3
	v_subb_co_u32_e32 v11, vcc, v11, v13, vcc
	v_addc_co_u32_e64 v19, s[0:1], 0, v5, s[0:1]
	v_cmp_le_u32_e32 vcc, s37, v11
	v_add_co_u32_e64 v21, s[0:1], 1, v3
	v_cndmask_b32_e64 v13, 0, -1, vcc
	v_cmp_le_u32_e32 vcc, s36, v9
	v_addc_co_u32_e64 v22, s[0:1], 0, v5, s[0:1]
	v_cndmask_b32_e64 v9, 0, -1, vcc
	v_cmp_eq_u32_e32 vcc, s37, v11
	v_cmp_ne_u32_e64 s[0:1], 0, v15
	v_cndmask_b32_e32 v9, v13, v9, vcc
	v_cmp_ne_u32_e32 vcc, 0, v9
	v_cndmask_b32_e64 v9, v21, v17, s[0:1]
	v_cndmask_b32_e64 v15, v22, v19, s[0:1]
	v_cndmask_b32_e32 v3, v3, v9, vcc
	v_xor_b32_e32 v9, s35, v7
	v_xor_b32_e32 v7, s34, v7
	v_cndmask_b32_e32 v5, v5, v15, vcc
	v_xor_b32_e32 v3, v3, v7
	v_xor_b32_e32 v5, v5, v9
	v_sub_co_u32_e32 v22, vcc, v3, v7
	v_subb_co_u32_e32 v23, vcc, v5, v9, vcc
.LBB76_53:                              ;   in Loop: Header=BB76_23 Depth=2
	s_andn2_saveexec_b64 s[0:1], s[30:31]
	s_cbranch_execz .LBB76_55
; %bb.54:                               ;   in Loop: Header=BB76_23 Depth=2
	v_cvt_f32_u32_e32 v3, s27
	s_sub_i32 s30, 0, s27
	v_mov_b32_e32 v23, v2
	v_rcp_iflag_f32_e32 v3, v3
	v_mul_f32_e32 v3, 0x4f7ffffe, v3
	v_cvt_u32_f32_e32 v3, v3
	v_mul_lo_u32 v5, s30, v3
	v_mul_hi_u32 v5, v3, v5
	v_add_u32_e32 v3, v3, v5
	v_mul_hi_u32 v3, v20, v3
	v_mul_lo_u32 v5, v3, s27
	v_sub_u32_e32 v5, v20, v5
	v_add_u32_e32 v7, 1, v3
	v_subrev_u32_e32 v9, s27, v5
	v_cmp_le_u32_e32 vcc, s27, v5
	v_cndmask_b32_e32 v5, v5, v9, vcc
	v_cndmask_b32_e32 v3, v3, v7, vcc
	v_add_u32_e32 v7, 1, v3
	v_cmp_le_u32_e32 vcc, s27, v5
	v_cndmask_b32_e32 v22, v3, v7, vcc
.LBB76_55:                              ;   in Loop: Header=BB76_23 Depth=2
	s_or_b64 exec, exec, s[0:1]
	v_mul_lo_u32 v3, v8, s50
	v_mul_lo_u32 v5, v10, s51
	v_sub_u32_e32 v3, v6, v3
	v_sub_u32_e32 v5, v8, v5
	v_mul_lo_u32 v3, s52, v3
	v_mul_lo_u32 v5, s54, v5
	v_add3_u32 v3, v3, v4, v5
	v_mul_lo_u32 v4, v12, s53
	v_mul_lo_u32 v5, v14, s55
	v_sub_u32_e32 v4, v10, v4
	v_sub_u32_e32 v5, v12, v5
	s_add_u32 s0, s43, s28
	v_mul_lo_u32 v4, s56, v4
	v_mul_lo_u32 v5, s58, v5
	s_addc_u32 s1, s44, s29
	v_add3_u32 v3, v4, v3, v5
	v_mul_lo_u32 v4, v16, s57
	v_mul_lo_u32 v5, v18, s59
	s_load_dword s0, s[0:1], 0x0
	v_sub_u32_e32 v4, v14, v4
	v_sub_u32_e32 v5, v16, v5
	v_mul_lo_u32 v4, s60, v4
	v_mul_lo_u32 v5, s61, v5
	v_add3_u32 v3, v4, v3, v5
	v_mul_lo_u32 v4, v20, s16
	v_mul_lo_u32 v5, v22, s27
	v_sub_u32_e32 v4, v18, v4
	v_sub_u32_e32 v5, v20, v5
	v_mul_lo_u32 v4, s62, v4
	s_waitcnt lgkmcnt(0)
	v_mul_lo_u32 v5, s0, v5
	s_add_i32 s26, s26, -8
	s_cmp_eq_u32 s26, -8
	v_add3_u32 v4, v4, v3, v5
	s_cbranch_scc1 .LBB76_57
; %bb.56:                               ;   in Loop: Header=BB76_23 Depth=2
	v_pk_mov_b32 v[6:7], v[22:23], v[22:23] op_sel:[0,1]
	s_branch .LBB76_23
.LBB76_57:                              ;   in Loop: Header=BB76_3 Depth=1
	s_load_dword s0, s[14:15], 0x0
	s_waitcnt lgkmcnt(0)
	v_cmp_gt_i32_e32 vcc, s0, v26
	s_and_b64 exec, exec, vcc
	s_cbranch_execz .LBB76_2
; %bb.58:                               ;   in Loop: Header=BB76_3 Depth=1
	v_ashrrev_i32_e32 v5, 31, v4
	v_lshlrev_b64 v[6:7], 2, v[4:5]
	v_mov_b32_e32 v3, s3
	v_add_co_u32_e32 v6, vcc, s2, v6
	v_addc_co_u32_e32 v7, vcc, v3, v7, vcc
	v_add_u32_e32 v3, 1, v26
	v_cmp_gt_i32_e32 vcc, s0, v3
	global_store_dword v[6:7], v2, off
	s_and_b64 exec, exec, vcc
	s_cbranch_execz .LBB76_2
; %bb.59:                               ;   in Loop: Header=BB76_3 Depth=1
	v_sub_u32_e32 v6, v3, v25
	v_ashrrev_i32_e32 v7, 31, v6
	v_cmp_gt_i64_e32 vcc, s[8:9], v[6:7]
	s_and_b64 exec, exec, vcc
	s_cbranch_execz .LBB76_2
; %bb.60:                               ;   in Loop: Header=BB76_3 Depth=1
	v_add_u32_e32 v4, s49, v4
	v_ashrrev_i32_e32 v5, 31, v4
	v_lshlrev_b64 v[4:5], 2, v[4:5]
	v_mov_b32_e32 v3, s3
	v_add_co_u32_e32 v4, vcc, s2, v4
	v_addc_co_u32_e32 v5, vcc, v3, v5, vcc
	global_store_dword v[4:5], v2, off
	s_branch .LBB76_2
.LBB76_61:
	s_endpgm
	.section	.rodata,"a",@progbits
	.p2align	6, 0x0
	.amdhsa_kernel _ZN2at6native16triu_tril_kernelIfiLb1ELi2ELb1EEEvNS_4cuda6detail10TensorInfoIT_T0_EENS4_IKS5_S6_EEllS6_
		.amdhsa_group_segment_fixed_size 0
		.amdhsa_private_segment_fixed_size 0
		.amdhsa_kernarg_size 712
		.amdhsa_user_sgpr_count 6
		.amdhsa_user_sgpr_private_segment_buffer 1
		.amdhsa_user_sgpr_dispatch_ptr 0
		.amdhsa_user_sgpr_queue_ptr 0
		.amdhsa_user_sgpr_kernarg_segment_ptr 1
		.amdhsa_user_sgpr_dispatch_id 0
		.amdhsa_user_sgpr_flat_scratch_init 0
		.amdhsa_user_sgpr_kernarg_preload_length 0
		.amdhsa_user_sgpr_kernarg_preload_offset 0
		.amdhsa_user_sgpr_private_segment_size 0
		.amdhsa_uses_dynamic_stack 0
		.amdhsa_system_sgpr_private_segment_wavefront_offset 0
		.amdhsa_system_sgpr_workgroup_id_x 1
		.amdhsa_system_sgpr_workgroup_id_y 0
		.amdhsa_system_sgpr_workgroup_id_z 0
		.amdhsa_system_sgpr_workgroup_info 0
		.amdhsa_system_vgpr_workitem_id 0
		.amdhsa_next_free_vgpr 30
		.amdhsa_next_free_sgpr 63
		.amdhsa_accum_offset 32
		.amdhsa_reserve_vcc 1
		.amdhsa_reserve_flat_scratch 0
		.amdhsa_float_round_mode_32 0
		.amdhsa_float_round_mode_16_64 0
		.amdhsa_float_denorm_mode_32 3
		.amdhsa_float_denorm_mode_16_64 3
		.amdhsa_dx10_clamp 1
		.amdhsa_ieee_mode 1
		.amdhsa_fp16_overflow 0
		.amdhsa_tg_split 0
		.amdhsa_exception_fp_ieee_invalid_op 0
		.amdhsa_exception_fp_denorm_src 0
		.amdhsa_exception_fp_ieee_div_zero 0
		.amdhsa_exception_fp_ieee_overflow 0
		.amdhsa_exception_fp_ieee_underflow 0
		.amdhsa_exception_fp_ieee_inexact 0
		.amdhsa_exception_int_div_zero 0
	.end_amdhsa_kernel
	.section	.text._ZN2at6native16triu_tril_kernelIfiLb1ELi2ELb1EEEvNS_4cuda6detail10TensorInfoIT_T0_EENS4_IKS5_S6_EEllS6_,"axG",@progbits,_ZN2at6native16triu_tril_kernelIfiLb1ELi2ELb1EEEvNS_4cuda6detail10TensorInfoIT_T0_EENS4_IKS5_S6_EEllS6_,comdat
.Lfunc_end76:
	.size	_ZN2at6native16triu_tril_kernelIfiLb1ELi2ELb1EEEvNS_4cuda6detail10TensorInfoIT_T0_EENS4_IKS5_S6_EEllS6_, .Lfunc_end76-_ZN2at6native16triu_tril_kernelIfiLb1ELi2ELb1EEEvNS_4cuda6detail10TensorInfoIT_T0_EENS4_IKS5_S6_EEllS6_
                                        ; -- End function
	.section	.AMDGPU.csdata,"",@progbits
; Kernel info:
; codeLenInByte = 10112
; NumSgprs: 67
; NumVgprs: 30
; NumAgprs: 0
; TotalNumVgprs: 30
; ScratchSize: 0
; MemoryBound: 0
; FloatMode: 240
; IeeeMode: 1
; LDSByteSize: 0 bytes/workgroup (compile time only)
; SGPRBlocks: 8
; VGPRBlocks: 3
; NumSGPRsForWavesPerEU: 67
; NumVGPRsForWavesPerEU: 30
; AccumOffset: 32
; Occupancy: 8
; WaveLimiterHint : 0
; COMPUTE_PGM_RSRC2:SCRATCH_EN: 0
; COMPUTE_PGM_RSRC2:USER_SGPR: 6
; COMPUTE_PGM_RSRC2:TRAP_HANDLER: 0
; COMPUTE_PGM_RSRC2:TGID_X_EN: 1
; COMPUTE_PGM_RSRC2:TGID_Y_EN: 0
; COMPUTE_PGM_RSRC2:TGID_Z_EN: 0
; COMPUTE_PGM_RSRC2:TIDIG_COMP_CNT: 0
; COMPUTE_PGM_RSRC3_GFX90A:ACCUM_OFFSET: 7
; COMPUTE_PGM_RSRC3_GFX90A:TG_SPLIT: 0
	.section	.text._ZN2at6native16triu_tril_kernelIfiLb1ELi2ELb0EEEvNS_4cuda6detail10TensorInfoIT_T0_EENS4_IKS5_S6_EEllS6_,"axG",@progbits,_ZN2at6native16triu_tril_kernelIfiLb1ELi2ELb0EEEvNS_4cuda6detail10TensorInfoIT_T0_EENS4_IKS5_S6_EEllS6_,comdat
	.protected	_ZN2at6native16triu_tril_kernelIfiLb1ELi2ELb0EEEvNS_4cuda6detail10TensorInfoIT_T0_EENS4_IKS5_S6_EEllS6_ ; -- Begin function _ZN2at6native16triu_tril_kernelIfiLb1ELi2ELb0EEEvNS_4cuda6detail10TensorInfoIT_T0_EENS4_IKS5_S6_EEllS6_
	.globl	_ZN2at6native16triu_tril_kernelIfiLb1ELi2ELb0EEEvNS_4cuda6detail10TensorInfoIT_T0_EENS4_IKS5_S6_EEllS6_
	.p2align	8
	.type	_ZN2at6native16triu_tril_kernelIfiLb1ELi2ELb0EEEvNS_4cuda6detail10TensorInfoIT_T0_EENS4_IKS5_S6_EEllS6_,@function
_ZN2at6native16triu_tril_kernelIfiLb1ELi2ELb0EEEvNS_4cuda6detail10TensorInfoIT_T0_EENS4_IKS5_S6_EEllS6_: ; @_ZN2at6native16triu_tril_kernelIfiLb1ELi2ELb0EEEvNS_4cuda6detail10TensorInfoIT_T0_EENS4_IKS5_S6_EEllS6_
; %bb.0:
	s_load_dword s2, s[4:5], 0x1d4
	s_load_dwordx4 s[8:11], s[4:5], 0x1b0
	s_add_u32 s0, s4, 0x1c8
	v_mov_b32_e32 v2, 0
	s_addc_u32 s1, s5, 0
	s_waitcnt lgkmcnt(0)
	s_and_b32 s2, s2, 0xffff
	v_mov_b32_e32 v1, v2
	v_mov_b32_e32 v3, s6
	v_mad_u64_u32 v[0:1], s[6:7], s2, v3, v[0:1]
	v_lshlrev_b64 v[0:1], 1, v[0:1]
	v_cmp_gt_i64_e32 vcc, s[10:11], v[0:1]
	s_and_saveexec_b64 s[6:7], vcc
	s_cbranch_execz .LBB77_52
; %bb.1:
	s_load_dword s20, s[4:5], 0x1a8
	s_add_u32 s33, s4, 0xd8
	s_addc_u32 s46, s5, 0
	s_load_dword s3, s[0:1], 0x0
	s_load_dwordx2 s[6:7], s[4:5], 0xd8
	s_mov_b32 s22, s8
	s_waitcnt lgkmcnt(0)
	s_ashr_i32 s21, s20, 31
	s_lshl_b64 s[0:1], s[20:21], 2
	s_add_u32 s18, s0, -8
	s_addc_u32 s19, s1, -1
	s_add_u32 s0, s33, s18
	s_addc_u32 s1, s46, s19
	s_load_dwordx2 s[12:13], s[0:1], 0x8
	s_load_dword s47, s[4:5], 0x1c0
	s_load_dwordx2 s[16:17], s[0:1], 0x6c
	s_mul_i32 s3, s3, s2
	v_cmp_gt_i64_e64 s[14:15], s[20:21], 2
	s_waitcnt lgkmcnt(0)
	s_ashr_i32 s48, s12, 31
	v_cvt_f32_u32_e32 v3, s47
	s_ashr_i32 s49, s47, 31
	s_add_u32 s50, s4, 0x6c
	s_addc_u32 s51, s5, 0
	s_add_u32 s0, s50, s18
	v_rcp_iflag_f32_e32 v3, v3
	s_addc_u32 s1, s51, s19
	s_load_dwordx2 s[18:19], s[0:1], 0x0
	s_add_i32 s52, s20, -3
	s_load_dwordx2 s[4:5], s[4:5], 0x0
	s_lshl_b32 s53, s3, 1
	s_and_b32 s55, s20, 3
	v_mul_f32_e32 v3, 0x4f7ffffe, v3
	s_cmp_lg_u32 s55, 2
	v_cvt_u32_f32_e32 v22, v3
	s_cselect_b64 s[26:27], -1, 0
	s_cmp_gt_u32 s52, 2
	s_mov_b32 s21, 0
	s_cselect_b64 s[28:29], -1, 0
	s_ashr_i32 s1, s17, 31
	s_mov_b32 s0, s17
	s_waitcnt lgkmcnt(0)
	s_ashr_i32 s3, s19, 31
	s_mov_b32 s2, s19
	s_mov_b32 s54, s21
	;; [unrolled: 1-line block ×5, first 2 shown]
	s_mov_b64 s[30:31], 0
	s_lshl_b64 s[34:35], s[0:1], 2
	s_lshl_b64 s[36:37], s[2:3], 2
	s_branch .LBB77_3
.LBB77_2:                               ;   in Loop: Header=BB77_3 Depth=1
	s_or_b64 exec, exec, s[0:1]
	v_mov_b32_e32 v3, s54
	v_add_co_u32_e32 v0, vcc, s53, v0
	v_addc_co_u32_e32 v1, vcc, v1, v3, vcc
	v_cmp_le_i64_e32 vcc, s[10:11], v[0:1]
	s_or_b64 s[30:31], vcc, s[30:31]
	s_andn2_b64 exec, exec, s[30:31]
	s_cbranch_execz .LBB77_52
.LBB77_3:                               ; =>This Loop Header: Depth=1
                                        ;     Child Loop BB77_37 Depth 2
                                        ;     Child Loop BB77_18 Depth 2
	v_or_b32_e32 v3, s49, v1
	v_cmp_ne_u64_e32 vcc, 0, v[2:3]
                                        ; implicit-def: $vgpr4_vgpr5
                                        ; implicit-def: $vgpr14_vgpr15
	s_and_saveexec_b64 s[0:1], vcc
	s_xor_b64 s[38:39], exec, s[0:1]
	s_cbranch_execz .LBB77_5
; %bb.4:                                ;   in Loop: Header=BB77_3 Depth=1
	s_add_u32 s0, s47, s49
	s_mov_b32 s2, s49
	s_mov_b32 s3, s49
	s_addc_u32 s1, s49, s49
	s_xor_b64 s[40:41], s[0:1], s[2:3]
	v_cvt_f32_u32_e32 v3, s40
	v_cvt_f32_u32_e32 v4, s41
	s_sub_u32 s0, 0, s40
	s_subb_u32 s1, 0, s41
	v_mac_f32_e32 v3, 0x4f800000, v4
	v_rcp_f32_e32 v3, v3
	v_mul_f32_e32 v3, 0x5f7ffffc, v3
	v_mul_f32_e32 v4, 0x2f800000, v3
	v_trunc_f32_e32 v4, v4
	v_mac_f32_e32 v3, 0xcf800000, v4
	v_cvt_u32_f32_e32 v4, v4
	v_cvt_u32_f32_e32 v3, v3
	v_mul_lo_u32 v5, s0, v4
	v_mul_hi_u32 v7, s0, v3
	v_mul_lo_u32 v6, s1, v3
	v_add_u32_e32 v5, v7, v5
	v_mul_lo_u32 v8, s0, v3
	v_add_u32_e32 v5, v5, v6
	v_mul_lo_u32 v7, v3, v5
	v_mul_hi_u32 v9, v3, v8
	v_mul_hi_u32 v6, v3, v5
	v_add_co_u32_e32 v7, vcc, v9, v7
	v_addc_co_u32_e32 v6, vcc, 0, v6, vcc
	v_mul_hi_u32 v10, v4, v8
	v_mul_lo_u32 v8, v4, v8
	v_add_co_u32_e32 v7, vcc, v7, v8
	v_mul_hi_u32 v9, v4, v5
	v_addc_co_u32_e32 v6, vcc, v6, v10, vcc
	v_addc_co_u32_e32 v7, vcc, 0, v9, vcc
	v_mul_lo_u32 v5, v4, v5
	v_add_co_u32_e32 v5, vcc, v6, v5
	v_addc_co_u32_e32 v6, vcc, 0, v7, vcc
	v_add_co_u32_e32 v3, vcc, v3, v5
	v_addc_co_u32_e32 v4, vcc, v4, v6, vcc
	v_mul_lo_u32 v5, s0, v4
	v_mul_hi_u32 v6, s0, v3
	v_add_u32_e32 v5, v6, v5
	v_mul_lo_u32 v6, s1, v3
	v_add_u32_e32 v5, v5, v6
	v_mul_lo_u32 v7, s0, v3
	v_mul_hi_u32 v8, v4, v7
	v_mul_lo_u32 v9, v4, v7
	v_mul_lo_u32 v11, v3, v5
	v_mul_hi_u32 v7, v3, v7
	v_mul_hi_u32 v10, v3, v5
	v_add_co_u32_e32 v7, vcc, v7, v11
	v_addc_co_u32_e32 v10, vcc, 0, v10, vcc
	v_add_co_u32_e32 v7, vcc, v7, v9
	v_mul_hi_u32 v6, v4, v5
	v_addc_co_u32_e32 v7, vcc, v10, v8, vcc
	v_addc_co_u32_e32 v6, vcc, 0, v6, vcc
	v_mul_lo_u32 v5, v4, v5
	v_add_co_u32_e32 v5, vcc, v7, v5
	v_addc_co_u32_e32 v6, vcc, 0, v6, vcc
	v_add_co_u32_e32 v3, vcc, v3, v5
	v_addc_co_u32_e32 v6, vcc, v4, v6, vcc
	v_ashrrev_i32_e32 v8, 31, v1
	v_add_co_u32_e32 v4, vcc, v0, v8
	v_addc_co_u32_e32 v5, vcc, v1, v8, vcc
	v_xor_b32_e32 v10, v4, v8
	v_xor_b32_e32 v9, v5, v8
	v_mad_u64_u32 v[4:5], s[0:1], v10, v6, 0
	v_mul_hi_u32 v7, v10, v3
	v_add_co_u32_e32 v11, vcc, v7, v4
	v_addc_co_u32_e32 v12, vcc, 0, v5, vcc
	v_mad_u64_u32 v[4:5], s[0:1], v9, v6, 0
	v_mad_u64_u32 v[6:7], s[0:1], v9, v3, 0
	v_add_co_u32_e32 v3, vcc, v11, v6
	v_addc_co_u32_e32 v3, vcc, v12, v7, vcc
	v_addc_co_u32_e32 v5, vcc, 0, v5, vcc
	v_add_co_u32_e32 v3, vcc, v3, v4
	v_addc_co_u32_e32 v6, vcc, 0, v5, vcc
	v_mul_lo_u32 v7, s41, v3
	v_mul_lo_u32 v11, s40, v6
	v_mad_u64_u32 v[4:5], s[0:1], s40, v3, 0
	v_add3_u32 v5, v5, v11, v7
	v_sub_u32_e32 v7, v9, v5
	v_mov_b32_e32 v11, s41
	v_sub_co_u32_e32 v4, vcc, v10, v4
	v_subb_co_u32_e64 v7, s[0:1], v7, v11, vcc
	v_subrev_co_u32_e64 v10, s[0:1], s40, v4
	v_subbrev_co_u32_e64 v7, s[0:1], 0, v7, s[0:1]
	v_cmp_le_u32_e64 s[0:1], s41, v7
	v_cndmask_b32_e64 v11, 0, -1, s[0:1]
	v_cmp_le_u32_e64 s[0:1], s40, v10
	v_cndmask_b32_e64 v12, 0, -1, s[0:1]
	v_cmp_eq_u32_e64 s[0:1], s41, v7
	v_cndmask_b32_e64 v7, v11, v12, s[0:1]
	v_add_co_u32_e64 v11, s[0:1], 2, v3
	v_addc_co_u32_e64 v12, s[0:1], 0, v6, s[0:1]
	v_add_co_u32_e64 v13, s[0:1], 1, v3
	v_subb_co_u32_e32 v5, vcc, v9, v5, vcc
	v_addc_co_u32_e64 v14, s[0:1], 0, v6, s[0:1]
	v_cmp_le_u32_e32 vcc, s41, v5
	v_cmp_ne_u32_e64 s[0:1], 0, v7
	v_cndmask_b32_e64 v9, 0, -1, vcc
	v_cmp_le_u32_e32 vcc, s40, v4
	v_cndmask_b32_e64 v7, v14, v12, s[0:1]
	v_cndmask_b32_e64 v12, 0, -1, vcc
	v_cmp_eq_u32_e32 vcc, s41, v5
	v_cndmask_b32_e32 v5, v9, v12, vcc
	v_cmp_ne_u32_e32 vcc, 0, v5
	v_cndmask_b32_e32 v5, v6, v7, vcc
	v_cndmask_b32_e64 v6, v13, v11, s[0:1]
	v_cndmask_b32_e32 v3, v3, v6, vcc
	v_xor_b32_e32 v7, s2, v8
	v_xor_b32_e32 v6, s3, v8
	;; [unrolled: 1-line block ×4, first 2 shown]
	v_sub_co_u32_e64 v14, s[2:3], v3, v7
	v_subb_co_u32_e64 v15, s[2:3], v5, v6, s[2:3]
	v_subrev_co_u32_e64 v3, s[2:3], s40, v10
	v_cndmask_b32_e64 v3, v10, v3, s[0:1]
	v_cndmask_b32_e32 v3, v4, v3, vcc
	v_xor_b32_e32 v3, v3, v8
	v_sub_co_u32_e32 v4, vcc, v3, v8
.LBB77_5:                               ;   in Loop: Header=BB77_3 Depth=1
	s_andn2_saveexec_b64 s[2:3], s[38:39]
	s_cbranch_execz .LBB77_7
; %bb.6:                                ;   in Loop: Header=BB77_3 Depth=1
	s_sub_i32 s0, 0, s47
	v_mul_lo_u32 v3, s0, v22
	v_mul_hi_u32 v3, v22, v3
	v_add_u32_e32 v3, v22, v3
	v_mul_hi_u32 v3, v0, v3
	v_mul_lo_u32 v4, v3, s47
	v_sub_u32_e32 v4, v0, v4
	v_subrev_u32_e32 v5, s47, v4
	v_cmp_le_u32_e32 vcc, s47, v4
	v_cndmask_b32_e32 v4, v4, v5, vcc
	v_subrev_u32_e32 v5, s47, v4
	v_cmp_le_u32_e64 s[0:1], s47, v4
	v_cndmask_b32_e64 v4, v4, v5, s[0:1]
	v_add_u32_e32 v5, 1, v3
	v_cndmask_b32_e32 v3, v3, v5, vcc
	v_add_u32_e32 v5, 1, v3
	v_cndmask_b32_e64 v14, v3, v5, s[0:1]
	v_mov_b32_e32 v15, v2
.LBB77_7:                               ;   in Loop: Header=BB77_3 Depth=1
	s_or_b64 exec, exec, s[2:3]
	v_or_b32_e32 v3, s48, v15
	v_cmp_ne_u64_e32 vcc, 0, v[2:3]
                                        ; implicit-def: $vgpr6_vgpr7
	s_and_saveexec_b64 s[0:1], vcc
	s_xor_b64 s[2:3], exec, s[0:1]
	s_cbranch_execz .LBB77_9
; %bb.8:                                ;   in Loop: Header=BB77_3 Depth=1
	s_add_u32 s38, s12, s48
	s_mov_b32 s0, s48
	s_mov_b32 s1, s48
	s_addc_u32 s39, s48, s48
	s_xor_b64 s[38:39], s[38:39], s[0:1]
	v_cvt_f32_u32_e32 v5, s38
	v_cvt_f32_u32_e32 v6, s39
	s_sub_u32 s0, 0, s38
	s_subb_u32 s1, 0, s39
	v_mac_f32_e32 v5, 0x4f800000, v6
	v_rcp_f32_e32 v5, v5
	v_mul_f32_e32 v5, 0x5f7ffffc, v5
	v_mul_f32_e32 v6, 0x2f800000, v5
	v_trunc_f32_e32 v6, v6
	v_mac_f32_e32 v5, 0xcf800000, v6
	v_cvt_u32_f32_e32 v6, v6
	v_cvt_u32_f32_e32 v5, v5
	v_mul_lo_u32 v7, s0, v6
	v_mul_hi_u32 v9, s0, v5
	v_mul_lo_u32 v8, s1, v5
	v_add_u32_e32 v7, v9, v7
	v_mul_lo_u32 v10, s0, v5
	v_add_u32_e32 v7, v7, v8
	v_mul_lo_u32 v9, v5, v7
	v_mul_hi_u32 v11, v5, v10
	v_mul_hi_u32 v8, v5, v7
	v_add_co_u32_e32 v9, vcc, v11, v9
	v_addc_co_u32_e32 v8, vcc, 0, v8, vcc
	v_mul_hi_u32 v12, v6, v10
	v_mul_lo_u32 v10, v6, v10
	v_add_co_u32_e32 v9, vcc, v9, v10
	v_mul_hi_u32 v11, v6, v7
	v_addc_co_u32_e32 v8, vcc, v8, v12, vcc
	v_addc_co_u32_e32 v9, vcc, 0, v11, vcc
	v_mul_lo_u32 v7, v6, v7
	v_add_co_u32_e32 v7, vcc, v8, v7
	v_addc_co_u32_e32 v8, vcc, 0, v9, vcc
	v_add_co_u32_e32 v5, vcc, v5, v7
	v_addc_co_u32_e32 v6, vcc, v6, v8, vcc
	v_mul_lo_u32 v7, s0, v6
	v_mul_hi_u32 v8, s0, v5
	v_add_u32_e32 v7, v8, v7
	v_mul_lo_u32 v8, s1, v5
	v_add_u32_e32 v7, v7, v8
	v_mul_lo_u32 v9, s0, v5
	v_mul_hi_u32 v10, v6, v9
	v_mul_lo_u32 v11, v6, v9
	v_mul_lo_u32 v13, v5, v7
	v_mul_hi_u32 v9, v5, v9
	v_mul_hi_u32 v12, v5, v7
	v_add_co_u32_e32 v9, vcc, v9, v13
	v_addc_co_u32_e32 v12, vcc, 0, v12, vcc
	v_add_co_u32_e32 v9, vcc, v9, v11
	v_mul_hi_u32 v8, v6, v7
	v_addc_co_u32_e32 v9, vcc, v12, v10, vcc
	v_addc_co_u32_e32 v8, vcc, 0, v8, vcc
	v_mul_lo_u32 v7, v6, v7
	v_add_co_u32_e32 v7, vcc, v9, v7
	v_addc_co_u32_e32 v8, vcc, 0, v8, vcc
	v_add_co_u32_e32 v5, vcc, v5, v7
	v_addc_co_u32_e32 v8, vcc, v6, v8, vcc
	v_ashrrev_i32_e32 v10, 31, v15
	v_add_co_u32_e32 v6, vcc, v14, v10
	v_addc_co_u32_e32 v7, vcc, v15, v10, vcc
	v_xor_b32_e32 v12, v6, v10
	v_xor_b32_e32 v11, v7, v10
	v_mad_u64_u32 v[6:7], s[0:1], v12, v8, 0
	v_mul_hi_u32 v9, v12, v5
	v_add_co_u32_e32 v13, vcc, v9, v6
	v_addc_co_u32_e32 v16, vcc, 0, v7, vcc
	v_mad_u64_u32 v[6:7], s[0:1], v11, v8, 0
	v_mad_u64_u32 v[8:9], s[0:1], v11, v5, 0
	v_add_co_u32_e32 v5, vcc, v13, v8
	v_addc_co_u32_e32 v5, vcc, v16, v9, vcc
	v_addc_co_u32_e32 v7, vcc, 0, v7, vcc
	v_add_co_u32_e32 v5, vcc, v5, v6
	v_addc_co_u32_e32 v6, vcc, 0, v7, vcc
	v_mul_lo_u32 v8, s39, v5
	v_mul_lo_u32 v9, s38, v6
	v_mad_u64_u32 v[6:7], s[0:1], s38, v5, 0
	v_add3_u32 v5, v7, v9, v8
	v_sub_u32_e32 v7, v11, v5
	v_mov_b32_e32 v8, s39
	v_sub_co_u32_e32 v6, vcc, v12, v6
	v_subb_co_u32_e64 v7, s[0:1], v7, v8, vcc
	v_subrev_co_u32_e64 v8, s[0:1], s38, v6
	v_subbrev_co_u32_e64 v7, s[0:1], 0, v7, s[0:1]
	v_cmp_le_u32_e64 s[0:1], s39, v7
	v_subb_co_u32_e32 v5, vcc, v11, v5, vcc
	v_cndmask_b32_e64 v9, 0, -1, s[0:1]
	v_cmp_le_u32_e64 s[0:1], s38, v8
	v_cmp_le_u32_e32 vcc, s39, v5
	v_cndmask_b32_e64 v12, 0, -1, s[0:1]
	v_cmp_eq_u32_e64 s[0:1], s39, v7
	v_cndmask_b32_e64 v11, 0, -1, vcc
	v_cmp_le_u32_e32 vcc, s38, v6
	v_cndmask_b32_e64 v7, v9, v12, s[0:1]
	v_cndmask_b32_e64 v12, 0, -1, vcc
	v_cmp_eq_u32_e32 vcc, s39, v5
	v_subrev_co_u32_e64 v9, s[0:1], s38, v8
	v_cndmask_b32_e32 v5, v11, v12, vcc
	v_cmp_ne_u32_e32 vcc, 0, v7
	v_cndmask_b32_e32 v7, v8, v9, vcc
	v_cmp_ne_u32_e32 vcc, 0, v5
	v_cndmask_b32_e32 v5, v6, v7, vcc
	v_xor_b32_e32 v5, v5, v10
	v_sub_co_u32_e32 v6, vcc, v5, v10
.LBB77_9:                               ;   in Loop: Header=BB77_3 Depth=1
	s_andn2_saveexec_b64 s[0:1], s[2:3]
	s_cbranch_execz .LBB77_11
; %bb.10:                               ;   in Loop: Header=BB77_3 Depth=1
	v_cvt_f32_u32_e32 v5, s12
	s_sub_i32 s2, 0, s12
	v_rcp_iflag_f32_e32 v5, v5
	v_mul_f32_e32 v5, 0x4f7ffffe, v5
	v_cvt_u32_f32_e32 v5, v5
	v_mul_lo_u32 v6, s2, v5
	v_mul_hi_u32 v6, v5, v6
	v_add_u32_e32 v5, v5, v6
	v_mul_hi_u32 v5, v14, v5
	v_mul_lo_u32 v5, v5, s12
	v_sub_u32_e32 v5, v14, v5
	v_subrev_u32_e32 v6, s12, v5
	v_cmp_le_u32_e32 vcc, s12, v5
	v_cndmask_b32_e32 v5, v5, v6, vcc
	v_subrev_u32_e32 v6, s12, v5
	v_cmp_le_u32_e32 vcc, s12, v5
	v_cndmask_b32_e32 v6, v5, v6, vcc
.LBB77_11:                              ;   in Loop: Header=BB77_3 Depth=1
	s_or_b64 exec, exec, s[0:1]
	v_mul_lo_u32 v8, s17, v4
	v_mad_u64_u32 v[10:11], s[0:1], s16, v6, v[8:9]
	v_mul_lo_u32 v8, s19, v4
	s_andn2_b64 vcc, exec, s[14:15]
	v_mad_u64_u32 v[8:9], s[0:1], s18, v6, v[8:9]
	s_cbranch_vccnz .LBB77_41
; %bb.12:                               ;   in Loop: Header=BB77_3 Depth=1
	v_cmp_ne_u64_e32 vcc, 0, v[2:3]
                                        ; implicit-def: $vgpr12_vgpr13
	s_and_saveexec_b64 s[0:1], vcc
	s_xor_b64 s[2:3], exec, s[0:1]
	s_cbranch_execz .LBB77_14
; %bb.13:                               ;   in Loop: Header=BB77_3 Depth=1
	s_add_u32 s0, s12, s48
	s_mov_b32 s38, s48
	s_mov_b32 s39, s48
	s_addc_u32 s1, s48, s48
	s_xor_b64 s[40:41], s[0:1], s[38:39]
	v_cvt_f32_u32_e32 v3, s40
	v_cvt_f32_u32_e32 v5, s41
	s_sub_u32 s0, 0, s40
	s_subb_u32 s1, 0, s41
	v_mac_f32_e32 v3, 0x4f800000, v5
	v_rcp_f32_e32 v3, v3
	v_mul_f32_e32 v3, 0x5f7ffffc, v3
	v_mul_f32_e32 v5, 0x2f800000, v3
	v_trunc_f32_e32 v5, v5
	v_mac_f32_e32 v3, 0xcf800000, v5
	v_cvt_u32_f32_e32 v5, v5
	v_cvt_u32_f32_e32 v3, v3
	v_mul_lo_u32 v7, s0, v5
	v_mul_hi_u32 v11, s0, v3
	v_mul_lo_u32 v9, s1, v3
	v_add_u32_e32 v7, v11, v7
	v_mul_lo_u32 v12, s0, v3
	v_add_u32_e32 v7, v7, v9
	v_mul_lo_u32 v11, v3, v7
	v_mul_hi_u32 v13, v3, v12
	v_mul_hi_u32 v9, v3, v7
	v_add_co_u32_e32 v11, vcc, v13, v11
	v_addc_co_u32_e32 v9, vcc, 0, v9, vcc
	v_mul_hi_u32 v16, v5, v12
	v_mul_lo_u32 v12, v5, v12
	v_add_co_u32_e32 v11, vcc, v11, v12
	v_mul_hi_u32 v13, v5, v7
	v_addc_co_u32_e32 v9, vcc, v9, v16, vcc
	v_addc_co_u32_e32 v11, vcc, 0, v13, vcc
	v_mul_lo_u32 v7, v5, v7
	v_add_co_u32_e32 v7, vcc, v9, v7
	v_addc_co_u32_e32 v9, vcc, 0, v11, vcc
	v_add_co_u32_e32 v3, vcc, v3, v7
	v_addc_co_u32_e32 v5, vcc, v5, v9, vcc
	v_mul_lo_u32 v7, s0, v5
	v_mul_hi_u32 v9, s0, v3
	v_add_u32_e32 v7, v9, v7
	v_mul_lo_u32 v9, s1, v3
	v_add_u32_e32 v7, v7, v9
	v_mul_lo_u32 v11, s0, v3
	v_mul_hi_u32 v12, v5, v11
	v_mul_lo_u32 v13, v5, v11
	v_mul_lo_u32 v17, v3, v7
	v_mul_hi_u32 v11, v3, v11
	v_mul_hi_u32 v16, v3, v7
	v_add_co_u32_e32 v11, vcc, v11, v17
	v_addc_co_u32_e32 v16, vcc, 0, v16, vcc
	v_add_co_u32_e32 v11, vcc, v11, v13
	v_mul_hi_u32 v9, v5, v7
	v_addc_co_u32_e32 v11, vcc, v16, v12, vcc
	v_addc_co_u32_e32 v9, vcc, 0, v9, vcc
	v_mul_lo_u32 v7, v5, v7
	v_add_co_u32_e32 v7, vcc, v11, v7
	v_addc_co_u32_e32 v9, vcc, 0, v9, vcc
	v_add_co_u32_e32 v3, vcc, v3, v7
	v_addc_co_u32_e32 v5, vcc, v5, v9, vcc
	v_ashrrev_i32_e32 v7, 31, v15
	v_add_co_u32_e32 v9, vcc, v14, v7
	v_xor_b32_e32 v9, v9, v7
	v_addc_co_u32_e32 v11, vcc, v15, v7, vcc
	v_mad_u64_u32 v[12:13], s[0:1], v9, v5, 0
	v_mul_hi_u32 v14, v9, v3
	v_xor_b32_e32 v11, v11, v7
	v_add_co_u32_e32 v16, vcc, v14, v12
	v_addc_co_u32_e32 v17, vcc, 0, v13, vcc
	v_mad_u64_u32 v[14:15], s[0:1], v11, v3, 0
	v_add_co_u32_e32 v3, vcc, v16, v14
	v_mad_u64_u32 v[12:13], s[0:1], v11, v5, 0
	v_addc_co_u32_e32 v3, vcc, v17, v15, vcc
	v_addc_co_u32_e32 v5, vcc, 0, v13, vcc
	v_add_co_u32_e32 v3, vcc, v3, v12
	v_addc_co_u32_e32 v5, vcc, 0, v5, vcc
	v_mul_lo_u32 v14, s41, v3
	v_mul_lo_u32 v15, s40, v5
	v_mad_u64_u32 v[12:13], s[0:1], s40, v3, 0
	v_add3_u32 v13, v13, v15, v14
	v_sub_u32_e32 v14, v11, v13
	v_mov_b32_e32 v15, s41
	v_sub_co_u32_e32 v9, vcc, v9, v12
	v_subb_co_u32_e64 v12, s[0:1], v14, v15, vcc
	v_subrev_co_u32_e64 v14, s[0:1], s40, v9
	v_subbrev_co_u32_e64 v12, s[0:1], 0, v12, s[0:1]
	v_cmp_le_u32_e64 s[0:1], s41, v12
	v_cndmask_b32_e64 v15, 0, -1, s[0:1]
	v_cmp_le_u32_e64 s[0:1], s40, v14
	v_cndmask_b32_e64 v14, 0, -1, s[0:1]
	v_cmp_eq_u32_e64 s[0:1], s41, v12
	v_cndmask_b32_e64 v12, v15, v14, s[0:1]
	v_add_co_u32_e64 v14, s[0:1], 2, v3
	v_subb_co_u32_e32 v11, vcc, v11, v13, vcc
	v_addc_co_u32_e64 v15, s[0:1], 0, v5, s[0:1]
	v_cmp_le_u32_e32 vcc, s41, v11
	v_add_co_u32_e64 v16, s[0:1], 1, v3
	v_cndmask_b32_e64 v13, 0, -1, vcc
	v_cmp_le_u32_e32 vcc, s40, v9
	v_addc_co_u32_e64 v17, s[0:1], 0, v5, s[0:1]
	v_cndmask_b32_e64 v9, 0, -1, vcc
	v_cmp_eq_u32_e32 vcc, s41, v11
	v_cmp_ne_u32_e64 s[0:1], 0, v12
	v_cndmask_b32_e32 v9, v13, v9, vcc
	v_cmp_ne_u32_e32 vcc, 0, v9
	v_cndmask_b32_e64 v9, v16, v14, s[0:1]
	v_cndmask_b32_e64 v12, v17, v15, s[0:1]
	v_cndmask_b32_e32 v3, v3, v9, vcc
	v_xor_b32_e32 v9, s39, v7
	v_xor_b32_e32 v7, s38, v7
	v_cndmask_b32_e32 v5, v5, v12, vcc
	v_xor_b32_e32 v3, v3, v7
	v_xor_b32_e32 v5, v5, v9
	v_sub_co_u32_e32 v12, vcc, v3, v7
	v_subb_co_u32_e32 v13, vcc, v5, v9, vcc
                                        ; implicit-def: $vgpr14_vgpr15
.LBB77_14:                              ;   in Loop: Header=BB77_3 Depth=1
	s_andn2_saveexec_b64 s[0:1], s[2:3]
	s_cbranch_execz .LBB77_16
; %bb.15:                               ;   in Loop: Header=BB77_3 Depth=1
	v_cvt_f32_u32_e32 v3, s12
	s_sub_i32 s2, 0, s12
	v_mov_b32_e32 v13, v2
	v_rcp_iflag_f32_e32 v3, v3
	v_mul_f32_e32 v3, 0x4f7ffffe, v3
	v_cvt_u32_f32_e32 v3, v3
	v_mul_lo_u32 v5, s2, v3
	v_mul_hi_u32 v5, v3, v5
	v_add_u32_e32 v3, v3, v5
	v_mul_hi_u32 v3, v14, v3
	v_mul_lo_u32 v5, v3, s12
	v_sub_u32_e32 v5, v14, v5
	v_add_u32_e32 v7, 1, v3
	v_subrev_u32_e32 v9, s12, v5
	v_cmp_le_u32_e32 vcc, s12, v5
	v_cndmask_b32_e32 v5, v5, v9, vcc
	v_cndmask_b32_e32 v3, v3, v7, vcc
	v_add_u32_e32 v7, 1, v3
	v_cmp_le_u32_e32 vcc, s12, v5
	v_cndmask_b32_e32 v12, v3, v7, vcc
.LBB77_16:                              ;   in Loop: Header=BB77_3 Depth=1
	s_or_b64 exec, exec, s[0:1]
	s_andn2_b64 vcc, exec, s[26:27]
	s_mov_b32 s56, 1
	s_mov_b32 s20, s52
	s_cbranch_vccz .LBB77_37
.LBB77_17:                              ;   in Loop: Header=BB77_3 Depth=1
	s_and_b64 vcc, exec, s[28:29]
	s_cbranch_vccz .LBB77_41
.LBB77_18:                              ;   Parent Loop BB77_3 Depth=1
                                        ; =>  This Inner Loop Header: Depth=2
	s_lshl_b64 s[2:3], s[20:21], 2
	s_add_u32 s38, s33, s2
	s_addc_u32 s39, s46, s3
	s_load_dword s56, s[38:39], 0x8
                                        ; implicit-def: $vgpr14_vgpr15
	s_waitcnt lgkmcnt(0)
	s_ashr_i32 s0, s56, 31
	v_or_b32_e32 v3, s0, v13
	v_cmp_ne_u64_e32 vcc, 0, v[2:3]
	s_and_saveexec_b64 s[40:41], vcc
	s_xor_b64 s[40:41], exec, s[40:41]
	s_cbranch_execz .LBB77_20
; %bb.19:                               ;   in Loop: Header=BB77_18 Depth=2
	s_add_u32 s44, s56, s0
	s_mov_b32 s42, s0
	s_mov_b32 s43, s0
	s_addc_u32 s45, s0, s0
	s_xor_b64 s[44:45], s[44:45], s[42:43]
	v_cvt_f32_u32_e32 v3, s44
	v_cvt_f32_u32_e32 v5, s45
	s_sub_u32 s0, 0, s44
	s_subb_u32 s1, 0, s45
	v_mac_f32_e32 v3, 0x4f800000, v5
	v_rcp_f32_e32 v3, v3
	v_mul_f32_e32 v3, 0x5f7ffffc, v3
	v_mul_f32_e32 v5, 0x2f800000, v3
	v_trunc_f32_e32 v5, v5
	v_mac_f32_e32 v3, 0xcf800000, v5
	v_cvt_u32_f32_e32 v5, v5
	v_cvt_u32_f32_e32 v3, v3
	v_mul_lo_u32 v7, s0, v5
	v_mul_hi_u32 v11, s0, v3
	v_mul_lo_u32 v9, s1, v3
	v_add_u32_e32 v7, v11, v7
	v_mul_lo_u32 v14, s0, v3
	v_add_u32_e32 v7, v7, v9
	v_mul_lo_u32 v11, v3, v7
	v_mul_hi_u32 v15, v3, v14
	v_mul_hi_u32 v9, v3, v7
	v_add_co_u32_e32 v11, vcc, v15, v11
	v_addc_co_u32_e32 v9, vcc, 0, v9, vcc
	v_mul_hi_u32 v16, v5, v14
	v_mul_lo_u32 v14, v5, v14
	v_add_co_u32_e32 v11, vcc, v11, v14
	v_mul_hi_u32 v15, v5, v7
	v_addc_co_u32_e32 v9, vcc, v9, v16, vcc
	v_addc_co_u32_e32 v11, vcc, 0, v15, vcc
	v_mul_lo_u32 v7, v5, v7
	v_add_co_u32_e32 v7, vcc, v9, v7
	v_addc_co_u32_e32 v9, vcc, 0, v11, vcc
	v_add_co_u32_e32 v3, vcc, v3, v7
	v_addc_co_u32_e32 v5, vcc, v5, v9, vcc
	v_mul_lo_u32 v7, s0, v5
	v_mul_hi_u32 v9, s0, v3
	v_add_u32_e32 v7, v9, v7
	v_mul_lo_u32 v9, s1, v3
	v_add_u32_e32 v7, v7, v9
	v_mul_lo_u32 v11, s0, v3
	v_mul_hi_u32 v14, v5, v11
	v_mul_lo_u32 v15, v5, v11
	v_mul_lo_u32 v17, v3, v7
	v_mul_hi_u32 v11, v3, v11
	v_mul_hi_u32 v16, v3, v7
	v_add_co_u32_e32 v11, vcc, v11, v17
	v_addc_co_u32_e32 v16, vcc, 0, v16, vcc
	v_add_co_u32_e32 v11, vcc, v11, v15
	v_mul_hi_u32 v9, v5, v7
	v_addc_co_u32_e32 v11, vcc, v16, v14, vcc
	v_addc_co_u32_e32 v9, vcc, 0, v9, vcc
	v_mul_lo_u32 v7, v5, v7
	v_add_co_u32_e32 v7, vcc, v11, v7
	v_addc_co_u32_e32 v9, vcc, 0, v9, vcc
	v_add_co_u32_e32 v3, vcc, v3, v7
	v_addc_co_u32_e32 v5, vcc, v5, v9, vcc
	v_ashrrev_i32_e32 v7, 31, v13
	v_add_co_u32_e32 v9, vcc, v12, v7
	v_xor_b32_e32 v9, v9, v7
	v_addc_co_u32_e32 v11, vcc, v13, v7, vcc
	v_mad_u64_u32 v[14:15], s[0:1], v9, v5, 0
	v_mul_hi_u32 v13, v9, v3
	v_xor_b32_e32 v11, v11, v7
	v_add_co_u32_e32 v13, vcc, v13, v14
	v_addc_co_u32_e32 v18, vcc, 0, v15, vcc
	v_mad_u64_u32 v[16:17], s[0:1], v11, v3, 0
	v_add_co_u32_e32 v3, vcc, v13, v16
	v_mad_u64_u32 v[14:15], s[0:1], v11, v5, 0
	v_addc_co_u32_e32 v3, vcc, v18, v17, vcc
	v_addc_co_u32_e32 v5, vcc, 0, v15, vcc
	v_add_co_u32_e32 v3, vcc, v3, v14
	v_addc_co_u32_e32 v5, vcc, 0, v5, vcc
	v_mul_lo_u32 v13, s45, v3
	v_mul_lo_u32 v16, s44, v5
	v_mad_u64_u32 v[14:15], s[0:1], s44, v3, 0
	v_add3_u32 v13, v15, v16, v13
	v_sub_u32_e32 v15, v11, v13
	v_mov_b32_e32 v16, s45
	v_sub_co_u32_e32 v9, vcc, v9, v14
	v_subb_co_u32_e64 v14, s[0:1], v15, v16, vcc
	v_subrev_co_u32_e64 v15, s[0:1], s44, v9
	v_subbrev_co_u32_e64 v14, s[0:1], 0, v14, s[0:1]
	v_cmp_le_u32_e64 s[0:1], s45, v14
	v_cndmask_b32_e64 v16, 0, -1, s[0:1]
	v_cmp_le_u32_e64 s[0:1], s44, v15
	v_cndmask_b32_e64 v15, 0, -1, s[0:1]
	v_cmp_eq_u32_e64 s[0:1], s45, v14
	v_cndmask_b32_e64 v14, v16, v15, s[0:1]
	v_add_co_u32_e64 v15, s[0:1], 2, v3
	v_subb_co_u32_e32 v11, vcc, v11, v13, vcc
	v_addc_co_u32_e64 v16, s[0:1], 0, v5, s[0:1]
	v_cmp_le_u32_e32 vcc, s45, v11
	v_add_co_u32_e64 v17, s[0:1], 1, v3
	v_cndmask_b32_e64 v13, 0, -1, vcc
	v_cmp_le_u32_e32 vcc, s44, v9
	v_addc_co_u32_e64 v18, s[0:1], 0, v5, s[0:1]
	v_cndmask_b32_e64 v9, 0, -1, vcc
	v_cmp_eq_u32_e32 vcc, s45, v11
	v_cmp_ne_u32_e64 s[0:1], 0, v14
	v_cndmask_b32_e32 v9, v13, v9, vcc
	v_cmp_ne_u32_e32 vcc, 0, v9
	v_cndmask_b32_e64 v9, v17, v15, s[0:1]
	v_cndmask_b32_e64 v14, v18, v16, s[0:1]
	v_cndmask_b32_e32 v3, v3, v9, vcc
	v_xor_b32_e32 v9, s43, v7
	v_xor_b32_e32 v7, s42, v7
	v_cndmask_b32_e32 v5, v5, v14, vcc
	v_xor_b32_e32 v3, v3, v7
	v_xor_b32_e32 v5, v5, v9
	v_sub_co_u32_e32 v14, vcc, v3, v7
	v_subb_co_u32_e32 v15, vcc, v5, v9, vcc
.LBB77_20:                              ;   in Loop: Header=BB77_18 Depth=2
	s_andn2_saveexec_b64 s[0:1], s[40:41]
	s_cbranch_execz .LBB77_22
; %bb.21:                               ;   in Loop: Header=BB77_18 Depth=2
	v_cvt_f32_u32_e32 v3, s56
	s_sub_i32 s40, 0, s56
	v_mov_b32_e32 v15, v2
	v_rcp_iflag_f32_e32 v3, v3
	v_mul_f32_e32 v3, 0x4f7ffffe, v3
	v_cvt_u32_f32_e32 v3, v3
	v_mul_lo_u32 v5, s40, v3
	v_mul_hi_u32 v5, v3, v5
	v_add_u32_e32 v3, v3, v5
	v_mul_hi_u32 v3, v12, v3
	v_mul_lo_u32 v5, v3, s56
	v_sub_u32_e32 v5, v12, v5
	v_add_u32_e32 v7, 1, v3
	v_subrev_u32_e32 v9, s56, v5
	v_cmp_le_u32_e32 vcc, s56, v5
	v_cndmask_b32_e32 v5, v5, v9, vcc
	v_cndmask_b32_e32 v3, v3, v7, vcc
	v_add_u32_e32 v7, 1, v3
	v_cmp_le_u32_e32 vcc, s56, v5
	v_cndmask_b32_e32 v14, v3, v7, vcc
.LBB77_22:                              ;   in Loop: Header=BB77_18 Depth=2
	s_or_b64 exec, exec, s[0:1]
	s_add_u32 s0, s50, s2
	s_addc_u32 s1, s51, s3
	s_add_i32 s2, s20, -1
	s_mov_b32 s3, s21
	s_lshl_b64 s[40:41], s[2:3], 2
	s_add_u32 s2, s33, s40
	s_addc_u32 s3, s46, s41
	s_load_dword s57, s[2:3], 0x8
	s_load_dword s58, s[38:39], 0x6c
	;; [unrolled: 1-line block ×3, first 2 shown]
                                        ; implicit-def: $vgpr16_vgpr17
	s_waitcnt lgkmcnt(0)
	s_ashr_i32 s0, s57, 31
	v_or_b32_e32 v3, s0, v15
	v_cmp_ne_u64_e32 vcc, 0, v[2:3]
	s_and_saveexec_b64 s[38:39], vcc
	s_xor_b64 s[38:39], exec, s[38:39]
	s_cbranch_execz .LBB77_24
; %bb.23:                               ;   in Loop: Header=BB77_18 Depth=2
	s_add_u32 s44, s57, s0
	s_mov_b32 s42, s0
	s_mov_b32 s43, s0
	s_addc_u32 s45, s0, s0
	s_xor_b64 s[44:45], s[44:45], s[42:43]
	v_cvt_f32_u32_e32 v3, s44
	v_cvt_f32_u32_e32 v5, s45
	s_sub_u32 s0, 0, s44
	s_subb_u32 s1, 0, s45
	v_mac_f32_e32 v3, 0x4f800000, v5
	v_rcp_f32_e32 v3, v3
	v_mul_f32_e32 v3, 0x5f7ffffc, v3
	v_mul_f32_e32 v5, 0x2f800000, v3
	v_trunc_f32_e32 v5, v5
	v_mac_f32_e32 v3, 0xcf800000, v5
	v_cvt_u32_f32_e32 v5, v5
	v_cvt_u32_f32_e32 v3, v3
	v_mul_lo_u32 v7, s0, v5
	v_mul_hi_u32 v11, s0, v3
	v_mul_lo_u32 v9, s1, v3
	v_add_u32_e32 v7, v11, v7
	v_mul_lo_u32 v13, s0, v3
	v_add_u32_e32 v7, v7, v9
	v_mul_lo_u32 v11, v3, v7
	v_mul_hi_u32 v16, v3, v13
	v_mul_hi_u32 v9, v3, v7
	v_add_co_u32_e32 v11, vcc, v16, v11
	v_addc_co_u32_e32 v9, vcc, 0, v9, vcc
	v_mul_hi_u32 v17, v5, v13
	v_mul_lo_u32 v13, v5, v13
	v_add_co_u32_e32 v11, vcc, v11, v13
	v_mul_hi_u32 v16, v5, v7
	v_addc_co_u32_e32 v9, vcc, v9, v17, vcc
	v_addc_co_u32_e32 v11, vcc, 0, v16, vcc
	v_mul_lo_u32 v7, v5, v7
	v_add_co_u32_e32 v7, vcc, v9, v7
	v_addc_co_u32_e32 v9, vcc, 0, v11, vcc
	v_add_co_u32_e32 v3, vcc, v3, v7
	v_addc_co_u32_e32 v5, vcc, v5, v9, vcc
	v_mul_lo_u32 v7, s0, v5
	v_mul_hi_u32 v9, s0, v3
	v_add_u32_e32 v7, v9, v7
	v_mul_lo_u32 v9, s1, v3
	v_add_u32_e32 v7, v7, v9
	v_mul_lo_u32 v11, s0, v3
	v_mul_hi_u32 v13, v5, v11
	v_mul_lo_u32 v16, v5, v11
	v_mul_lo_u32 v18, v3, v7
	v_mul_hi_u32 v11, v3, v11
	v_mul_hi_u32 v17, v3, v7
	v_add_co_u32_e32 v11, vcc, v11, v18
	v_addc_co_u32_e32 v17, vcc, 0, v17, vcc
	v_add_co_u32_e32 v11, vcc, v11, v16
	v_mul_hi_u32 v9, v5, v7
	v_addc_co_u32_e32 v11, vcc, v17, v13, vcc
	v_addc_co_u32_e32 v9, vcc, 0, v9, vcc
	v_mul_lo_u32 v7, v5, v7
	v_add_co_u32_e32 v7, vcc, v11, v7
	v_addc_co_u32_e32 v9, vcc, 0, v9, vcc
	v_add_co_u32_e32 v3, vcc, v3, v7
	v_addc_co_u32_e32 v5, vcc, v5, v9, vcc
	v_ashrrev_i32_e32 v7, 31, v15
	v_add_co_u32_e32 v9, vcc, v14, v7
	v_xor_b32_e32 v9, v9, v7
	v_addc_co_u32_e32 v11, vcc, v15, v7, vcc
	v_mad_u64_u32 v[16:17], s[0:1], v9, v5, 0
	v_mul_hi_u32 v13, v9, v3
	v_xor_b32_e32 v11, v11, v7
	v_add_co_u32_e32 v13, vcc, v13, v16
	v_addc_co_u32_e32 v15, vcc, 0, v17, vcc
	v_mad_u64_u32 v[18:19], s[0:1], v11, v3, 0
	v_add_co_u32_e32 v3, vcc, v13, v18
	v_mad_u64_u32 v[16:17], s[0:1], v11, v5, 0
	v_addc_co_u32_e32 v3, vcc, v15, v19, vcc
	v_addc_co_u32_e32 v5, vcc, 0, v17, vcc
	v_add_co_u32_e32 v3, vcc, v3, v16
	v_addc_co_u32_e32 v5, vcc, 0, v5, vcc
	v_mul_lo_u32 v13, s45, v3
	v_mul_lo_u32 v15, s44, v5
	v_mad_u64_u32 v[16:17], s[0:1], s44, v3, 0
	v_add3_u32 v13, v17, v15, v13
	v_sub_u32_e32 v15, v11, v13
	v_mov_b32_e32 v17, s45
	v_sub_co_u32_e32 v9, vcc, v9, v16
	v_subb_co_u32_e64 v15, s[0:1], v15, v17, vcc
	v_subrev_co_u32_e64 v16, s[0:1], s44, v9
	v_subbrev_co_u32_e64 v15, s[0:1], 0, v15, s[0:1]
	v_cmp_le_u32_e64 s[0:1], s45, v15
	v_cndmask_b32_e64 v17, 0, -1, s[0:1]
	v_cmp_le_u32_e64 s[0:1], s44, v16
	v_cndmask_b32_e64 v16, 0, -1, s[0:1]
	v_cmp_eq_u32_e64 s[0:1], s45, v15
	v_cndmask_b32_e64 v15, v17, v16, s[0:1]
	v_add_co_u32_e64 v16, s[0:1], 2, v3
	v_subb_co_u32_e32 v11, vcc, v11, v13, vcc
	v_addc_co_u32_e64 v17, s[0:1], 0, v5, s[0:1]
	v_cmp_le_u32_e32 vcc, s45, v11
	v_add_co_u32_e64 v18, s[0:1], 1, v3
	v_cndmask_b32_e64 v13, 0, -1, vcc
	v_cmp_le_u32_e32 vcc, s44, v9
	v_addc_co_u32_e64 v19, s[0:1], 0, v5, s[0:1]
	v_cndmask_b32_e64 v9, 0, -1, vcc
	v_cmp_eq_u32_e32 vcc, s45, v11
	v_cmp_ne_u32_e64 s[0:1], 0, v15
	v_cndmask_b32_e32 v9, v13, v9, vcc
	v_cmp_ne_u32_e32 vcc, 0, v9
	v_cndmask_b32_e64 v9, v18, v16, s[0:1]
	v_cndmask_b32_e64 v15, v19, v17, s[0:1]
	v_cndmask_b32_e32 v3, v3, v9, vcc
	v_xor_b32_e32 v9, s43, v7
	v_xor_b32_e32 v7, s42, v7
	v_cndmask_b32_e32 v5, v5, v15, vcc
	v_xor_b32_e32 v3, v3, v7
	v_xor_b32_e32 v5, v5, v9
	v_sub_co_u32_e32 v16, vcc, v3, v7
	v_subb_co_u32_e32 v17, vcc, v5, v9, vcc
.LBB77_24:                              ;   in Loop: Header=BB77_18 Depth=2
	s_andn2_saveexec_b64 s[0:1], s[38:39]
	s_cbranch_execz .LBB77_26
; %bb.25:                               ;   in Loop: Header=BB77_18 Depth=2
	v_cvt_f32_u32_e32 v3, s57
	s_sub_i32 s38, 0, s57
	v_mov_b32_e32 v17, v2
	v_rcp_iflag_f32_e32 v3, v3
	v_mul_f32_e32 v3, 0x4f7ffffe, v3
	v_cvt_u32_f32_e32 v3, v3
	v_mul_lo_u32 v5, s38, v3
	v_mul_hi_u32 v5, v3, v5
	v_add_u32_e32 v3, v3, v5
	v_mul_hi_u32 v3, v14, v3
	v_mul_lo_u32 v5, v3, s57
	v_sub_u32_e32 v5, v14, v5
	v_add_u32_e32 v7, 1, v3
	v_subrev_u32_e32 v9, s57, v5
	v_cmp_le_u32_e32 vcc, s57, v5
	v_cndmask_b32_e32 v5, v5, v9, vcc
	v_cndmask_b32_e32 v3, v3, v7, vcc
	v_add_u32_e32 v7, 1, v3
	v_cmp_le_u32_e32 vcc, s57, v5
	v_cndmask_b32_e32 v16, v3, v7, vcc
.LBB77_26:                              ;   in Loop: Header=BB77_18 Depth=2
	s_or_b64 exec, exec, s[0:1]
	s_add_u32 s0, s50, s40
	s_addc_u32 s1, s51, s41
	s_add_i32 s38, s20, -2
	s_mov_b32 s39, s21
	s_lshl_b64 s[38:39], s[38:39], 2
	s_add_u32 s40, s33, s38
	s_addc_u32 s41, s46, s39
	s_load_dword s60, s[40:41], 0x8
	s_load_dword s62, s[2:3], 0x6c
	;; [unrolled: 1-line block ×3, first 2 shown]
                                        ; implicit-def: $vgpr18_vgpr19
	s_waitcnt lgkmcnt(0)
	s_ashr_i32 s0, s60, 31
	v_or_b32_e32 v3, s0, v17
	v_cmp_ne_u64_e32 vcc, 0, v[2:3]
	s_and_saveexec_b64 s[2:3], vcc
	s_xor_b64 s[2:3], exec, s[2:3]
	s_cbranch_execz .LBB77_28
; %bb.27:                               ;   in Loop: Header=BB77_18 Depth=2
	s_add_u32 s44, s60, s0
	s_mov_b32 s42, s0
	s_mov_b32 s43, s0
	s_addc_u32 s45, s0, s0
	s_xor_b64 s[44:45], s[44:45], s[42:43]
	v_cvt_f32_u32_e32 v3, s44
	v_cvt_f32_u32_e32 v5, s45
	s_sub_u32 s0, 0, s44
	s_subb_u32 s1, 0, s45
	v_mac_f32_e32 v3, 0x4f800000, v5
	v_rcp_f32_e32 v3, v3
	v_mul_f32_e32 v3, 0x5f7ffffc, v3
	v_mul_f32_e32 v5, 0x2f800000, v3
	v_trunc_f32_e32 v5, v5
	v_mac_f32_e32 v3, 0xcf800000, v5
	v_cvt_u32_f32_e32 v5, v5
	v_cvt_u32_f32_e32 v3, v3
	v_mul_lo_u32 v7, s0, v5
	v_mul_hi_u32 v11, s0, v3
	v_mul_lo_u32 v9, s1, v3
	v_add_u32_e32 v7, v11, v7
	v_mul_lo_u32 v13, s0, v3
	v_add_u32_e32 v7, v7, v9
	v_mul_lo_u32 v11, v3, v7
	v_mul_hi_u32 v15, v3, v13
	v_mul_hi_u32 v9, v3, v7
	v_add_co_u32_e32 v11, vcc, v15, v11
	v_addc_co_u32_e32 v9, vcc, 0, v9, vcc
	v_mul_hi_u32 v18, v5, v13
	v_mul_lo_u32 v13, v5, v13
	v_add_co_u32_e32 v11, vcc, v11, v13
	v_mul_hi_u32 v15, v5, v7
	v_addc_co_u32_e32 v9, vcc, v9, v18, vcc
	v_addc_co_u32_e32 v11, vcc, 0, v15, vcc
	v_mul_lo_u32 v7, v5, v7
	v_add_co_u32_e32 v7, vcc, v9, v7
	v_addc_co_u32_e32 v9, vcc, 0, v11, vcc
	v_add_co_u32_e32 v3, vcc, v3, v7
	v_addc_co_u32_e32 v5, vcc, v5, v9, vcc
	v_mul_lo_u32 v7, s0, v5
	v_mul_hi_u32 v9, s0, v3
	v_add_u32_e32 v7, v9, v7
	v_mul_lo_u32 v9, s1, v3
	v_add_u32_e32 v7, v7, v9
	v_mul_lo_u32 v11, s0, v3
	v_mul_hi_u32 v13, v5, v11
	v_mul_lo_u32 v15, v5, v11
	v_mul_lo_u32 v19, v3, v7
	v_mul_hi_u32 v11, v3, v11
	v_mul_hi_u32 v18, v3, v7
	v_add_co_u32_e32 v11, vcc, v11, v19
	v_addc_co_u32_e32 v18, vcc, 0, v18, vcc
	v_add_co_u32_e32 v11, vcc, v11, v15
	v_mul_hi_u32 v9, v5, v7
	v_addc_co_u32_e32 v11, vcc, v18, v13, vcc
	v_addc_co_u32_e32 v9, vcc, 0, v9, vcc
	v_mul_lo_u32 v7, v5, v7
	v_add_co_u32_e32 v7, vcc, v11, v7
	v_addc_co_u32_e32 v9, vcc, 0, v9, vcc
	v_add_co_u32_e32 v3, vcc, v3, v7
	v_addc_co_u32_e32 v5, vcc, v5, v9, vcc
	v_ashrrev_i32_e32 v7, 31, v17
	v_add_co_u32_e32 v9, vcc, v16, v7
	v_xor_b32_e32 v9, v9, v7
	v_addc_co_u32_e32 v11, vcc, v17, v7, vcc
	v_mad_u64_u32 v[18:19], s[0:1], v9, v5, 0
	v_mul_hi_u32 v13, v9, v3
	v_xor_b32_e32 v11, v11, v7
	v_add_co_u32_e32 v13, vcc, v13, v18
	v_addc_co_u32_e32 v15, vcc, 0, v19, vcc
	v_mad_u64_u32 v[20:21], s[0:1], v11, v3, 0
	v_add_co_u32_e32 v3, vcc, v13, v20
	v_mad_u64_u32 v[18:19], s[0:1], v11, v5, 0
	v_addc_co_u32_e32 v3, vcc, v15, v21, vcc
	v_addc_co_u32_e32 v5, vcc, 0, v19, vcc
	v_add_co_u32_e32 v3, vcc, v3, v18
	v_addc_co_u32_e32 v5, vcc, 0, v5, vcc
	v_mul_lo_u32 v13, s45, v3
	v_mul_lo_u32 v15, s44, v5
	v_mad_u64_u32 v[18:19], s[0:1], s44, v3, 0
	v_add3_u32 v13, v19, v15, v13
	v_sub_u32_e32 v15, v11, v13
	v_mov_b32_e32 v17, s45
	v_sub_co_u32_e32 v9, vcc, v9, v18
	v_subb_co_u32_e64 v15, s[0:1], v15, v17, vcc
	v_subrev_co_u32_e64 v17, s[0:1], s44, v9
	v_subbrev_co_u32_e64 v15, s[0:1], 0, v15, s[0:1]
	v_cmp_le_u32_e64 s[0:1], s45, v15
	v_cndmask_b32_e64 v18, 0, -1, s[0:1]
	v_cmp_le_u32_e64 s[0:1], s44, v17
	v_cndmask_b32_e64 v17, 0, -1, s[0:1]
	v_cmp_eq_u32_e64 s[0:1], s45, v15
	v_cndmask_b32_e64 v15, v18, v17, s[0:1]
	v_add_co_u32_e64 v17, s[0:1], 2, v3
	v_subb_co_u32_e32 v11, vcc, v11, v13, vcc
	v_addc_co_u32_e64 v18, s[0:1], 0, v5, s[0:1]
	v_cmp_le_u32_e32 vcc, s45, v11
	v_add_co_u32_e64 v19, s[0:1], 1, v3
	v_cndmask_b32_e64 v13, 0, -1, vcc
	v_cmp_le_u32_e32 vcc, s44, v9
	v_addc_co_u32_e64 v20, s[0:1], 0, v5, s[0:1]
	v_cndmask_b32_e64 v9, 0, -1, vcc
	v_cmp_eq_u32_e32 vcc, s45, v11
	v_cmp_ne_u32_e64 s[0:1], 0, v15
	v_cndmask_b32_e32 v9, v13, v9, vcc
	v_cmp_ne_u32_e32 vcc, 0, v9
	v_cndmask_b32_e64 v9, v19, v17, s[0:1]
	v_cndmask_b32_e64 v15, v20, v18, s[0:1]
	v_cndmask_b32_e32 v3, v3, v9, vcc
	v_xor_b32_e32 v9, s43, v7
	v_xor_b32_e32 v7, s42, v7
	v_cndmask_b32_e32 v5, v5, v15, vcc
	v_xor_b32_e32 v3, v3, v7
	v_xor_b32_e32 v5, v5, v9
	v_sub_co_u32_e32 v18, vcc, v3, v7
	v_subb_co_u32_e32 v19, vcc, v5, v9, vcc
.LBB77_28:                              ;   in Loop: Header=BB77_18 Depth=2
	s_andn2_saveexec_b64 s[0:1], s[2:3]
	s_cbranch_execz .LBB77_30
; %bb.29:                               ;   in Loop: Header=BB77_18 Depth=2
	v_cvt_f32_u32_e32 v3, s60
	s_sub_i32 s2, 0, s60
	v_mov_b32_e32 v19, v2
	v_rcp_iflag_f32_e32 v3, v3
	v_mul_f32_e32 v3, 0x4f7ffffe, v3
	v_cvt_u32_f32_e32 v3, v3
	v_mul_lo_u32 v5, s2, v3
	v_mul_hi_u32 v5, v3, v5
	v_add_u32_e32 v3, v3, v5
	v_mul_hi_u32 v3, v16, v3
	v_mul_lo_u32 v5, v3, s60
	v_sub_u32_e32 v5, v16, v5
	v_add_u32_e32 v7, 1, v3
	v_subrev_u32_e32 v9, s60, v5
	v_cmp_le_u32_e32 vcc, s60, v5
	v_cndmask_b32_e32 v5, v5, v9, vcc
	v_cndmask_b32_e32 v3, v3, v7, vcc
	v_add_u32_e32 v7, 1, v3
	v_cmp_le_u32_e32 vcc, s60, v5
	v_cndmask_b32_e32 v18, v3, v7, vcc
.LBB77_30:                              ;   in Loop: Header=BB77_18 Depth=2
	s_or_b64 exec, exec, s[0:1]
	s_add_u32 s0, s50, s38
	s_addc_u32 s1, s51, s39
	s_add_i32 s2, s20, -3
	s_mov_b32 s3, s21
	s_lshl_b64 s[2:3], s[2:3], 2
	s_add_u32 s38, s33, s2
	s_addc_u32 s39, s46, s3
	s_load_dword s63, s[38:39], 0x8
	s_load_dword s64, s[40:41], 0x6c
	;; [unrolled: 1-line block ×3, first 2 shown]
                                        ; implicit-def: $vgpr20_vgpr21
	s_waitcnt lgkmcnt(0)
	s_ashr_i32 s0, s63, 31
	v_or_b32_e32 v3, s0, v19
	v_cmp_ne_u64_e32 vcc, 0, v[2:3]
	s_and_saveexec_b64 s[40:41], vcc
	s_xor_b64 s[40:41], exec, s[40:41]
	s_cbranch_execz .LBB77_32
; %bb.31:                               ;   in Loop: Header=BB77_18 Depth=2
	s_add_u32 s44, s63, s0
	s_mov_b32 s42, s0
	s_mov_b32 s43, s0
	s_addc_u32 s45, s0, s0
	s_xor_b64 s[44:45], s[44:45], s[42:43]
	v_cvt_f32_u32_e32 v3, s44
	v_cvt_f32_u32_e32 v5, s45
	s_sub_u32 s0, 0, s44
	s_subb_u32 s1, 0, s45
	v_mac_f32_e32 v3, 0x4f800000, v5
	v_rcp_f32_e32 v3, v3
	v_mul_f32_e32 v3, 0x5f7ffffc, v3
	v_mul_f32_e32 v5, 0x2f800000, v3
	v_trunc_f32_e32 v5, v5
	v_mac_f32_e32 v3, 0xcf800000, v5
	v_cvt_u32_f32_e32 v5, v5
	v_cvt_u32_f32_e32 v3, v3
	v_mul_lo_u32 v7, s0, v5
	v_mul_hi_u32 v11, s0, v3
	v_mul_lo_u32 v9, s1, v3
	v_add_u32_e32 v7, v11, v7
	v_mul_lo_u32 v13, s0, v3
	v_add_u32_e32 v7, v7, v9
	v_mul_lo_u32 v11, v3, v7
	v_mul_hi_u32 v15, v3, v13
	v_mul_hi_u32 v9, v3, v7
	v_add_co_u32_e32 v11, vcc, v15, v11
	v_addc_co_u32_e32 v9, vcc, 0, v9, vcc
	v_mul_hi_u32 v17, v5, v13
	v_mul_lo_u32 v13, v5, v13
	v_add_co_u32_e32 v11, vcc, v11, v13
	v_mul_hi_u32 v15, v5, v7
	v_addc_co_u32_e32 v9, vcc, v9, v17, vcc
	v_addc_co_u32_e32 v11, vcc, 0, v15, vcc
	v_mul_lo_u32 v7, v5, v7
	v_add_co_u32_e32 v7, vcc, v9, v7
	v_addc_co_u32_e32 v9, vcc, 0, v11, vcc
	v_add_co_u32_e32 v3, vcc, v3, v7
	v_addc_co_u32_e32 v5, vcc, v5, v9, vcc
	v_mul_lo_u32 v7, s0, v5
	v_mul_hi_u32 v9, s0, v3
	v_add_u32_e32 v7, v9, v7
	v_mul_lo_u32 v9, s1, v3
	v_add_u32_e32 v7, v7, v9
	v_mul_lo_u32 v11, s0, v3
	v_mul_hi_u32 v13, v5, v11
	v_mul_lo_u32 v15, v5, v11
	v_mul_lo_u32 v20, v3, v7
	v_mul_hi_u32 v11, v3, v11
	v_mul_hi_u32 v17, v3, v7
	v_add_co_u32_e32 v11, vcc, v11, v20
	v_addc_co_u32_e32 v17, vcc, 0, v17, vcc
	v_add_co_u32_e32 v11, vcc, v11, v15
	v_mul_hi_u32 v9, v5, v7
	v_addc_co_u32_e32 v11, vcc, v17, v13, vcc
	v_addc_co_u32_e32 v9, vcc, 0, v9, vcc
	v_mul_lo_u32 v7, v5, v7
	v_add_co_u32_e32 v7, vcc, v11, v7
	v_addc_co_u32_e32 v9, vcc, 0, v9, vcc
	v_add_co_u32_e32 v3, vcc, v3, v7
	v_addc_co_u32_e32 v5, vcc, v5, v9, vcc
	v_ashrrev_i32_e32 v7, 31, v19
	v_add_co_u32_e32 v9, vcc, v18, v7
	v_xor_b32_e32 v9, v9, v7
	v_addc_co_u32_e32 v11, vcc, v19, v7, vcc
	v_mad_u64_u32 v[20:21], s[0:1], v9, v5, 0
	v_mul_hi_u32 v13, v9, v3
	v_xor_b32_e32 v11, v11, v7
	v_add_co_u32_e32 v13, vcc, v13, v20
	v_addc_co_u32_e32 v15, vcc, 0, v21, vcc
	v_mad_u64_u32 v[24:25], s[0:1], v11, v3, 0
	v_add_co_u32_e32 v3, vcc, v13, v24
	v_mad_u64_u32 v[20:21], s[0:1], v11, v5, 0
	v_addc_co_u32_e32 v3, vcc, v15, v25, vcc
	v_addc_co_u32_e32 v5, vcc, 0, v21, vcc
	v_add_co_u32_e32 v3, vcc, v3, v20
	v_addc_co_u32_e32 v5, vcc, 0, v5, vcc
	v_mul_lo_u32 v13, s45, v3
	v_mul_lo_u32 v15, s44, v5
	v_mad_u64_u32 v[20:21], s[0:1], s44, v3, 0
	v_add3_u32 v13, v21, v15, v13
	v_sub_u32_e32 v15, v11, v13
	v_mov_b32_e32 v17, s45
	v_sub_co_u32_e32 v9, vcc, v9, v20
	v_subb_co_u32_e64 v15, s[0:1], v15, v17, vcc
	v_subrev_co_u32_e64 v17, s[0:1], s44, v9
	v_subbrev_co_u32_e64 v15, s[0:1], 0, v15, s[0:1]
	v_cmp_le_u32_e64 s[0:1], s45, v15
	v_cndmask_b32_e64 v19, 0, -1, s[0:1]
	v_cmp_le_u32_e64 s[0:1], s44, v17
	v_cndmask_b32_e64 v17, 0, -1, s[0:1]
	v_cmp_eq_u32_e64 s[0:1], s45, v15
	v_cndmask_b32_e64 v15, v19, v17, s[0:1]
	v_add_co_u32_e64 v17, s[0:1], 2, v3
	v_subb_co_u32_e32 v11, vcc, v11, v13, vcc
	v_addc_co_u32_e64 v19, s[0:1], 0, v5, s[0:1]
	v_cmp_le_u32_e32 vcc, s45, v11
	v_add_co_u32_e64 v20, s[0:1], 1, v3
	v_cndmask_b32_e64 v13, 0, -1, vcc
	v_cmp_le_u32_e32 vcc, s44, v9
	v_addc_co_u32_e64 v21, s[0:1], 0, v5, s[0:1]
	v_cndmask_b32_e64 v9, 0, -1, vcc
	v_cmp_eq_u32_e32 vcc, s45, v11
	v_cmp_ne_u32_e64 s[0:1], 0, v15
	v_cndmask_b32_e32 v9, v13, v9, vcc
	v_cmp_ne_u32_e32 vcc, 0, v9
	v_cndmask_b32_e64 v9, v20, v17, s[0:1]
	v_cndmask_b32_e64 v15, v21, v19, s[0:1]
	v_cndmask_b32_e32 v3, v3, v9, vcc
	v_xor_b32_e32 v9, s43, v7
	v_xor_b32_e32 v7, s42, v7
	v_cndmask_b32_e32 v5, v5, v15, vcc
	v_xor_b32_e32 v3, v3, v7
	v_xor_b32_e32 v5, v5, v9
	v_sub_co_u32_e32 v20, vcc, v3, v7
	v_subb_co_u32_e32 v21, vcc, v5, v9, vcc
.LBB77_32:                              ;   in Loop: Header=BB77_18 Depth=2
	s_andn2_saveexec_b64 s[0:1], s[40:41]
	s_cbranch_execz .LBB77_34
; %bb.33:                               ;   in Loop: Header=BB77_18 Depth=2
	v_cvt_f32_u32_e32 v3, s63
	s_sub_i32 s40, 0, s63
	v_mov_b32_e32 v21, v2
	v_rcp_iflag_f32_e32 v3, v3
	v_mul_f32_e32 v3, 0x4f7ffffe, v3
	v_cvt_u32_f32_e32 v3, v3
	v_mul_lo_u32 v5, s40, v3
	v_mul_hi_u32 v5, v3, v5
	v_add_u32_e32 v3, v3, v5
	v_mul_hi_u32 v3, v18, v3
	v_mul_lo_u32 v5, v3, s63
	v_sub_u32_e32 v5, v18, v5
	v_add_u32_e32 v7, 1, v3
	v_subrev_u32_e32 v9, s63, v5
	v_cmp_le_u32_e32 vcc, s63, v5
	v_cndmask_b32_e32 v5, v5, v9, vcc
	v_cndmask_b32_e32 v3, v3, v7, vcc
	v_add_u32_e32 v7, 1, v3
	v_cmp_le_u32_e32 vcc, s63, v5
	v_cndmask_b32_e32 v20, v3, v7, vcc
.LBB77_34:                              ;   in Loop: Header=BB77_18 Depth=2
	s_or_b64 exec, exec, s[0:1]
	s_add_u32 s0, s50, s2
	v_mul_lo_u32 v3, v14, s56
	v_mul_lo_u32 v7, v16, s57
	s_load_dword s2, s[38:39], 0x6c
	s_addc_u32 s1, s51, s3
	s_load_dword s0, s[0:1], 0x0
	v_sub_u32_e32 v3, v12, v3
	v_sub_u32_e32 v7, v14, v7
	v_mul_lo_u32 v5, s58, v3
	v_mul_lo_u32 v3, s59, v3
	;; [unrolled: 1-line block ×4, first 2 shown]
	v_add3_u32 v5, v5, v10, v9
	v_add3_u32 v3, v3, v8, v7
	v_mul_lo_u32 v7, v18, s60
	v_mul_lo_u32 v9, v20, s63
	v_sub_u32_e32 v7, v16, v7
	v_sub_u32_e32 v9, v18, v9
	v_mul_lo_u32 v8, s64, v7
	s_waitcnt lgkmcnt(0)
	v_mul_lo_u32 v10, s2, v9
	v_mul_lo_u32 v7, s65, v7
	v_add3_u32 v10, v8, v5, v10
	v_mul_lo_u32 v5, s0, v9
	s_add_i32 s20, s20, -4
	s_cmp_eq_u32 s20, -1
	v_add3_u32 v8, v7, v3, v5
	s_cbranch_scc1 .LBB77_41
; %bb.35:                               ;   in Loop: Header=BB77_18 Depth=2
	v_pk_mov_b32 v[12:13], v[20:21], v[20:21] op_sel:[0,1]
	s_branch .LBB77_18
.LBB77_36:                              ;   in Loop: Header=BB77_37 Depth=2
	s_or_b64 exec, exec, s[0:1]
	s_load_dword s38, s[38:39], 0x6c
	s_add_u32 s0, s50, s2
	s_addc_u32 s1, s51, s3
	s_load_dword s2, s[0:1], 0x0
	v_mul_lo_u32 v3, v12, s57
	v_sub_u32_e32 v3, v14, v3
	s_waitcnt lgkmcnt(0)
	v_mad_u64_u32 v[10:11], s[0:1], s38, v3, v[10:11]
	s_add_i32 s20, s20, -1
	s_xor_b32 s0, s55, s56
	s_add_i32 s56, s56, 1
	s_cmp_lg_u32 s0, 2
	v_mad_u64_u32 v[8:9], s[0:1], s2, v3, v[8:9]
	s_cbranch_scc0 .LBB77_17
.LBB77_37:                              ;   Parent Loop BB77_3 Depth=1
                                        ; =>  This Inner Loop Header: Depth=2
	s_lshl_b64 s[2:3], s[20:21], 2
	s_add_u32 s38, s33, s2
	s_addc_u32 s39, s46, s3
	s_load_dword s57, s[38:39], 0x8
	v_pk_mov_b32 v[14:15], v[12:13], v[12:13] op_sel:[0,1]
                                        ; implicit-def: $vgpr12_vgpr13
	s_waitcnt lgkmcnt(0)
	s_ashr_i32 s0, s57, 31
	v_or_b32_e32 v3, s0, v15
	v_cmp_ne_u64_e32 vcc, 0, v[2:3]
	s_and_saveexec_b64 s[40:41], vcc
	s_xor_b64 s[40:41], exec, s[40:41]
	s_cbranch_execz .LBB77_39
; %bb.38:                               ;   in Loop: Header=BB77_37 Depth=2
	s_add_u32 s44, s57, s0
	s_mov_b32 s42, s0
	s_mov_b32 s43, s0
	s_addc_u32 s45, s0, s0
	s_xor_b64 s[44:45], s[44:45], s[42:43]
	v_cvt_f32_u32_e32 v3, s44
	v_cvt_f32_u32_e32 v5, s45
	s_sub_u32 s0, 0, s44
	s_subb_u32 s1, 0, s45
	v_mac_f32_e32 v3, 0x4f800000, v5
	v_rcp_f32_e32 v3, v3
	v_mul_f32_e32 v3, 0x5f7ffffc, v3
	v_mul_f32_e32 v5, 0x2f800000, v3
	v_trunc_f32_e32 v5, v5
	v_mac_f32_e32 v3, 0xcf800000, v5
	v_cvt_u32_f32_e32 v5, v5
	v_cvt_u32_f32_e32 v3, v3
	v_mul_lo_u32 v7, s0, v5
	v_mul_hi_u32 v11, s0, v3
	v_mul_lo_u32 v9, s1, v3
	v_add_u32_e32 v7, v11, v7
	v_mul_lo_u32 v12, s0, v3
	v_add_u32_e32 v7, v7, v9
	v_mul_lo_u32 v11, v3, v7
	v_mul_hi_u32 v13, v3, v12
	v_mul_hi_u32 v9, v3, v7
	v_add_co_u32_e32 v11, vcc, v13, v11
	v_addc_co_u32_e32 v9, vcc, 0, v9, vcc
	v_mul_hi_u32 v16, v5, v12
	v_mul_lo_u32 v12, v5, v12
	v_add_co_u32_e32 v11, vcc, v11, v12
	v_mul_hi_u32 v13, v5, v7
	v_addc_co_u32_e32 v9, vcc, v9, v16, vcc
	v_addc_co_u32_e32 v11, vcc, 0, v13, vcc
	v_mul_lo_u32 v7, v5, v7
	v_add_co_u32_e32 v7, vcc, v9, v7
	v_addc_co_u32_e32 v9, vcc, 0, v11, vcc
	v_add_co_u32_e32 v3, vcc, v3, v7
	v_addc_co_u32_e32 v5, vcc, v5, v9, vcc
	v_mul_lo_u32 v7, s0, v5
	v_mul_hi_u32 v9, s0, v3
	v_add_u32_e32 v7, v9, v7
	v_mul_lo_u32 v9, s1, v3
	v_add_u32_e32 v7, v7, v9
	v_mul_lo_u32 v11, s0, v3
	v_mul_hi_u32 v12, v5, v11
	v_mul_lo_u32 v13, v5, v11
	v_mul_lo_u32 v17, v3, v7
	v_mul_hi_u32 v11, v3, v11
	v_mul_hi_u32 v16, v3, v7
	v_add_co_u32_e32 v11, vcc, v11, v17
	v_addc_co_u32_e32 v16, vcc, 0, v16, vcc
	v_add_co_u32_e32 v11, vcc, v11, v13
	v_mul_hi_u32 v9, v5, v7
	v_addc_co_u32_e32 v11, vcc, v16, v12, vcc
	v_addc_co_u32_e32 v9, vcc, 0, v9, vcc
	v_mul_lo_u32 v7, v5, v7
	v_add_co_u32_e32 v7, vcc, v11, v7
	v_addc_co_u32_e32 v9, vcc, 0, v9, vcc
	v_add_co_u32_e32 v3, vcc, v3, v7
	v_addc_co_u32_e32 v5, vcc, v5, v9, vcc
	v_ashrrev_i32_e32 v7, 31, v15
	v_add_co_u32_e32 v9, vcc, v14, v7
	v_xor_b32_e32 v9, v9, v7
	v_addc_co_u32_e32 v11, vcc, v15, v7, vcc
	v_mad_u64_u32 v[12:13], s[0:1], v9, v5, 0
	v_mul_hi_u32 v15, v9, v3
	v_xor_b32_e32 v11, v11, v7
	v_add_co_u32_e32 v15, vcc, v15, v12
	v_addc_co_u32_e32 v18, vcc, 0, v13, vcc
	v_mad_u64_u32 v[16:17], s[0:1], v11, v3, 0
	v_add_co_u32_e32 v3, vcc, v15, v16
	v_mad_u64_u32 v[12:13], s[0:1], v11, v5, 0
	v_addc_co_u32_e32 v3, vcc, v18, v17, vcc
	v_addc_co_u32_e32 v5, vcc, 0, v13, vcc
	v_add_co_u32_e32 v3, vcc, v3, v12
	v_addc_co_u32_e32 v5, vcc, 0, v5, vcc
	v_mul_lo_u32 v15, s45, v3
	v_mul_lo_u32 v16, s44, v5
	v_mad_u64_u32 v[12:13], s[0:1], s44, v3, 0
	v_add3_u32 v13, v13, v16, v15
	v_sub_u32_e32 v15, v11, v13
	v_mov_b32_e32 v16, s45
	v_sub_co_u32_e32 v9, vcc, v9, v12
	v_subb_co_u32_e64 v12, s[0:1], v15, v16, vcc
	v_subrev_co_u32_e64 v15, s[0:1], s44, v9
	v_subbrev_co_u32_e64 v12, s[0:1], 0, v12, s[0:1]
	v_cmp_le_u32_e64 s[0:1], s45, v12
	v_cndmask_b32_e64 v16, 0, -1, s[0:1]
	v_cmp_le_u32_e64 s[0:1], s44, v15
	v_cndmask_b32_e64 v15, 0, -1, s[0:1]
	v_cmp_eq_u32_e64 s[0:1], s45, v12
	v_cndmask_b32_e64 v12, v16, v15, s[0:1]
	v_add_co_u32_e64 v15, s[0:1], 2, v3
	v_subb_co_u32_e32 v11, vcc, v11, v13, vcc
	v_addc_co_u32_e64 v16, s[0:1], 0, v5, s[0:1]
	v_cmp_le_u32_e32 vcc, s45, v11
	v_add_co_u32_e64 v17, s[0:1], 1, v3
	v_cndmask_b32_e64 v13, 0, -1, vcc
	v_cmp_le_u32_e32 vcc, s44, v9
	v_addc_co_u32_e64 v18, s[0:1], 0, v5, s[0:1]
	v_cndmask_b32_e64 v9, 0, -1, vcc
	v_cmp_eq_u32_e32 vcc, s45, v11
	v_cmp_ne_u32_e64 s[0:1], 0, v12
	v_cndmask_b32_e32 v9, v13, v9, vcc
	v_cmp_ne_u32_e32 vcc, 0, v9
	v_cndmask_b32_e64 v9, v17, v15, s[0:1]
	v_cndmask_b32_e64 v12, v18, v16, s[0:1]
	v_cndmask_b32_e32 v3, v3, v9, vcc
	v_xor_b32_e32 v9, s43, v7
	v_xor_b32_e32 v7, s42, v7
	v_cndmask_b32_e32 v5, v5, v12, vcc
	v_xor_b32_e32 v3, v3, v7
	v_xor_b32_e32 v5, v5, v9
	v_sub_co_u32_e32 v12, vcc, v3, v7
	v_subb_co_u32_e32 v13, vcc, v5, v9, vcc
.LBB77_39:                              ;   in Loop: Header=BB77_37 Depth=2
	s_andn2_saveexec_b64 s[0:1], s[40:41]
	s_cbranch_execz .LBB77_36
; %bb.40:                               ;   in Loop: Header=BB77_37 Depth=2
	v_cvt_f32_u32_e32 v3, s57
	s_sub_i32 s40, 0, s57
	v_mov_b32_e32 v13, v2
	v_rcp_iflag_f32_e32 v3, v3
	v_mul_f32_e32 v3, 0x4f7ffffe, v3
	v_cvt_u32_f32_e32 v3, v3
	v_mul_lo_u32 v5, s40, v3
	v_mul_hi_u32 v5, v3, v5
	v_add_u32_e32 v3, v3, v5
	v_mul_hi_u32 v3, v14, v3
	v_mul_lo_u32 v5, v3, s57
	v_sub_u32_e32 v5, v14, v5
	v_add_u32_e32 v7, 1, v3
	v_subrev_u32_e32 v9, s57, v5
	v_cmp_le_u32_e32 vcc, s57, v5
	v_cndmask_b32_e32 v5, v5, v9, vcc
	v_cndmask_b32_e32 v3, v3, v7, vcc
	v_add_u32_e32 v7, 1, v3
	v_cmp_le_u32_e32 vcc, s57, v5
	v_cndmask_b32_e32 v12, v3, v7, vcc
	s_branch .LBB77_36
.LBB77_41:                              ;   in Loop: Header=BB77_3 Depth=1
	v_mov_b32_e32 v3, v4
	v_sub_u32_e32 v4, v4, v6
	v_add_u32_e32 v4, 2, v4
	v_ashrrev_i32_e32 v5, 31, v4
	v_cmp_le_i64_e32 vcc, s[8:9], v[4:5]
                                        ; implicit-def: $vgpr7
                                        ; implicit-def: $vgpr11
	s_and_saveexec_b64 s[0:1], vcc
	s_xor_b64 s[0:1], exec, s[0:1]
	s_cbranch_execnz .LBB77_44
; %bb.42:                               ;   in Loop: Header=BB77_3 Depth=1
	s_andn2_saveexec_b64 s[0:1], s[0:1]
	s_cbranch_execnz .LBB77_49
.LBB77_43:                              ;   in Loop: Header=BB77_3 Depth=1
	s_or_b64 exec, exec, s[0:1]
	v_cmp_gt_i32_e32 vcc, s13, v3
	s_and_saveexec_b64 s[0:1], vcc
	s_cbranch_execz .LBB77_2
	s_branch .LBB77_50
.LBB77_44:                              ;   in Loop: Header=BB77_3 Depth=1
	v_cmp_gt_i32_e32 vcc, s13, v3
	v_mov_b32_e32 v7, 0
	v_mov_b32_e32 v9, 0
	s_and_saveexec_b64 s[2:3], vcc
	s_cbranch_execz .LBB77_48
; %bb.45:                               ;   in Loop: Header=BB77_3 Depth=1
	v_ashrrev_i32_e32 v11, 31, v10
	v_lshlrev_b64 v[4:5], 2, v[10:11]
	v_mov_b32_e32 v7, s7
	v_add_co_u32_e32 v4, vcc, s6, v4
	v_addc_co_u32_e32 v5, vcc, v7, v5, vcc
	global_load_dword v7, v[4:5], off
	v_add_u32_e32 v9, 1, v3
	v_cmp_gt_i32_e32 vcc, s13, v9
	v_mov_b32_e32 v9, 0
	s_and_saveexec_b64 s[38:39], vcc
	s_xor_b64 s[38:39], exec, s[38:39]
	s_cbranch_execz .LBB77_47
; %bb.46:                               ;   in Loop: Header=BB77_3 Depth=1
	v_mov_b32_e32 v9, s35
	v_add_co_u32_e32 v4, vcc, s34, v4
	v_addc_co_u32_e32 v5, vcc, v5, v9, vcc
	global_load_dword v9, v[4:5], off
.LBB77_47:                              ;   in Loop: Header=BB77_3 Depth=1
	s_or_b64 exec, exec, s[38:39]
.LBB77_48:                              ;   in Loop: Header=BB77_3 Depth=1
	s_or_b64 exec, exec, s[2:3]
	v_sub_u32_e32 v4, v3, v6
	v_add_u32_e32 v12, 1, v4
	v_ashrrev_i32_e32 v5, 31, v4
	v_ashrrev_i32_e32 v13, 31, v12
	v_cmp_le_i64_e32 vcc, s[22:23], v[4:5]
	s_waitcnt vmcnt(0)
	v_cndmask_b32_e32 v11, 0, v7, vcc
	v_cmp_le_i64_e32 vcc, s[24:25], v[12:13]
	v_cndmask_b32_e32 v7, 0, v9, vcc
	s_andn2_saveexec_b64 s[0:1], s[0:1]
	s_cbranch_execz .LBB77_43
.LBB77_49:                              ;   in Loop: Header=BB77_3 Depth=1
	v_mov_b32_e32 v11, 0
	v_mov_b32_e32 v7, 0
	s_or_b64 exec, exec, s[0:1]
	v_cmp_gt_i32_e32 vcc, s13, v3
	s_and_saveexec_b64 s[0:1], vcc
	s_cbranch_execz .LBB77_2
.LBB77_50:                              ;   in Loop: Header=BB77_3 Depth=1
	v_ashrrev_i32_e32 v9, 31, v8
	v_lshlrev_b64 v[4:5], 2, v[8:9]
	v_mov_b32_e32 v6, s5
	v_add_co_u32_e32 v4, vcc, s4, v4
	v_addc_co_u32_e32 v5, vcc, v6, v5, vcc
	v_add_u32_e32 v3, 1, v3
	v_cmp_gt_i32_e32 vcc, s13, v3
	global_store_dword v[4:5], v11, off
	s_and_saveexec_b64 s[2:3], vcc
	s_xor_b64 s[2:3], exec, s[2:3]
	s_cbranch_execz .LBB77_2
; %bb.51:                               ;   in Loop: Header=BB77_3 Depth=1
	v_mov_b32_e32 v3, s37
	v_add_co_u32_e32 v4, vcc, s36, v4
	v_addc_co_u32_e32 v5, vcc, v5, v3, vcc
	global_store_dword v[4:5], v7, off
	s_branch .LBB77_2
.LBB77_52:
	s_endpgm
	.section	.rodata,"a",@progbits
	.p2align	6, 0x0
	.amdhsa_kernel _ZN2at6native16triu_tril_kernelIfiLb1ELi2ELb0EEEvNS_4cuda6detail10TensorInfoIT_T0_EENS4_IKS5_S6_EEllS6_
		.amdhsa_group_segment_fixed_size 0
		.amdhsa_private_segment_fixed_size 0
		.amdhsa_kernarg_size 712
		.amdhsa_user_sgpr_count 6
		.amdhsa_user_sgpr_private_segment_buffer 1
		.amdhsa_user_sgpr_dispatch_ptr 0
		.amdhsa_user_sgpr_queue_ptr 0
		.amdhsa_user_sgpr_kernarg_segment_ptr 1
		.amdhsa_user_sgpr_dispatch_id 0
		.amdhsa_user_sgpr_flat_scratch_init 0
		.amdhsa_user_sgpr_kernarg_preload_length 0
		.amdhsa_user_sgpr_kernarg_preload_offset 0
		.amdhsa_user_sgpr_private_segment_size 0
		.amdhsa_uses_dynamic_stack 0
		.amdhsa_system_sgpr_private_segment_wavefront_offset 0
		.amdhsa_system_sgpr_workgroup_id_x 1
		.amdhsa_system_sgpr_workgroup_id_y 0
		.amdhsa_system_sgpr_workgroup_id_z 0
		.amdhsa_system_sgpr_workgroup_info 0
		.amdhsa_system_vgpr_workitem_id 0
		.amdhsa_next_free_vgpr 26
		.amdhsa_next_free_sgpr 66
		.amdhsa_accum_offset 28
		.amdhsa_reserve_vcc 1
		.amdhsa_reserve_flat_scratch 0
		.amdhsa_float_round_mode_32 0
		.amdhsa_float_round_mode_16_64 0
		.amdhsa_float_denorm_mode_32 3
		.amdhsa_float_denorm_mode_16_64 3
		.amdhsa_dx10_clamp 1
		.amdhsa_ieee_mode 1
		.amdhsa_fp16_overflow 0
		.amdhsa_tg_split 0
		.amdhsa_exception_fp_ieee_invalid_op 0
		.amdhsa_exception_fp_denorm_src 0
		.amdhsa_exception_fp_ieee_div_zero 0
		.amdhsa_exception_fp_ieee_overflow 0
		.amdhsa_exception_fp_ieee_underflow 0
		.amdhsa_exception_fp_ieee_inexact 0
		.amdhsa_exception_int_div_zero 0
	.end_amdhsa_kernel
	.section	.text._ZN2at6native16triu_tril_kernelIfiLb1ELi2ELb0EEEvNS_4cuda6detail10TensorInfoIT_T0_EENS4_IKS5_S6_EEllS6_,"axG",@progbits,_ZN2at6native16triu_tril_kernelIfiLb1ELi2ELb0EEEvNS_4cuda6detail10TensorInfoIT_T0_EENS4_IKS5_S6_EEllS6_,comdat
.Lfunc_end77:
	.size	_ZN2at6native16triu_tril_kernelIfiLb1ELi2ELb0EEEvNS_4cuda6detail10TensorInfoIT_T0_EENS4_IKS5_S6_EEllS6_, .Lfunc_end77-_ZN2at6native16triu_tril_kernelIfiLb1ELi2ELb0EEEvNS_4cuda6detail10TensorInfoIT_T0_EENS4_IKS5_S6_EEllS6_
                                        ; -- End function
	.section	.AMDGPU.csdata,"",@progbits
; Kernel info:
; codeLenInByte = 7656
; NumSgprs: 70
; NumVgprs: 26
; NumAgprs: 0
; TotalNumVgprs: 26
; ScratchSize: 0
; MemoryBound: 0
; FloatMode: 240
; IeeeMode: 1
; LDSByteSize: 0 bytes/workgroup (compile time only)
; SGPRBlocks: 8
; VGPRBlocks: 3
; NumSGPRsForWavesPerEU: 70
; NumVGPRsForWavesPerEU: 26
; AccumOffset: 28
; Occupancy: 8
; WaveLimiterHint : 0
; COMPUTE_PGM_RSRC2:SCRATCH_EN: 0
; COMPUTE_PGM_RSRC2:USER_SGPR: 6
; COMPUTE_PGM_RSRC2:TRAP_HANDLER: 0
; COMPUTE_PGM_RSRC2:TGID_X_EN: 1
; COMPUTE_PGM_RSRC2:TGID_Y_EN: 0
; COMPUTE_PGM_RSRC2:TGID_Z_EN: 0
; COMPUTE_PGM_RSRC2:TIDIG_COMP_CNT: 0
; COMPUTE_PGM_RSRC3_GFX90A:ACCUM_OFFSET: 6
; COMPUTE_PGM_RSRC3_GFX90A:TG_SPLIT: 0
	.section	.text._ZN2at6native16triu_tril_kernelIflLb1ELi2ELb1EEEvNS_4cuda6detail10TensorInfoIT_T0_EENS4_IKS5_S6_EEllS6_,"axG",@progbits,_ZN2at6native16triu_tril_kernelIflLb1ELi2ELb1EEEvNS_4cuda6detail10TensorInfoIT_T0_EENS4_IKS5_S6_EEllS6_,comdat
	.protected	_ZN2at6native16triu_tril_kernelIflLb1ELi2ELb1EEEvNS_4cuda6detail10TensorInfoIT_T0_EENS4_IKS5_S6_EEllS6_ ; -- Begin function _ZN2at6native16triu_tril_kernelIflLb1ELi2ELb1EEEvNS_4cuda6detail10TensorInfoIT_T0_EENS4_IKS5_S6_EEllS6_
	.globl	_ZN2at6native16triu_tril_kernelIflLb1ELi2ELb1EEEvNS_4cuda6detail10TensorInfoIT_T0_EENS4_IKS5_S6_EEllS6_
	.p2align	8
	.type	_ZN2at6native16triu_tril_kernelIflLb1ELi2ELb1EEEvNS_4cuda6detail10TensorInfoIT_T0_EENS4_IKS5_S6_EEllS6_,@function
_ZN2at6native16triu_tril_kernelIflLb1ELi2ELb1EEEvNS_4cuda6detail10TensorInfoIT_T0_EENS4_IKS5_S6_EEllS6_: ; @_ZN2at6native16triu_tril_kernelIflLb1ELi2ELb1EEEvNS_4cuda6detail10TensorInfoIT_T0_EENS4_IKS5_S6_EEllS6_
; %bb.0:
	s_load_dword s2, s[4:5], 0x364
	s_load_dwordx4 s[8:11], s[4:5], 0x340
	s_add_u32 s0, s4, 0x358
	v_mov_b32_e32 v2, 0
	s_addc_u32 s1, s5, 0
	s_waitcnt lgkmcnt(0)
	s_and_b32 s12, s2, 0xffff
	v_mov_b32_e32 v1, v2
	v_mov_b32_e32 v3, s6
	v_mad_u64_u32 v[0:1], s[2:3], s12, v3, v[0:1]
	v_lshlrev_b64 v[0:1], 1, v[0:1]
	v_cmp_gt_i64_e32 vcc, s[10:11], v[0:1]
	s_and_saveexec_b64 s[2:3], vcc
	s_cbranch_execz .LBB78_21
; %bb.1:
	s_load_dword s13, s[0:1], 0x0
	s_load_dword s18, s[4:5], 0x338
	s_load_dwordx2 s[2:3], s[4:5], 0x350
	s_load_dwordx2 s[6:7], s[4:5], 0x0
	s_mov_b32 s48, 0
	s_waitcnt lgkmcnt(0)
	s_mul_i32 s20, s13, s12
	s_ashr_i32 s19, s18, 31
	s_add_u32 s24, s4, 0x1a8
	s_addc_u32 s25, s5, 0
	s_lshl_b64 s[0:1], s[18:19], 3
	s_add_u32 s16, s0, -16
	s_addc_u32 s17, s1, -1
	s_add_u32 s14, s24, s16
	s_addc_u32 s15, s25, s17
	v_cmp_gt_i64_e64 s[12:13], s[18:19], 2
	s_add_u32 s19, s0, -8
	s_addc_u32 s21, s1, -1
	s_add_u32 s26, s4, 0xd0
	s_addc_u32 s27, s5, 0
	s_add_u32 s4, s26, s19
	v_cvt_f32_u32_e32 v3, s2
	s_addc_u32 s5, s27, s21
	s_add_u32 s16, s26, s16
	s_addc_u32 s17, s27, s17
	s_add_i32 s0, s18, -3
	s_ashr_i32 s1, s0, 31
	v_rcp_iflag_f32_e32 v3, v3
	s_add_u32 s18, s24, s19
	s_addc_u32 s19, s25, s21
	s_lshl_b32 s33, s20, 1
	s_lshl_b64 s[22:23], s[0:1], 3
	s_add_u32 s20, s26, s22
	s_load_dwordx2 s[14:15], s[14:15], 0x0
	s_addc_u32 s21, s27, s23
	v_mul_f32_e32 v3, 0x4f7ffffe, v3
	s_add_u32 s22, s24, s22
	v_cvt_u32_f32_e32 v12, v3
	s_addc_u32 s23, s25, s23
	s_add_u32 s24, s0, 1
	s_addc_u32 s25, s1, 0
	s_mov_b64 s[26:27], 0
	s_branch .LBB78_3
.LBB78_2:                               ;   in Loop: Header=BB78_3 Depth=1
	s_or_b64 exec, exec, s[28:29]
	v_mov_b32_e32 v3, s48
	v_add_co_u32_e32 v0, vcc, s33, v0
	v_addc_co_u32_e32 v1, vcc, v1, v3, vcc
	v_cmp_le_i64_e32 vcc, s[10:11], v[0:1]
	s_or_b64 s[26:27], vcc, s[26:27]
	s_andn2_b64 exec, exec, s[26:27]
	s_cbranch_execz .LBB78_21
.LBB78_3:                               ; =>This Loop Header: Depth=1
                                        ;     Child Loop BB78_17 Depth 2
	v_or_b32_e32 v3, s3, v1
	v_cmp_ne_u64_e32 vcc, 0, v[2:3]
                                        ; implicit-def: $vgpr8_vgpr9
	s_and_saveexec_b64 s[0:1], vcc
	s_xor_b64 s[28:29], exec, s[0:1]
	s_cbranch_execz .LBB78_5
; %bb.4:                                ;   in Loop: Header=BB78_3 Depth=1
	s_ashr_i32 s30, s3, 31
	s_add_u32 s0, s2, s30
	s_mov_b32 s31, s30
	s_addc_u32 s1, s3, s30
	s_xor_b64 s[34:35], s[0:1], s[30:31]
	v_cvt_f32_u32_e32 v3, s34
	v_cvt_f32_u32_e32 v4, s35
	s_sub_u32 s0, 0, s34
	s_subb_u32 s1, 0, s35
	v_mac_f32_e32 v3, 0x4f800000, v4
	v_rcp_f32_e32 v3, v3
	v_mul_f32_e32 v3, 0x5f7ffffc, v3
	v_mul_f32_e32 v4, 0x2f800000, v3
	v_trunc_f32_e32 v4, v4
	v_mac_f32_e32 v3, 0xcf800000, v4
	v_cvt_u32_f32_e32 v4, v4
	v_cvt_u32_f32_e32 v3, v3
	v_mul_lo_u32 v5, s0, v4
	v_mul_hi_u32 v7, s0, v3
	v_mul_lo_u32 v6, s1, v3
	v_add_u32_e32 v5, v7, v5
	v_mul_lo_u32 v8, s0, v3
	v_add_u32_e32 v5, v5, v6
	v_mul_lo_u32 v7, v3, v5
	v_mul_hi_u32 v9, v3, v8
	v_mul_hi_u32 v6, v3, v5
	v_add_co_u32_e32 v7, vcc, v9, v7
	v_addc_co_u32_e32 v6, vcc, 0, v6, vcc
	v_mul_hi_u32 v10, v4, v8
	v_mul_lo_u32 v8, v4, v8
	v_add_co_u32_e32 v7, vcc, v7, v8
	v_mul_hi_u32 v9, v4, v5
	v_addc_co_u32_e32 v6, vcc, v6, v10, vcc
	v_addc_co_u32_e32 v7, vcc, 0, v9, vcc
	v_mul_lo_u32 v5, v4, v5
	v_add_co_u32_e32 v5, vcc, v6, v5
	v_addc_co_u32_e32 v6, vcc, 0, v7, vcc
	v_add_co_u32_e32 v3, vcc, v3, v5
	v_addc_co_u32_e32 v4, vcc, v4, v6, vcc
	v_mul_lo_u32 v5, s0, v4
	v_mul_hi_u32 v6, s0, v3
	v_add_u32_e32 v5, v6, v5
	v_mul_lo_u32 v6, s1, v3
	v_add_u32_e32 v5, v5, v6
	v_mul_lo_u32 v7, s0, v3
	v_mul_hi_u32 v8, v4, v7
	v_mul_lo_u32 v9, v4, v7
	v_mul_lo_u32 v11, v3, v5
	v_mul_hi_u32 v7, v3, v7
	v_mul_hi_u32 v10, v3, v5
	v_add_co_u32_e32 v7, vcc, v7, v11
	v_addc_co_u32_e32 v10, vcc, 0, v10, vcc
	v_add_co_u32_e32 v7, vcc, v7, v9
	v_mul_hi_u32 v6, v4, v5
	v_addc_co_u32_e32 v7, vcc, v10, v8, vcc
	v_addc_co_u32_e32 v6, vcc, 0, v6, vcc
	v_mul_lo_u32 v5, v4, v5
	v_add_co_u32_e32 v5, vcc, v7, v5
	v_addc_co_u32_e32 v6, vcc, 0, v6, vcc
	v_add_co_u32_e32 v3, vcc, v3, v5
	v_addc_co_u32_e32 v6, vcc, v4, v6, vcc
	v_ashrrev_i32_e32 v8, 31, v1
	v_add_co_u32_e32 v4, vcc, v0, v8
	v_addc_co_u32_e32 v5, vcc, v1, v8, vcc
	v_xor_b32_e32 v10, v4, v8
	v_xor_b32_e32 v9, v5, v8
	v_mad_u64_u32 v[4:5], s[0:1], v10, v6, 0
	v_mul_hi_u32 v7, v10, v3
	v_add_co_u32_e32 v11, vcc, v7, v4
	v_addc_co_u32_e32 v13, vcc, 0, v5, vcc
	v_mad_u64_u32 v[4:5], s[0:1], v9, v6, 0
	v_mad_u64_u32 v[6:7], s[0:1], v9, v3, 0
	v_add_co_u32_e32 v3, vcc, v11, v6
	v_addc_co_u32_e32 v3, vcc, v13, v7, vcc
	v_addc_co_u32_e32 v5, vcc, 0, v5, vcc
	v_add_co_u32_e32 v3, vcc, v3, v4
	v_addc_co_u32_e32 v6, vcc, 0, v5, vcc
	v_mul_lo_u32 v7, s35, v3
	v_mul_lo_u32 v11, s34, v6
	v_mad_u64_u32 v[4:5], s[0:1], s34, v3, 0
	v_add3_u32 v5, v5, v11, v7
	v_sub_u32_e32 v7, v9, v5
	v_mov_b32_e32 v11, s35
	v_sub_co_u32_e32 v4, vcc, v10, v4
	v_subb_co_u32_e64 v7, s[0:1], v7, v11, vcc
	v_subrev_co_u32_e64 v10, s[0:1], s34, v4
	v_subbrev_co_u32_e64 v7, s[0:1], 0, v7, s[0:1]
	v_cmp_le_u32_e64 s[0:1], s35, v7
	v_cndmask_b32_e64 v11, 0, -1, s[0:1]
	v_cmp_le_u32_e64 s[0:1], s34, v10
	v_cndmask_b32_e64 v10, 0, -1, s[0:1]
	v_cmp_eq_u32_e64 s[0:1], s35, v7
	v_cndmask_b32_e64 v7, v11, v10, s[0:1]
	v_add_co_u32_e64 v10, s[0:1], 2, v3
	v_subb_co_u32_e32 v5, vcc, v9, v5, vcc
	v_addc_co_u32_e64 v11, s[0:1], 0, v6, s[0:1]
	v_cmp_le_u32_e32 vcc, s35, v5
	v_add_co_u32_e64 v13, s[0:1], 1, v3
	v_cndmask_b32_e64 v9, 0, -1, vcc
	v_cmp_le_u32_e32 vcc, s34, v4
	v_addc_co_u32_e64 v14, s[0:1], 0, v6, s[0:1]
	v_cndmask_b32_e64 v4, 0, -1, vcc
	v_cmp_eq_u32_e32 vcc, s35, v5
	v_cmp_ne_u32_e64 s[0:1], 0, v7
	v_cndmask_b32_e32 v4, v9, v4, vcc
	v_cmp_ne_u32_e32 vcc, 0, v4
	v_cndmask_b32_e64 v5, v13, v10, s[0:1]
	v_cndmask_b32_e64 v7, v14, v11, s[0:1]
	v_cndmask_b32_e32 v3, v3, v5, vcc
	v_xor_b32_e32 v5, s30, v8
	v_cndmask_b32_e32 v4, v6, v7, vcc
	v_xor_b32_e32 v3, v3, v5
	v_xor_b32_e32 v4, v4, v5
	v_sub_co_u32_e32 v8, vcc, v3, v5
	v_subb_co_u32_e32 v9, vcc, v4, v5, vcc
.LBB78_5:                               ;   in Loop: Header=BB78_3 Depth=1
	s_andn2_saveexec_b64 s[0:1], s[28:29]
	s_cbranch_execz .LBB78_7
; %bb.6:                                ;   in Loop: Header=BB78_3 Depth=1
	s_sub_i32 s28, 0, s2
	v_mul_lo_u32 v3, s28, v12
	v_mul_hi_u32 v3, v12, v3
	v_add_u32_e32 v3, v12, v3
	v_mul_hi_u32 v3, v0, v3
	v_mul_lo_u32 v4, v3, s2
	v_sub_u32_e32 v4, v0, v4
	v_subrev_u32_e32 v5, s2, v4
	v_cmp_le_u32_e32 vcc, s2, v4
	v_cndmask_b32_e32 v4, v4, v5, vcc
	v_add_u32_e32 v5, 1, v3
	v_cndmask_b32_e32 v3, v3, v5, vcc
	v_add_u32_e32 v5, 1, v3
	v_cmp_le_u32_e32 vcc, s2, v4
	v_cndmask_b32_e32 v8, v3, v5, vcc
	v_mov_b32_e32 v9, v2
.LBB78_7:                               ;   in Loop: Header=BB78_3 Depth=1
	s_or_b64 exec, exec, s[0:1]
	s_waitcnt lgkmcnt(0)
	v_or_b32_e32 v3, s15, v9
	v_cmp_ne_u64_e32 vcc, 0, v[2:3]
                                        ; implicit-def: $vgpr6_vgpr7
	s_and_saveexec_b64 s[0:1], vcc
	s_xor_b64 s[28:29], exec, s[0:1]
	s_cbranch_execz .LBB78_9
; %bb.8:                                ;   in Loop: Header=BB78_3 Depth=1
	s_ashr_i32 s30, s15, 31
	s_add_u32 s0, s14, s30
	s_mov_b32 s31, s30
	s_addc_u32 s1, s15, s30
	s_xor_b64 s[34:35], s[0:1], s[30:31]
	v_cvt_f32_u32_e32 v3, s34
	v_cvt_f32_u32_e32 v4, s35
	s_sub_u32 s0, 0, s34
	s_subb_u32 s1, 0, s35
	v_mac_f32_e32 v3, 0x4f800000, v4
	v_rcp_f32_e32 v3, v3
	v_mul_f32_e32 v3, 0x5f7ffffc, v3
	v_mul_f32_e32 v4, 0x2f800000, v3
	v_trunc_f32_e32 v4, v4
	v_mac_f32_e32 v3, 0xcf800000, v4
	v_cvt_u32_f32_e32 v4, v4
	v_cvt_u32_f32_e32 v3, v3
	v_mul_lo_u32 v5, s0, v4
	v_mul_hi_u32 v7, s0, v3
	v_mul_lo_u32 v6, s1, v3
	v_add_u32_e32 v5, v7, v5
	v_mul_lo_u32 v10, s0, v3
	v_add_u32_e32 v5, v5, v6
	v_mul_lo_u32 v7, v3, v5
	v_mul_hi_u32 v11, v3, v10
	v_mul_hi_u32 v6, v3, v5
	v_add_co_u32_e32 v7, vcc, v11, v7
	v_addc_co_u32_e32 v6, vcc, 0, v6, vcc
	v_mul_hi_u32 v13, v4, v10
	v_mul_lo_u32 v10, v4, v10
	v_add_co_u32_e32 v7, vcc, v7, v10
	v_mul_hi_u32 v11, v4, v5
	v_addc_co_u32_e32 v6, vcc, v6, v13, vcc
	v_addc_co_u32_e32 v7, vcc, 0, v11, vcc
	v_mul_lo_u32 v5, v4, v5
	v_add_co_u32_e32 v5, vcc, v6, v5
	v_addc_co_u32_e32 v6, vcc, 0, v7, vcc
	v_add_co_u32_e32 v3, vcc, v3, v5
	v_addc_co_u32_e32 v4, vcc, v4, v6, vcc
	v_mul_lo_u32 v5, s0, v4
	v_mul_hi_u32 v6, s0, v3
	v_add_u32_e32 v5, v6, v5
	v_mul_lo_u32 v6, s1, v3
	v_add_u32_e32 v5, v5, v6
	v_mul_lo_u32 v7, s0, v3
	v_mul_hi_u32 v10, v4, v7
	v_mul_lo_u32 v11, v4, v7
	v_mul_lo_u32 v14, v3, v5
	v_mul_hi_u32 v7, v3, v7
	v_mul_hi_u32 v13, v3, v5
	v_add_co_u32_e32 v7, vcc, v7, v14
	v_addc_co_u32_e32 v13, vcc, 0, v13, vcc
	v_add_co_u32_e32 v7, vcc, v7, v11
	v_mul_hi_u32 v6, v4, v5
	v_addc_co_u32_e32 v7, vcc, v13, v10, vcc
	v_addc_co_u32_e32 v6, vcc, 0, v6, vcc
	v_mul_lo_u32 v5, v4, v5
	v_add_co_u32_e32 v5, vcc, v7, v5
	v_addc_co_u32_e32 v6, vcc, 0, v6, vcc
	v_add_co_u32_e32 v3, vcc, v3, v5
	v_addc_co_u32_e32 v6, vcc, v4, v6, vcc
	v_ashrrev_i32_e32 v10, 31, v9
	v_add_co_u32_e32 v4, vcc, v8, v10
	v_addc_co_u32_e32 v5, vcc, v9, v10, vcc
	v_xor_b32_e32 v13, v4, v10
	v_xor_b32_e32 v11, v5, v10
	v_mad_u64_u32 v[4:5], s[0:1], v13, v6, 0
	v_mul_hi_u32 v7, v13, v3
	v_add_co_u32_e32 v14, vcc, v7, v4
	v_addc_co_u32_e32 v15, vcc, 0, v5, vcc
	v_mad_u64_u32 v[4:5], s[0:1], v11, v6, 0
	v_mad_u64_u32 v[6:7], s[0:1], v11, v3, 0
	v_add_co_u32_e32 v3, vcc, v14, v6
	v_addc_co_u32_e32 v3, vcc, v15, v7, vcc
	v_addc_co_u32_e32 v5, vcc, 0, v5, vcc
	v_add_co_u32_e32 v3, vcc, v3, v4
	v_addc_co_u32_e32 v6, vcc, 0, v5, vcc
	v_mul_lo_u32 v7, s35, v3
	v_mul_lo_u32 v14, s34, v6
	v_mad_u64_u32 v[4:5], s[0:1], s34, v3, 0
	v_add3_u32 v5, v5, v14, v7
	v_sub_u32_e32 v7, v11, v5
	v_mov_b32_e32 v14, s35
	v_sub_co_u32_e32 v4, vcc, v13, v4
	v_subb_co_u32_e64 v7, s[0:1], v7, v14, vcc
	v_subrev_co_u32_e64 v13, s[0:1], s34, v4
	v_subbrev_co_u32_e64 v7, s[0:1], 0, v7, s[0:1]
	v_cmp_le_u32_e64 s[0:1], s35, v7
	v_cndmask_b32_e64 v14, 0, -1, s[0:1]
	v_cmp_le_u32_e64 s[0:1], s34, v13
	v_cndmask_b32_e64 v13, 0, -1, s[0:1]
	v_cmp_eq_u32_e64 s[0:1], s35, v7
	v_cndmask_b32_e64 v7, v14, v13, s[0:1]
	v_add_co_u32_e64 v13, s[0:1], 2, v3
	v_subb_co_u32_e32 v5, vcc, v11, v5, vcc
	v_addc_co_u32_e64 v14, s[0:1], 0, v6, s[0:1]
	v_cmp_le_u32_e32 vcc, s35, v5
	v_add_co_u32_e64 v15, s[0:1], 1, v3
	v_cndmask_b32_e64 v11, 0, -1, vcc
	v_cmp_le_u32_e32 vcc, s34, v4
	v_addc_co_u32_e64 v16, s[0:1], 0, v6, s[0:1]
	v_cndmask_b32_e64 v4, 0, -1, vcc
	v_cmp_eq_u32_e32 vcc, s35, v5
	v_cmp_ne_u32_e64 s[0:1], 0, v7
	v_cndmask_b32_e32 v4, v11, v4, vcc
	v_cmp_ne_u32_e32 vcc, 0, v4
	v_cndmask_b32_e64 v5, v15, v13, s[0:1]
	v_cndmask_b32_e64 v7, v16, v14, s[0:1]
	v_cndmask_b32_e32 v3, v3, v5, vcc
	v_xor_b32_e32 v5, s30, v10
	v_cndmask_b32_e32 v4, v6, v7, vcc
	v_xor_b32_e32 v3, v3, v5
	v_xor_b32_e32 v4, v4, v5
	v_sub_co_u32_e32 v6, vcc, v3, v5
	v_subb_co_u32_e32 v7, vcc, v4, v5, vcc
.LBB78_9:                               ;   in Loop: Header=BB78_3 Depth=1
	s_andn2_saveexec_b64 s[0:1], s[28:29]
	s_cbranch_execz .LBB78_11
; %bb.10:                               ;   in Loop: Header=BB78_3 Depth=1
	v_cvt_f32_u32_e32 v3, s14
	s_sub_i32 s28, 0, s14
	v_mov_b32_e32 v7, v2
	v_rcp_iflag_f32_e32 v3, v3
	v_mul_f32_e32 v3, 0x4f7ffffe, v3
	v_cvt_u32_f32_e32 v3, v3
	v_mul_lo_u32 v4, s28, v3
	v_mul_hi_u32 v4, v3, v4
	v_add_u32_e32 v3, v3, v4
	v_mul_hi_u32 v3, v8, v3
	v_mul_lo_u32 v4, v3, s14
	v_sub_u32_e32 v4, v8, v4
	v_add_u32_e32 v5, 1, v3
	v_subrev_u32_e32 v6, s14, v4
	v_cmp_le_u32_e32 vcc, s14, v4
	v_cndmask_b32_e32 v4, v4, v6, vcc
	v_cndmask_b32_e32 v3, v3, v5, vcc
	v_add_u32_e32 v5, 1, v3
	v_cmp_le_u32_e32 vcc, s14, v4
	v_cndmask_b32_e32 v6, v3, v5, vcc
.LBB78_11:                              ;   in Loop: Header=BB78_3 Depth=1
	s_or_b64 exec, exec, s[0:1]
	v_mul_lo_u32 v3, v9, s2
	v_mul_lo_u32 v10, v8, s3
	v_mad_u64_u32 v[4:5], s[0:1], v8, s2, 0
	v_add3_u32 v3, v5, v10, v3
	v_sub_co_u32_e32 v4, vcc, v0, v4
	v_subb_co_u32_e32 v5, vcc, v1, v3, vcc
	v_mul_lo_u32 v3, v7, s14
	v_mul_lo_u32 v13, v6, s15
	v_mad_u64_u32 v[10:11], s[0:1], v6, s14, 0
	v_add3_u32 v3, v11, v13, v3
	v_sub_co_u32_e32 v13, vcc, v8, v10
	v_subb_co_u32_e32 v14, vcc, v9, v3, vcc
	v_sub_co_u32_e32 v8, vcc, v4, v13
	v_subb_co_u32_e32 v9, vcc, v5, v14, vcc
	v_cmp_gt_i64_e32 vcc, s[8:9], v[8:9]
	s_and_saveexec_b64 s[28:29], vcc
	s_cbranch_execz .LBB78_2
; %bb.12:                               ;   in Loop: Header=BB78_3 Depth=1
	s_load_dwordx2 s[30:31], s[4:5], 0x0
	s_load_dwordx2 s[0:1], s[16:17], 0x0
	s_and_b64 vcc, exec, s[12:13]
	s_mov_b64 s[36:37], s[22:23]
	s_mov_b64 s[38:39], s[20:21]
	s_waitcnt lgkmcnt(0)
	v_mul_lo_u32 v3, s31, v4
	v_mul_lo_u32 v10, s30, v5
	v_mad_u64_u32 v[8:9], s[34:35], s30, v4, 0
	v_add3_u32 v9, v9, v10, v3
	v_mad_u64_u32 v[8:9], s[34:35], s0, v13, v[8:9]
	v_mul_lo_u32 v3, s0, v14
	v_mul_lo_u32 v10, s1, v13
	v_add3_u32 v9, v10, v9, v3
	s_mov_b64 s[34:35], s[24:25]
	s_cbranch_vccnz .LBB78_17
.LBB78_13:                              ;   in Loop: Header=BB78_3 Depth=1
	s_load_dwordx2 s[0:1], s[18:19], 0x0
	s_waitcnt lgkmcnt(0)
	v_cmp_gt_i64_e32 vcc, s[0:1], v[4:5]
	s_and_b64 exec, exec, vcc
	s_cbranch_execz .LBB78_2
; %bb.14:                               ;   in Loop: Header=BB78_3 Depth=1
	v_lshlrev_b64 v[6:7], 2, v[8:9]
	v_mov_b32_e32 v3, s7
	v_add_co_u32_e32 v6, vcc, s6, v6
	v_addc_co_u32_e32 v7, vcc, v3, v7, vcc
	v_add_co_u32_e32 v4, vcc, 1, v4
	v_addc_co_u32_e32 v5, vcc, 0, v5, vcc
	v_cmp_gt_i64_e32 vcc, s[0:1], v[4:5]
	v_sub_co_u32_e64 v4, s[0:1], v4, v13
	v_subb_co_u32_e64 v5, s[0:1], v5, v14, s[0:1]
	v_cmp_gt_i64_e64 s[0:1], s[8:9], v[4:5]
	s_and_b64 s[0:1], vcc, s[0:1]
	global_store_dword v[6:7], v2, off
	s_and_b64 exec, exec, s[0:1]
	s_cbranch_execz .LBB78_2
; %bb.15:                               ;   in Loop: Header=BB78_3 Depth=1
	s_lshl_b64 s[0:1], s[30:31], 2
	v_mov_b32_e32 v3, s1
	v_add_co_u32_e32 v4, vcc, s0, v6
	v_addc_co_u32_e32 v5, vcc, v7, v3, vcc
	global_store_dword v[4:5], v2, off
	s_branch .LBB78_2
.LBB78_16:                              ;   in Loop: Header=BB78_17 Depth=2
	s_or_b64 exec, exec, s[0:1]
	v_mad_u64_u32 v[16:17], s[0:1], v10, s40, 0
	s_load_dwordx2 s[0:1], s[38:39], 0x0
	s_add_u32 s38, s38, -8
	s_addc_u32 s39, s39, -1
	v_mul_lo_u32 v3, v11, s40
	v_mul_lo_u32 v15, v10, s41
	s_add_u32 s36, s36, -8
	v_add3_u32 v3, v17, v15, v3
	v_sub_co_u32_e32 v6, vcc, v6, v16
	s_addc_u32 s37, s37, -1
	v_subb_co_u32_e32 v3, vcc, v7, v3, vcc
	s_add_u32 s34, s34, -1
	s_waitcnt lgkmcnt(0)
	v_mul_lo_u32 v3, s0, v3
	v_mul_lo_u32 v7, s1, v6
	v_mad_u64_u32 v[8:9], s[0:1], s0, v6, v[8:9]
	s_addc_u32 s35, s35, -1
	v_cmp_lt_i64_e64 s[0:1], s[34:35], 1
	v_add3_u32 v9, v7, v9, v3
	s_and_b64 vcc, exec, s[0:1]
	v_pk_mov_b32 v[6:7], v[10:11], v[10:11] op_sel:[0,1]
	s_cbranch_vccnz .LBB78_13
.LBB78_17:                              ;   Parent Loop BB78_3 Depth=1
                                        ; =>  This Inner Loop Header: Depth=2
	s_load_dwordx2 s[40:41], s[36:37], 0x0
                                        ; implicit-def: $vgpr10_vgpr11
	s_waitcnt lgkmcnt(0)
	v_or_b32_e32 v3, s41, v7
	v_cmp_ne_u64_e32 vcc, 0, v[2:3]
	s_and_saveexec_b64 s[0:1], vcc
	s_xor_b64 s[42:43], exec, s[0:1]
	s_cbranch_execz .LBB78_19
; %bb.18:                               ;   in Loop: Header=BB78_17 Depth=2
	s_ashr_i32 s44, s41, 31
	s_add_u32 s0, s40, s44
	s_mov_b32 s45, s44
	s_addc_u32 s1, s41, s44
	s_xor_b64 s[46:47], s[0:1], s[44:45]
	v_cvt_f32_u32_e32 v3, s46
	v_cvt_f32_u32_e32 v10, s47
	s_sub_u32 s0, 0, s46
	s_subb_u32 s1, 0, s47
	v_mac_f32_e32 v3, 0x4f800000, v10
	v_rcp_f32_e32 v3, v3
	v_mul_f32_e32 v3, 0x5f7ffffc, v3
	v_mul_f32_e32 v10, 0x2f800000, v3
	v_trunc_f32_e32 v10, v10
	v_mac_f32_e32 v3, 0xcf800000, v10
	v_cvt_u32_f32_e32 v10, v10
	v_cvt_u32_f32_e32 v3, v3
	v_mul_lo_u32 v11, s0, v10
	v_mul_hi_u32 v16, s0, v3
	v_mul_lo_u32 v15, s1, v3
	v_add_u32_e32 v11, v16, v11
	v_mul_lo_u32 v17, s0, v3
	v_add_u32_e32 v11, v11, v15
	v_mul_lo_u32 v16, v3, v11
	v_mul_hi_u32 v18, v3, v17
	v_mul_hi_u32 v15, v3, v11
	v_add_co_u32_e32 v16, vcc, v18, v16
	v_addc_co_u32_e32 v15, vcc, 0, v15, vcc
	v_mul_hi_u32 v19, v10, v17
	v_mul_lo_u32 v17, v10, v17
	v_add_co_u32_e32 v16, vcc, v16, v17
	v_mul_hi_u32 v18, v10, v11
	v_addc_co_u32_e32 v15, vcc, v15, v19, vcc
	v_addc_co_u32_e32 v16, vcc, 0, v18, vcc
	v_mul_lo_u32 v11, v10, v11
	v_add_co_u32_e32 v11, vcc, v15, v11
	v_addc_co_u32_e32 v15, vcc, 0, v16, vcc
	v_add_co_u32_e32 v3, vcc, v3, v11
	v_addc_co_u32_e32 v10, vcc, v10, v15, vcc
	v_mul_lo_u32 v11, s0, v10
	v_mul_hi_u32 v15, s0, v3
	v_add_u32_e32 v11, v15, v11
	v_mul_lo_u32 v15, s1, v3
	v_add_u32_e32 v11, v11, v15
	v_mul_lo_u32 v16, s0, v3
	v_mul_hi_u32 v17, v10, v16
	v_mul_lo_u32 v18, v10, v16
	v_mul_lo_u32 v20, v3, v11
	v_mul_hi_u32 v16, v3, v16
	v_mul_hi_u32 v19, v3, v11
	v_add_co_u32_e32 v16, vcc, v16, v20
	v_addc_co_u32_e32 v19, vcc, 0, v19, vcc
	v_add_co_u32_e32 v16, vcc, v16, v18
	v_mul_hi_u32 v15, v10, v11
	v_addc_co_u32_e32 v16, vcc, v19, v17, vcc
	v_addc_co_u32_e32 v15, vcc, 0, v15, vcc
	v_mul_lo_u32 v11, v10, v11
	v_add_co_u32_e32 v11, vcc, v16, v11
	v_addc_co_u32_e32 v15, vcc, 0, v15, vcc
	v_add_co_u32_e32 v3, vcc, v3, v11
	v_addc_co_u32_e32 v15, vcc, v10, v15, vcc
	v_ashrrev_i32_e32 v18, 31, v7
	v_add_co_u32_e32 v10, vcc, v6, v18
	v_addc_co_u32_e32 v11, vcc, v7, v18, vcc
	v_xor_b32_e32 v20, v10, v18
	v_xor_b32_e32 v19, v11, v18
	v_mad_u64_u32 v[10:11], s[0:1], v20, v15, 0
	v_mul_hi_u32 v16, v20, v3
	v_add_co_u32_e32 v21, vcc, v16, v10
	v_addc_co_u32_e32 v22, vcc, 0, v11, vcc
	v_mad_u64_u32 v[16:17], s[0:1], v19, v3, 0
	v_add_co_u32_e32 v3, vcc, v21, v16
	v_mad_u64_u32 v[10:11], s[0:1], v19, v15, 0
	v_addc_co_u32_e32 v3, vcc, v22, v17, vcc
	v_addc_co_u32_e32 v11, vcc, 0, v11, vcc
	v_add_co_u32_e32 v3, vcc, v3, v10
	v_addc_co_u32_e32 v15, vcc, 0, v11, vcc
	v_mul_lo_u32 v16, s47, v3
	v_mul_lo_u32 v17, s46, v15
	v_mad_u64_u32 v[10:11], s[0:1], s46, v3, 0
	v_add3_u32 v11, v11, v17, v16
	v_sub_u32_e32 v16, v19, v11
	v_mov_b32_e32 v17, s47
	v_sub_co_u32_e32 v10, vcc, v20, v10
	v_subb_co_u32_e64 v16, s[0:1], v16, v17, vcc
	v_subrev_co_u32_e64 v17, s[0:1], s46, v10
	v_subbrev_co_u32_e64 v16, s[0:1], 0, v16, s[0:1]
	v_cmp_le_u32_e64 s[0:1], s47, v16
	v_cndmask_b32_e64 v20, 0, -1, s[0:1]
	v_cmp_le_u32_e64 s[0:1], s46, v17
	v_cndmask_b32_e64 v17, 0, -1, s[0:1]
	v_cmp_eq_u32_e64 s[0:1], s47, v16
	v_cndmask_b32_e64 v16, v20, v17, s[0:1]
	v_add_co_u32_e64 v17, s[0:1], 2, v3
	v_subb_co_u32_e32 v11, vcc, v19, v11, vcc
	v_addc_co_u32_e64 v20, s[0:1], 0, v15, s[0:1]
	v_cmp_le_u32_e32 vcc, s47, v11
	v_add_co_u32_e64 v21, s[0:1], 1, v3
	v_cndmask_b32_e64 v19, 0, -1, vcc
	v_cmp_le_u32_e32 vcc, s46, v10
	v_addc_co_u32_e64 v22, s[0:1], 0, v15, s[0:1]
	v_cndmask_b32_e64 v10, 0, -1, vcc
	v_cmp_eq_u32_e32 vcc, s47, v11
	v_cmp_ne_u32_e64 s[0:1], 0, v16
	v_cndmask_b32_e32 v10, v19, v10, vcc
	v_cmp_ne_u32_e32 vcc, 0, v10
	v_cndmask_b32_e64 v11, v21, v17, s[0:1]
	v_cndmask_b32_e64 v16, v22, v20, s[0:1]
	v_cndmask_b32_e32 v3, v3, v11, vcc
	v_xor_b32_e32 v11, s44, v18
	v_cndmask_b32_e32 v10, v15, v16, vcc
	v_xor_b32_e32 v3, v3, v11
	v_xor_b32_e32 v15, v10, v11
	v_sub_co_u32_e32 v10, vcc, v3, v11
	v_subb_co_u32_e32 v11, vcc, v15, v11, vcc
.LBB78_19:                              ;   in Loop: Header=BB78_17 Depth=2
	s_andn2_saveexec_b64 s[0:1], s[42:43]
	s_cbranch_execz .LBB78_16
; %bb.20:                               ;   in Loop: Header=BB78_17 Depth=2
	v_cvt_f32_u32_e32 v3, s40
	s_sub_i32 s42, 0, s40
	v_rcp_iflag_f32_e32 v3, v3
	v_mul_f32_e32 v3, 0x4f7ffffe, v3
	v_cvt_u32_f32_e32 v3, v3
	v_mul_lo_u32 v10, s42, v3
	v_mul_hi_u32 v10, v3, v10
	v_add_u32_e32 v3, v3, v10
	v_mul_hi_u32 v3, v6, v3
	v_mul_lo_u32 v10, v3, s40
	v_sub_u32_e32 v10, v6, v10
	v_add_u32_e32 v11, 1, v3
	v_subrev_u32_e32 v15, s40, v10
	v_cmp_le_u32_e32 vcc, s40, v10
	v_cndmask_b32_e32 v10, v10, v15, vcc
	v_cndmask_b32_e32 v3, v3, v11, vcc
	v_add_u32_e32 v11, 1, v3
	v_cmp_le_u32_e32 vcc, s40, v10
	v_cndmask_b32_e32 v10, v3, v11, vcc
	v_mov_b32_e32 v11, v2
	s_branch .LBB78_16
.LBB78_21:
	s_endpgm
	.section	.rodata,"a",@progbits
	.p2align	6, 0x0
	.amdhsa_kernel _ZN2at6native16triu_tril_kernelIflLb1ELi2ELb1EEEvNS_4cuda6detail10TensorInfoIT_T0_EENS4_IKS5_S6_EEllS6_
		.amdhsa_group_segment_fixed_size 0
		.amdhsa_private_segment_fixed_size 0
		.amdhsa_kernarg_size 1112
		.amdhsa_user_sgpr_count 6
		.amdhsa_user_sgpr_private_segment_buffer 1
		.amdhsa_user_sgpr_dispatch_ptr 0
		.amdhsa_user_sgpr_queue_ptr 0
		.amdhsa_user_sgpr_kernarg_segment_ptr 1
		.amdhsa_user_sgpr_dispatch_id 0
		.amdhsa_user_sgpr_flat_scratch_init 0
		.amdhsa_user_sgpr_kernarg_preload_length 0
		.amdhsa_user_sgpr_kernarg_preload_offset 0
		.amdhsa_user_sgpr_private_segment_size 0
		.amdhsa_uses_dynamic_stack 0
		.amdhsa_system_sgpr_private_segment_wavefront_offset 0
		.amdhsa_system_sgpr_workgroup_id_x 1
		.amdhsa_system_sgpr_workgroup_id_y 0
		.amdhsa_system_sgpr_workgroup_id_z 0
		.amdhsa_system_sgpr_workgroup_info 0
		.amdhsa_system_vgpr_workitem_id 0
		.amdhsa_next_free_vgpr 23
		.amdhsa_next_free_sgpr 49
		.amdhsa_accum_offset 24
		.amdhsa_reserve_vcc 1
		.amdhsa_reserve_flat_scratch 0
		.amdhsa_float_round_mode_32 0
		.amdhsa_float_round_mode_16_64 0
		.amdhsa_float_denorm_mode_32 3
		.amdhsa_float_denorm_mode_16_64 3
		.amdhsa_dx10_clamp 1
		.amdhsa_ieee_mode 1
		.amdhsa_fp16_overflow 0
		.amdhsa_tg_split 0
		.amdhsa_exception_fp_ieee_invalid_op 0
		.amdhsa_exception_fp_denorm_src 0
		.amdhsa_exception_fp_ieee_div_zero 0
		.amdhsa_exception_fp_ieee_overflow 0
		.amdhsa_exception_fp_ieee_underflow 0
		.amdhsa_exception_fp_ieee_inexact 0
		.amdhsa_exception_int_div_zero 0
	.end_amdhsa_kernel
	.section	.text._ZN2at6native16triu_tril_kernelIflLb1ELi2ELb1EEEvNS_4cuda6detail10TensorInfoIT_T0_EENS4_IKS5_S6_EEllS6_,"axG",@progbits,_ZN2at6native16triu_tril_kernelIflLb1ELi2ELb1EEEvNS_4cuda6detail10TensorInfoIT_T0_EENS4_IKS5_S6_EEllS6_,comdat
.Lfunc_end78:
	.size	_ZN2at6native16triu_tril_kernelIflLb1ELi2ELb1EEEvNS_4cuda6detail10TensorInfoIT_T0_EENS4_IKS5_S6_EEllS6_, .Lfunc_end78-_ZN2at6native16triu_tril_kernelIflLb1ELi2ELb1EEEvNS_4cuda6detail10TensorInfoIT_T0_EENS4_IKS5_S6_EEllS6_
                                        ; -- End function
	.section	.AMDGPU.csdata,"",@progbits
; Kernel info:
; codeLenInByte = 3188
; NumSgprs: 53
; NumVgprs: 23
; NumAgprs: 0
; TotalNumVgprs: 23
; ScratchSize: 0
; MemoryBound: 0
; FloatMode: 240
; IeeeMode: 1
; LDSByteSize: 0 bytes/workgroup (compile time only)
; SGPRBlocks: 6
; VGPRBlocks: 2
; NumSGPRsForWavesPerEU: 53
; NumVGPRsForWavesPerEU: 23
; AccumOffset: 24
; Occupancy: 8
; WaveLimiterHint : 0
; COMPUTE_PGM_RSRC2:SCRATCH_EN: 0
; COMPUTE_PGM_RSRC2:USER_SGPR: 6
; COMPUTE_PGM_RSRC2:TRAP_HANDLER: 0
; COMPUTE_PGM_RSRC2:TGID_X_EN: 1
; COMPUTE_PGM_RSRC2:TGID_Y_EN: 0
; COMPUTE_PGM_RSRC2:TGID_Z_EN: 0
; COMPUTE_PGM_RSRC2:TIDIG_COMP_CNT: 0
; COMPUTE_PGM_RSRC3_GFX90A:ACCUM_OFFSET: 5
; COMPUTE_PGM_RSRC3_GFX90A:TG_SPLIT: 0
	.section	.text._ZN2at6native16triu_tril_kernelIflLb1ELi2ELb0EEEvNS_4cuda6detail10TensorInfoIT_T0_EENS4_IKS5_S6_EEllS6_,"axG",@progbits,_ZN2at6native16triu_tril_kernelIflLb1ELi2ELb0EEEvNS_4cuda6detail10TensorInfoIT_T0_EENS4_IKS5_S6_EEllS6_,comdat
	.protected	_ZN2at6native16triu_tril_kernelIflLb1ELi2ELb0EEEvNS_4cuda6detail10TensorInfoIT_T0_EENS4_IKS5_S6_EEllS6_ ; -- Begin function _ZN2at6native16triu_tril_kernelIflLb1ELi2ELb0EEEvNS_4cuda6detail10TensorInfoIT_T0_EENS4_IKS5_S6_EEllS6_
	.globl	_ZN2at6native16triu_tril_kernelIflLb1ELi2ELb0EEEvNS_4cuda6detail10TensorInfoIT_T0_EENS4_IKS5_S6_EEllS6_
	.p2align	8
	.type	_ZN2at6native16triu_tril_kernelIflLb1ELi2ELb0EEEvNS_4cuda6detail10TensorInfoIT_T0_EENS4_IKS5_S6_EEllS6_,@function
_ZN2at6native16triu_tril_kernelIflLb1ELi2ELb0EEEvNS_4cuda6detail10TensorInfoIT_T0_EENS4_IKS5_S6_EEllS6_: ; @_ZN2at6native16triu_tril_kernelIflLb1ELi2ELb0EEEvNS_4cuda6detail10TensorInfoIT_T0_EENS4_IKS5_S6_EEllS6_
; %bb.0:
	s_load_dword s2, s[4:5], 0x364
	s_load_dwordx4 s[8:11], s[4:5], 0x340
	s_add_u32 s0, s4, 0x358
	v_mov_b32_e32 v2, 0
	s_addc_u32 s1, s5, 0
	s_waitcnt lgkmcnt(0)
	s_and_b32 s7, s2, 0xffff
	v_mov_b32_e32 v1, v2
	v_mov_b32_e32 v3, s6
	v_mad_u64_u32 v[0:1], s[2:3], s7, v3, v[0:1]
	v_lshlrev_b64 v[0:1], 1, v[0:1]
	v_cmp_gt_i64_e32 vcc, s[10:11], v[0:1]
	s_and_saveexec_b64 s[2:3], vcc
	s_cbranch_execz .LBB79_26
; %bb.1:
	s_load_dword s6, s[0:1], 0x0
	s_load_dwordx2 s[2:3], s[4:5], 0x350
	s_load_dword s26, s[4:5], 0x338
	s_add_u32 s12, s4, 0x1a0
	s_addc_u32 s13, s5, 0
	s_waitcnt lgkmcnt(0)
	s_mul_i32 s28, s6, s7
	v_cvt_f32_u32_e32 v3, s2
	s_ashr_i32 s27, s26, 31
	s_add_u32 s30, s4, 0x1a8
	s_addc_u32 s31, s5, 0
	s_lshl_b64 s[0:1], s[26:27], 3
	s_add_u32 s22, s0, -16
	s_addc_u32 s23, s1, -1
	s_add_u32 s0, s30, s22
	s_addc_u32 s1, s31, s23
	s_add_u32 s20, s12, s22
	s_addc_u32 s21, s13, s23
	v_cmp_gt_i64_e64 s[24:25], s[26:27], 2
	s_add_u32 s27, s4, 0xd0
	s_addc_u32 s34, s5, 0
	s_load_dwordx4 s[12:15], s[0:1], 0x0
	s_load_dwordx4 s[16:19], s[20:21], 0xd0
	s_add_u32 s0, s27, s22
	s_addc_u32 s1, s34, s23
	s_load_dwordx2 s[6:7], s[4:5], 0x1a0
	s_load_dwordx4 s[20:23], s[0:1], 0x0
	v_rcp_iflag_f32_e32 v3, v3
	s_load_dwordx2 s[4:5], s[4:5], 0x0
	s_add_i32 s0, s26, -3
	s_ashr_i32 s1, s0, 31
	s_lshl_b32 s33, s28, 1
	s_lshl_b64 s[28:29], s[0:1], 3
	s_add_u32 s26, s27, s28
	s_addc_u32 s27, s34, s29
	v_mul_f32_e32 v3, 0x4f7ffffe, v3
	s_add_u32 s28, s30, s28
	v_cvt_u32_f32_e32 v14, v3
	s_addc_u32 s29, s31, s29
	s_add_u32 s30, s0, 1
	s_mov_b32 s50, 0
	s_addc_u32 s31, s1, 0
	s_mov_b64 s[34:35], 0
	s_branch .LBB79_3
.LBB79_2:                               ;   in Loop: Header=BB79_3 Depth=1
	s_or_b64 exec, exec, s[0:1]
	v_mov_b32_e32 v3, s50
	v_add_co_u32_e32 v0, vcc, s33, v0
	v_addc_co_u32_e32 v1, vcc, v1, v3, vcc
	v_cmp_le_i64_e32 vcc, s[10:11], v[0:1]
	s_or_b64 s[34:35], vcc, s[34:35]
	s_andn2_b64 exec, exec, s[34:35]
	s_cbranch_execz .LBB79_26
.LBB79_3:                               ; =>This Loop Header: Depth=1
                                        ;     Child Loop BB79_22 Depth 2
	v_or_b32_e32 v3, s3, v1
	v_cmp_ne_u64_e32 vcc, 0, v[2:3]
                                        ; implicit-def: $vgpr6_vgpr7
	s_and_saveexec_b64 s[0:1], vcc
	s_xor_b64 s[36:37], exec, s[0:1]
	s_cbranch_execz .LBB79_5
; %bb.4:                                ;   in Loop: Header=BB79_3 Depth=1
	s_ashr_i32 s38, s3, 31
	s_add_u32 s0, s2, s38
	s_mov_b32 s39, s38
	s_addc_u32 s1, s3, s38
	s_xor_b64 s[40:41], s[0:1], s[38:39]
	v_cvt_f32_u32_e32 v3, s40
	v_cvt_f32_u32_e32 v4, s41
	s_sub_u32 s0, 0, s40
	s_subb_u32 s1, 0, s41
	v_mac_f32_e32 v3, 0x4f800000, v4
	v_rcp_f32_e32 v3, v3
	v_mul_f32_e32 v3, 0x5f7ffffc, v3
	v_mul_f32_e32 v4, 0x2f800000, v3
	v_trunc_f32_e32 v4, v4
	v_mac_f32_e32 v3, 0xcf800000, v4
	v_cvt_u32_f32_e32 v4, v4
	v_cvt_u32_f32_e32 v3, v3
	v_mul_lo_u32 v5, s0, v4
	v_mul_hi_u32 v7, s0, v3
	v_mul_lo_u32 v6, s1, v3
	v_add_u32_e32 v5, v7, v5
	v_mul_lo_u32 v8, s0, v3
	v_add_u32_e32 v5, v5, v6
	v_mul_lo_u32 v7, v3, v5
	v_mul_hi_u32 v9, v3, v8
	v_mul_hi_u32 v6, v3, v5
	v_add_co_u32_e32 v7, vcc, v9, v7
	v_addc_co_u32_e32 v6, vcc, 0, v6, vcc
	v_mul_hi_u32 v10, v4, v8
	v_mul_lo_u32 v8, v4, v8
	v_add_co_u32_e32 v7, vcc, v7, v8
	v_mul_hi_u32 v9, v4, v5
	v_addc_co_u32_e32 v6, vcc, v6, v10, vcc
	v_addc_co_u32_e32 v7, vcc, 0, v9, vcc
	v_mul_lo_u32 v5, v4, v5
	v_add_co_u32_e32 v5, vcc, v6, v5
	v_addc_co_u32_e32 v6, vcc, 0, v7, vcc
	v_add_co_u32_e32 v3, vcc, v3, v5
	v_addc_co_u32_e32 v4, vcc, v4, v6, vcc
	v_mul_lo_u32 v5, s0, v4
	v_mul_hi_u32 v6, s0, v3
	v_add_u32_e32 v5, v6, v5
	v_mul_lo_u32 v6, s1, v3
	v_add_u32_e32 v5, v5, v6
	v_mul_lo_u32 v7, s0, v3
	v_mul_hi_u32 v8, v4, v7
	v_mul_lo_u32 v9, v4, v7
	v_mul_lo_u32 v11, v3, v5
	v_mul_hi_u32 v7, v3, v7
	v_mul_hi_u32 v10, v3, v5
	v_add_co_u32_e32 v7, vcc, v7, v11
	v_addc_co_u32_e32 v10, vcc, 0, v10, vcc
	v_add_co_u32_e32 v7, vcc, v7, v9
	v_mul_hi_u32 v6, v4, v5
	v_addc_co_u32_e32 v7, vcc, v10, v8, vcc
	v_addc_co_u32_e32 v6, vcc, 0, v6, vcc
	v_mul_lo_u32 v5, v4, v5
	v_add_co_u32_e32 v5, vcc, v7, v5
	v_addc_co_u32_e32 v6, vcc, 0, v6, vcc
	v_add_co_u32_e32 v3, vcc, v3, v5
	v_addc_co_u32_e32 v6, vcc, v4, v6, vcc
	v_ashrrev_i32_e32 v8, 31, v1
	v_add_co_u32_e32 v4, vcc, v0, v8
	v_addc_co_u32_e32 v5, vcc, v1, v8, vcc
	v_xor_b32_e32 v10, v4, v8
	v_xor_b32_e32 v9, v5, v8
	v_mad_u64_u32 v[4:5], s[0:1], v10, v6, 0
	v_mul_hi_u32 v7, v10, v3
	v_add_co_u32_e32 v11, vcc, v7, v4
	v_addc_co_u32_e32 v12, vcc, 0, v5, vcc
	v_mad_u64_u32 v[4:5], s[0:1], v9, v6, 0
	v_mad_u64_u32 v[6:7], s[0:1], v9, v3, 0
	v_add_co_u32_e32 v3, vcc, v11, v6
	v_addc_co_u32_e32 v3, vcc, v12, v7, vcc
	v_addc_co_u32_e32 v5, vcc, 0, v5, vcc
	v_add_co_u32_e32 v3, vcc, v3, v4
	v_addc_co_u32_e32 v6, vcc, 0, v5, vcc
	v_mul_lo_u32 v7, s41, v3
	v_mul_lo_u32 v11, s40, v6
	v_mad_u64_u32 v[4:5], s[0:1], s40, v3, 0
	v_add3_u32 v5, v5, v11, v7
	v_sub_u32_e32 v7, v9, v5
	v_mov_b32_e32 v11, s41
	v_sub_co_u32_e32 v4, vcc, v10, v4
	v_subb_co_u32_e64 v7, s[0:1], v7, v11, vcc
	v_subrev_co_u32_e64 v10, s[0:1], s40, v4
	v_subbrev_co_u32_e64 v7, s[0:1], 0, v7, s[0:1]
	v_cmp_le_u32_e64 s[0:1], s41, v7
	v_cndmask_b32_e64 v11, 0, -1, s[0:1]
	v_cmp_le_u32_e64 s[0:1], s40, v10
	v_cndmask_b32_e64 v10, 0, -1, s[0:1]
	v_cmp_eq_u32_e64 s[0:1], s41, v7
	v_cndmask_b32_e64 v7, v11, v10, s[0:1]
	v_add_co_u32_e64 v10, s[0:1], 2, v3
	v_subb_co_u32_e32 v5, vcc, v9, v5, vcc
	v_addc_co_u32_e64 v11, s[0:1], 0, v6, s[0:1]
	v_cmp_le_u32_e32 vcc, s41, v5
	v_add_co_u32_e64 v12, s[0:1], 1, v3
	v_cndmask_b32_e64 v9, 0, -1, vcc
	v_cmp_le_u32_e32 vcc, s40, v4
	v_addc_co_u32_e64 v13, s[0:1], 0, v6, s[0:1]
	v_cndmask_b32_e64 v4, 0, -1, vcc
	v_cmp_eq_u32_e32 vcc, s41, v5
	v_cmp_ne_u32_e64 s[0:1], 0, v7
	v_cndmask_b32_e32 v4, v9, v4, vcc
	v_cmp_ne_u32_e32 vcc, 0, v4
	v_cndmask_b32_e64 v5, v12, v10, s[0:1]
	v_cndmask_b32_e64 v7, v13, v11, s[0:1]
	v_cndmask_b32_e32 v3, v3, v5, vcc
	v_xor_b32_e32 v5, s38, v8
	v_cndmask_b32_e32 v4, v6, v7, vcc
	v_xor_b32_e32 v3, v3, v5
	v_xor_b32_e32 v4, v4, v5
	v_sub_co_u32_e32 v6, vcc, v3, v5
	v_subb_co_u32_e32 v7, vcc, v4, v5, vcc
.LBB79_5:                               ;   in Loop: Header=BB79_3 Depth=1
	s_andn2_saveexec_b64 s[0:1], s[36:37]
	s_cbranch_execz .LBB79_7
; %bb.6:                                ;   in Loop: Header=BB79_3 Depth=1
	s_sub_i32 s36, 0, s2
	v_mul_lo_u32 v3, s36, v14
	v_mul_hi_u32 v3, v14, v3
	v_add_u32_e32 v3, v14, v3
	v_mul_hi_u32 v3, v0, v3
	v_mul_lo_u32 v4, v3, s2
	v_sub_u32_e32 v4, v0, v4
	v_subrev_u32_e32 v5, s2, v4
	v_cmp_le_u32_e32 vcc, s2, v4
	v_cndmask_b32_e32 v4, v4, v5, vcc
	v_add_u32_e32 v5, 1, v3
	v_cndmask_b32_e32 v3, v3, v5, vcc
	v_add_u32_e32 v5, 1, v3
	v_cmp_le_u32_e32 vcc, s2, v4
	v_cndmask_b32_e32 v6, v3, v5, vcc
	v_mov_b32_e32 v7, v2
.LBB79_7:                               ;   in Loop: Header=BB79_3 Depth=1
	s_or_b64 exec, exec, s[0:1]
	s_waitcnt lgkmcnt(0)
	v_or_b32_e32 v3, s13, v7
	v_cmp_ne_u64_e32 vcc, 0, v[2:3]
                                        ; implicit-def: $vgpr10_vgpr11
	s_and_saveexec_b64 s[0:1], vcc
	s_xor_b64 s[36:37], exec, s[0:1]
	s_cbranch_execz .LBB79_9
; %bb.8:                                ;   in Loop: Header=BB79_3 Depth=1
	s_ashr_i32 s38, s13, 31
	s_add_u32 s0, s12, s38
	s_mov_b32 s39, s38
	s_addc_u32 s1, s13, s38
	s_xor_b64 s[40:41], s[0:1], s[38:39]
	v_cvt_f32_u32_e32 v3, s40
	v_cvt_f32_u32_e32 v4, s41
	s_sub_u32 s0, 0, s40
	s_subb_u32 s1, 0, s41
	v_mac_f32_e32 v3, 0x4f800000, v4
	v_rcp_f32_e32 v3, v3
	v_mul_f32_e32 v3, 0x5f7ffffc, v3
	v_mul_f32_e32 v4, 0x2f800000, v3
	v_trunc_f32_e32 v4, v4
	v_mac_f32_e32 v3, 0xcf800000, v4
	v_cvt_u32_f32_e32 v4, v4
	v_cvt_u32_f32_e32 v3, v3
	v_mul_lo_u32 v5, s0, v4
	v_mul_hi_u32 v9, s0, v3
	v_mul_lo_u32 v8, s1, v3
	v_add_u32_e32 v5, v9, v5
	v_mul_lo_u32 v10, s0, v3
	v_add_u32_e32 v5, v5, v8
	v_mul_lo_u32 v9, v3, v5
	v_mul_hi_u32 v11, v3, v10
	v_mul_hi_u32 v8, v3, v5
	v_add_co_u32_e32 v9, vcc, v11, v9
	v_addc_co_u32_e32 v8, vcc, 0, v8, vcc
	v_mul_hi_u32 v12, v4, v10
	v_mul_lo_u32 v10, v4, v10
	v_add_co_u32_e32 v9, vcc, v9, v10
	v_mul_hi_u32 v11, v4, v5
	v_addc_co_u32_e32 v8, vcc, v8, v12, vcc
	v_addc_co_u32_e32 v9, vcc, 0, v11, vcc
	v_mul_lo_u32 v5, v4, v5
	v_add_co_u32_e32 v5, vcc, v8, v5
	v_addc_co_u32_e32 v8, vcc, 0, v9, vcc
	v_add_co_u32_e32 v3, vcc, v3, v5
	v_addc_co_u32_e32 v4, vcc, v4, v8, vcc
	v_mul_lo_u32 v5, s0, v4
	v_mul_hi_u32 v8, s0, v3
	v_add_u32_e32 v5, v8, v5
	v_mul_lo_u32 v8, s1, v3
	v_add_u32_e32 v5, v5, v8
	v_mul_lo_u32 v9, s0, v3
	v_mul_hi_u32 v10, v4, v9
	v_mul_lo_u32 v11, v4, v9
	v_mul_lo_u32 v13, v3, v5
	v_mul_hi_u32 v9, v3, v9
	v_mul_hi_u32 v12, v3, v5
	v_add_co_u32_e32 v9, vcc, v9, v13
	v_addc_co_u32_e32 v12, vcc, 0, v12, vcc
	v_add_co_u32_e32 v9, vcc, v9, v11
	v_mul_hi_u32 v8, v4, v5
	v_addc_co_u32_e32 v9, vcc, v12, v10, vcc
	v_addc_co_u32_e32 v8, vcc, 0, v8, vcc
	v_mul_lo_u32 v5, v4, v5
	v_add_co_u32_e32 v5, vcc, v9, v5
	v_addc_co_u32_e32 v8, vcc, 0, v8, vcc
	v_add_co_u32_e32 v3, vcc, v3, v5
	v_addc_co_u32_e32 v8, vcc, v4, v8, vcc
	v_ashrrev_i32_e32 v10, 31, v7
	v_add_co_u32_e32 v4, vcc, v6, v10
	v_addc_co_u32_e32 v5, vcc, v7, v10, vcc
	v_xor_b32_e32 v12, v4, v10
	v_xor_b32_e32 v11, v5, v10
	v_mad_u64_u32 v[4:5], s[0:1], v12, v8, 0
	v_mul_hi_u32 v9, v12, v3
	v_add_co_u32_e32 v13, vcc, v9, v4
	v_addc_co_u32_e32 v15, vcc, 0, v5, vcc
	v_mad_u64_u32 v[4:5], s[0:1], v11, v8, 0
	v_mad_u64_u32 v[8:9], s[0:1], v11, v3, 0
	v_add_co_u32_e32 v3, vcc, v13, v8
	v_addc_co_u32_e32 v3, vcc, v15, v9, vcc
	v_addc_co_u32_e32 v5, vcc, 0, v5, vcc
	v_add_co_u32_e32 v3, vcc, v3, v4
	v_addc_co_u32_e32 v8, vcc, 0, v5, vcc
	v_mul_lo_u32 v9, s41, v3
	v_mul_lo_u32 v13, s40, v8
	v_mad_u64_u32 v[4:5], s[0:1], s40, v3, 0
	v_add3_u32 v5, v5, v13, v9
	v_sub_u32_e32 v9, v11, v5
	v_mov_b32_e32 v13, s41
	v_sub_co_u32_e32 v4, vcc, v12, v4
	v_subb_co_u32_e64 v9, s[0:1], v9, v13, vcc
	v_subrev_co_u32_e64 v12, s[0:1], s40, v4
	v_subbrev_co_u32_e64 v9, s[0:1], 0, v9, s[0:1]
	v_cmp_le_u32_e64 s[0:1], s41, v9
	v_cndmask_b32_e64 v13, 0, -1, s[0:1]
	v_cmp_le_u32_e64 s[0:1], s40, v12
	v_cndmask_b32_e64 v12, 0, -1, s[0:1]
	v_cmp_eq_u32_e64 s[0:1], s41, v9
	v_cndmask_b32_e64 v9, v13, v12, s[0:1]
	v_add_co_u32_e64 v12, s[0:1], 2, v3
	v_subb_co_u32_e32 v5, vcc, v11, v5, vcc
	v_addc_co_u32_e64 v13, s[0:1], 0, v8, s[0:1]
	v_cmp_le_u32_e32 vcc, s41, v5
	v_add_co_u32_e64 v15, s[0:1], 1, v3
	v_cndmask_b32_e64 v11, 0, -1, vcc
	v_cmp_le_u32_e32 vcc, s40, v4
	v_addc_co_u32_e64 v16, s[0:1], 0, v8, s[0:1]
	v_cndmask_b32_e64 v4, 0, -1, vcc
	v_cmp_eq_u32_e32 vcc, s41, v5
	v_cmp_ne_u32_e64 s[0:1], 0, v9
	v_cndmask_b32_e32 v4, v11, v4, vcc
	v_cmp_ne_u32_e32 vcc, 0, v4
	v_cndmask_b32_e64 v5, v15, v12, s[0:1]
	v_cndmask_b32_e64 v9, v16, v13, s[0:1]
	v_cndmask_b32_e32 v3, v3, v5, vcc
	v_xor_b32_e32 v5, s38, v10
	v_cndmask_b32_e32 v4, v8, v9, vcc
	v_xor_b32_e32 v3, v3, v5
	v_xor_b32_e32 v4, v4, v5
	v_sub_co_u32_e32 v10, vcc, v3, v5
	v_subb_co_u32_e32 v11, vcc, v4, v5, vcc
.LBB79_9:                               ;   in Loop: Header=BB79_3 Depth=1
	s_andn2_saveexec_b64 s[0:1], s[36:37]
	s_cbranch_execz .LBB79_11
; %bb.10:                               ;   in Loop: Header=BB79_3 Depth=1
	v_cvt_f32_u32_e32 v3, s12
	s_sub_i32 s36, 0, s12
	v_mov_b32_e32 v11, v2
	v_rcp_iflag_f32_e32 v3, v3
	v_mul_f32_e32 v3, 0x4f7ffffe, v3
	v_cvt_u32_f32_e32 v3, v3
	v_mul_lo_u32 v4, s36, v3
	v_mul_hi_u32 v4, v3, v4
	v_add_u32_e32 v3, v3, v4
	v_mul_hi_u32 v3, v6, v3
	v_mul_lo_u32 v4, v3, s12
	v_sub_u32_e32 v4, v6, v4
	v_add_u32_e32 v5, 1, v3
	v_subrev_u32_e32 v8, s12, v4
	v_cmp_le_u32_e32 vcc, s12, v4
	v_cndmask_b32_e32 v4, v4, v8, vcc
	v_cndmask_b32_e32 v3, v3, v5, vcc
	v_add_u32_e32 v5, 1, v3
	v_cmp_le_u32_e32 vcc, s12, v4
	v_cndmask_b32_e32 v10, v3, v5, vcc
.LBB79_11:                              ;   in Loop: Header=BB79_3 Depth=1
	s_or_b64 exec, exec, s[0:1]
	v_mul_lo_u32 v3, v7, s2
	v_mul_lo_u32 v8, v6, s3
	v_mad_u64_u32 v[4:5], s[0:1], v6, s2, 0
	v_add3_u32 v3, v5, v8, v3
	v_sub_co_u32_e32 v4, vcc, v0, v4
	v_subb_co_u32_e32 v5, vcc, v1, v3, vcc
	v_mul_lo_u32 v3, v11, s12
	v_mul_lo_u32 v12, v10, s13
	v_mad_u64_u32 v[8:9], s[0:1], v10, s12, 0
	v_add3_u32 v3, v9, v12, v3
	v_sub_co_u32_e32 v15, vcc, v6, v8
	v_subb_co_u32_e32 v16, vcc, v7, v3, vcc
	v_mul_lo_u32 v3, s19, v4
	v_mul_lo_u32 v8, s18, v5
	v_mad_u64_u32 v[6:7], s[0:1], s18, v4, 0
	v_add3_u32 v7, v7, v8, v3
	v_mul_lo_u32 v3, s23, v4
	v_mul_lo_u32 v8, s22, v5
	v_mad_u64_u32 v[12:13], s[0:1], s22, v4, 0
	v_add3_u32 v13, v13, v8, v3
	v_mad_u64_u32 v[8:9], s[0:1], s16, v15, v[6:7]
	v_mul_lo_u32 v3, s16, v16
	v_mul_lo_u32 v6, s17, v15
	v_add3_u32 v9, v6, v9, v3
	v_mad_u64_u32 v[6:7], s[0:1], s20, v15, v[12:13]
	v_mul_lo_u32 v3, s20, v16
	v_mul_lo_u32 v12, s21, v15
	v_add3_u32 v7, v12, v7, v3
	s_and_b64 vcc, exec, s[24:25]
	s_mov_b64 s[36:37], s[30:31]
	s_mov_b64 s[38:39], s[28:29]
	;; [unrolled: 1-line block ×3, first 2 shown]
	s_cbranch_vccnz .LBB79_22
.LBB79_12:                              ;   in Loop: Header=BB79_3 Depth=1
	v_sub_co_u32_e32 v10, vcc, v4, v15
	v_subb_co_u32_e32 v11, vcc, v5, v16, vcc
	v_add_co_u32_e32 v12, vcc, 2, v10
	v_addc_co_u32_e32 v13, vcc, 0, v11, vcc
	v_cmp_le_i64_e32 vcc, s[8:9], v[12:13]
	v_mov_b32_e32 v3, 0
	v_mov_b32_e32 v12, 0
	s_and_saveexec_b64 s[0:1], vcc
	s_cbranch_execz .LBB79_18
; %bb.13:                               ;   in Loop: Header=BB79_3 Depth=1
	v_cmp_gt_i64_e32 vcc, s[14:15], v[4:5]
	v_mov_b32_e32 v3, 0
	v_mov_b32_e32 v13, 0
	s_and_saveexec_b64 s[36:37], vcc
	s_cbranch_execz .LBB79_17
; %bb.14:                               ;   in Loop: Header=BB79_3 Depth=1
	v_lshlrev_b64 v[8:9], 2, v[8:9]
	v_mov_b32_e32 v3, s7
	v_add_co_u32_e32 v8, vcc, s6, v8
	v_addc_co_u32_e32 v9, vcc, v3, v9, vcc
	global_load_dword v3, v[8:9], off
	v_add_co_u32_e32 v12, vcc, 1, v4
	v_addc_co_u32_e32 v13, vcc, 0, v5, vcc
	v_cmp_gt_i64_e32 vcc, s[14:15], v[12:13]
	v_mov_b32_e32 v13, 0
	s_and_saveexec_b64 s[38:39], vcc
	s_xor_b64 s[38:39], exec, s[38:39]
	s_cbranch_execz .LBB79_16
; %bb.15:                               ;   in Loop: Header=BB79_3 Depth=1
	s_lshl_b64 s[40:41], s[18:19], 2
	v_mov_b32_e32 v12, s41
	v_add_co_u32_e32 v8, vcc, s40, v8
	v_addc_co_u32_e32 v9, vcc, v9, v12, vcc
	global_load_dword v13, v[8:9], off
.LBB79_16:                              ;   in Loop: Header=BB79_3 Depth=1
	s_or_b64 exec, exec, s[38:39]
.LBB79_17:                              ;   in Loop: Header=BB79_3 Depth=1
	s_or_b64 exec, exec, s[36:37]
	v_cmp_le_i64_e32 vcc, s[8:9], v[10:11]
	s_waitcnt vmcnt(0)
	v_cndmask_b32_e32 v12, 0, v3, vcc
	v_add_co_u32_e32 v8, vcc, 1, v10
	v_addc_co_u32_e32 v9, vcc, 0, v11, vcc
	v_cmp_le_i64_e32 vcc, s[8:9], v[8:9]
	v_cndmask_b32_e32 v3, 0, v13, vcc
.LBB79_18:                              ;   in Loop: Header=BB79_3 Depth=1
	s_or_b64 exec, exec, s[0:1]
	v_cmp_gt_i64_e32 vcc, s[14:15], v[4:5]
	s_and_saveexec_b64 s[0:1], vcc
	s_cbranch_execz .LBB79_2
; %bb.19:                               ;   in Loop: Header=BB79_3 Depth=1
	v_lshlrev_b64 v[6:7], 2, v[6:7]
	v_mov_b32_e32 v8, s5
	v_add_co_u32_e32 v6, vcc, s4, v6
	v_addc_co_u32_e32 v7, vcc, v8, v7, vcc
	v_add_co_u32_e32 v4, vcc, 1, v4
	v_addc_co_u32_e32 v5, vcc, 0, v5, vcc
	v_cmp_gt_i64_e32 vcc, s[14:15], v[4:5]
	global_store_dword v[6:7], v12, off
	s_and_saveexec_b64 s[36:37], vcc
	s_xor_b64 s[36:37], exec, s[36:37]
	s_cbranch_execz .LBB79_2
; %bb.20:                               ;   in Loop: Header=BB79_3 Depth=1
	s_lshl_b64 s[36:37], s[22:23], 2
	v_mov_b32_e32 v5, s37
	v_add_co_u32_e32 v4, vcc, s36, v6
	v_addc_co_u32_e32 v5, vcc, v7, v5, vcc
	global_store_dword v[4:5], v3, off
	s_branch .LBB79_2
.LBB79_21:                              ;   in Loop: Header=BB79_22 Depth=2
	s_or_b64 exec, exec, s[0:1]
	v_mad_u64_u32 v[18:19], s[0:1], v12, s42, 0
	v_mul_lo_u32 v3, v13, s42
	v_mul_lo_u32 v17, v12, s43
	s_load_dwordx2 s[0:1], s[38:39], 0xc8
	s_load_dwordx2 s[42:43], s[40:41], 0x0
	s_add_u32 s40, s40, -8
	s_addc_u32 s41, s41, -1
	s_add_u32 s38, s38, -8
	v_add3_u32 v3, v19, v17, v3
	v_sub_co_u32_e32 v10, vcc, v10, v18
	s_addc_u32 s39, s39, -1
	v_subb_co_u32_e32 v3, vcc, v11, v3, vcc
	s_add_u32 s36, s36, -1
	s_waitcnt lgkmcnt(0)
	v_mul_lo_u32 v11, s0, v3
	v_mul_lo_u32 v17, s1, v10
	v_mad_u64_u32 v[8:9], s[0:1], s0, v10, v[8:9]
	v_mad_u64_u32 v[6:7], s[0:1], s42, v10, v[6:7]
	s_addc_u32 s37, s37, -1
	v_add3_u32 v9, v17, v9, v11
	v_mul_lo_u32 v3, s42, v3
	v_mul_lo_u32 v11, s43, v10
	v_cmp_lt_i64_e64 s[0:1], s[36:37], 1
	v_add3_u32 v7, v11, v7, v3
	s_and_b64 vcc, exec, s[0:1]
	v_pk_mov_b32 v[10:11], v[12:13], v[12:13] op_sel:[0,1]
	s_cbranch_vccnz .LBB79_12
.LBB79_22:                              ;   Parent Loop BB79_3 Depth=1
                                        ; =>  This Inner Loop Header: Depth=2
	s_load_dwordx2 s[42:43], s[38:39], 0x0
                                        ; implicit-def: $vgpr12_vgpr13
	s_waitcnt lgkmcnt(0)
	v_or_b32_e32 v3, s43, v11
	v_cmp_ne_u64_e32 vcc, 0, v[2:3]
	s_and_saveexec_b64 s[0:1], vcc
	s_xor_b64 s[44:45], exec, s[0:1]
	s_cbranch_execz .LBB79_24
; %bb.23:                               ;   in Loop: Header=BB79_22 Depth=2
	s_ashr_i32 s46, s43, 31
	s_add_u32 s0, s42, s46
	s_mov_b32 s47, s46
	s_addc_u32 s1, s43, s46
	s_xor_b64 s[48:49], s[0:1], s[46:47]
	v_cvt_f32_u32_e32 v3, s48
	v_cvt_f32_u32_e32 v12, s49
	s_sub_u32 s0, 0, s48
	s_subb_u32 s1, 0, s49
	v_mac_f32_e32 v3, 0x4f800000, v12
	v_rcp_f32_e32 v3, v3
	v_mul_f32_e32 v3, 0x5f7ffffc, v3
	v_mul_f32_e32 v12, 0x2f800000, v3
	v_trunc_f32_e32 v12, v12
	v_mac_f32_e32 v3, 0xcf800000, v12
	v_cvt_u32_f32_e32 v12, v12
	v_cvt_u32_f32_e32 v3, v3
	v_mul_lo_u32 v13, s0, v12
	v_mul_hi_u32 v18, s0, v3
	v_mul_lo_u32 v17, s1, v3
	v_add_u32_e32 v13, v18, v13
	v_mul_lo_u32 v19, s0, v3
	v_add_u32_e32 v13, v13, v17
	v_mul_lo_u32 v18, v3, v13
	v_mul_hi_u32 v20, v3, v19
	v_mul_hi_u32 v17, v3, v13
	v_add_co_u32_e32 v18, vcc, v20, v18
	v_addc_co_u32_e32 v17, vcc, 0, v17, vcc
	v_mul_hi_u32 v21, v12, v19
	v_mul_lo_u32 v19, v12, v19
	v_add_co_u32_e32 v18, vcc, v18, v19
	v_mul_hi_u32 v20, v12, v13
	v_addc_co_u32_e32 v17, vcc, v17, v21, vcc
	v_addc_co_u32_e32 v18, vcc, 0, v20, vcc
	v_mul_lo_u32 v13, v12, v13
	v_add_co_u32_e32 v13, vcc, v17, v13
	v_addc_co_u32_e32 v17, vcc, 0, v18, vcc
	v_add_co_u32_e32 v3, vcc, v3, v13
	v_addc_co_u32_e32 v12, vcc, v12, v17, vcc
	v_mul_lo_u32 v13, s0, v12
	v_mul_hi_u32 v17, s0, v3
	v_add_u32_e32 v13, v17, v13
	v_mul_lo_u32 v17, s1, v3
	v_add_u32_e32 v13, v13, v17
	v_mul_lo_u32 v18, s0, v3
	v_mul_hi_u32 v19, v12, v18
	v_mul_lo_u32 v20, v12, v18
	v_mul_lo_u32 v22, v3, v13
	v_mul_hi_u32 v18, v3, v18
	v_mul_hi_u32 v21, v3, v13
	v_add_co_u32_e32 v18, vcc, v18, v22
	v_addc_co_u32_e32 v21, vcc, 0, v21, vcc
	v_add_co_u32_e32 v18, vcc, v18, v20
	v_mul_hi_u32 v17, v12, v13
	v_addc_co_u32_e32 v18, vcc, v21, v19, vcc
	v_addc_co_u32_e32 v17, vcc, 0, v17, vcc
	v_mul_lo_u32 v13, v12, v13
	v_add_co_u32_e32 v13, vcc, v18, v13
	v_addc_co_u32_e32 v17, vcc, 0, v17, vcc
	v_add_co_u32_e32 v3, vcc, v3, v13
	v_addc_co_u32_e32 v17, vcc, v12, v17, vcc
	v_ashrrev_i32_e32 v20, 31, v11
	v_add_co_u32_e32 v12, vcc, v10, v20
	v_addc_co_u32_e32 v13, vcc, v11, v20, vcc
	v_xor_b32_e32 v22, v12, v20
	v_xor_b32_e32 v21, v13, v20
	v_mad_u64_u32 v[12:13], s[0:1], v22, v17, 0
	v_mul_hi_u32 v18, v22, v3
	v_add_co_u32_e32 v23, vcc, v18, v12
	v_addc_co_u32_e32 v24, vcc, 0, v13, vcc
	v_mad_u64_u32 v[18:19], s[0:1], v21, v3, 0
	v_add_co_u32_e32 v3, vcc, v23, v18
	v_mad_u64_u32 v[12:13], s[0:1], v21, v17, 0
	v_addc_co_u32_e32 v3, vcc, v24, v19, vcc
	v_addc_co_u32_e32 v13, vcc, 0, v13, vcc
	v_add_co_u32_e32 v3, vcc, v3, v12
	v_addc_co_u32_e32 v17, vcc, 0, v13, vcc
	v_mul_lo_u32 v18, s49, v3
	v_mul_lo_u32 v19, s48, v17
	v_mad_u64_u32 v[12:13], s[0:1], s48, v3, 0
	v_add3_u32 v13, v13, v19, v18
	v_sub_u32_e32 v18, v21, v13
	v_mov_b32_e32 v19, s49
	v_sub_co_u32_e32 v12, vcc, v22, v12
	v_subb_co_u32_e64 v18, s[0:1], v18, v19, vcc
	v_subrev_co_u32_e64 v19, s[0:1], s48, v12
	v_subbrev_co_u32_e64 v18, s[0:1], 0, v18, s[0:1]
	v_cmp_le_u32_e64 s[0:1], s49, v18
	v_cndmask_b32_e64 v22, 0, -1, s[0:1]
	v_cmp_le_u32_e64 s[0:1], s48, v19
	v_cndmask_b32_e64 v19, 0, -1, s[0:1]
	v_cmp_eq_u32_e64 s[0:1], s49, v18
	v_cndmask_b32_e64 v18, v22, v19, s[0:1]
	v_add_co_u32_e64 v19, s[0:1], 2, v3
	v_subb_co_u32_e32 v13, vcc, v21, v13, vcc
	v_addc_co_u32_e64 v22, s[0:1], 0, v17, s[0:1]
	v_cmp_le_u32_e32 vcc, s49, v13
	v_add_co_u32_e64 v23, s[0:1], 1, v3
	v_cndmask_b32_e64 v21, 0, -1, vcc
	v_cmp_le_u32_e32 vcc, s48, v12
	v_addc_co_u32_e64 v24, s[0:1], 0, v17, s[0:1]
	v_cndmask_b32_e64 v12, 0, -1, vcc
	v_cmp_eq_u32_e32 vcc, s49, v13
	v_cmp_ne_u32_e64 s[0:1], 0, v18
	v_cndmask_b32_e32 v12, v21, v12, vcc
	v_cmp_ne_u32_e32 vcc, 0, v12
	v_cndmask_b32_e64 v13, v23, v19, s[0:1]
	v_cndmask_b32_e64 v18, v24, v22, s[0:1]
	v_cndmask_b32_e32 v3, v3, v13, vcc
	v_xor_b32_e32 v13, s46, v20
	v_cndmask_b32_e32 v12, v17, v18, vcc
	v_xor_b32_e32 v3, v3, v13
	v_xor_b32_e32 v17, v12, v13
	v_sub_co_u32_e32 v12, vcc, v3, v13
	v_subb_co_u32_e32 v13, vcc, v17, v13, vcc
.LBB79_24:                              ;   in Loop: Header=BB79_22 Depth=2
	s_andn2_saveexec_b64 s[0:1], s[44:45]
	s_cbranch_execz .LBB79_21
; %bb.25:                               ;   in Loop: Header=BB79_22 Depth=2
	v_cvt_f32_u32_e32 v3, s42
	s_sub_i32 s44, 0, s42
	v_rcp_iflag_f32_e32 v3, v3
	v_mul_f32_e32 v3, 0x4f7ffffe, v3
	v_cvt_u32_f32_e32 v3, v3
	v_mul_lo_u32 v12, s44, v3
	v_mul_hi_u32 v12, v3, v12
	v_add_u32_e32 v3, v3, v12
	v_mul_hi_u32 v3, v10, v3
	v_mul_lo_u32 v12, v3, s42
	v_sub_u32_e32 v12, v10, v12
	v_add_u32_e32 v13, 1, v3
	v_subrev_u32_e32 v17, s42, v12
	v_cmp_le_u32_e32 vcc, s42, v12
	v_cndmask_b32_e32 v12, v12, v17, vcc
	v_cndmask_b32_e32 v3, v3, v13, vcc
	v_add_u32_e32 v13, 1, v3
	v_cmp_le_u32_e32 vcc, s42, v12
	v_cndmask_b32_e32 v12, v3, v13, vcc
	v_mov_b32_e32 v13, v2
	s_branch .LBB79_21
.LBB79_26:
	s_endpgm
	.section	.rodata,"a",@progbits
	.p2align	6, 0x0
	.amdhsa_kernel _ZN2at6native16triu_tril_kernelIflLb1ELi2ELb0EEEvNS_4cuda6detail10TensorInfoIT_T0_EENS4_IKS5_S6_EEllS6_
		.amdhsa_group_segment_fixed_size 0
		.amdhsa_private_segment_fixed_size 0
		.amdhsa_kernarg_size 1112
		.amdhsa_user_sgpr_count 6
		.amdhsa_user_sgpr_private_segment_buffer 1
		.amdhsa_user_sgpr_dispatch_ptr 0
		.amdhsa_user_sgpr_queue_ptr 0
		.amdhsa_user_sgpr_kernarg_segment_ptr 1
		.amdhsa_user_sgpr_dispatch_id 0
		.amdhsa_user_sgpr_flat_scratch_init 0
		.amdhsa_user_sgpr_kernarg_preload_length 0
		.amdhsa_user_sgpr_kernarg_preload_offset 0
		.amdhsa_user_sgpr_private_segment_size 0
		.amdhsa_uses_dynamic_stack 0
		.amdhsa_system_sgpr_private_segment_wavefront_offset 0
		.amdhsa_system_sgpr_workgroup_id_x 1
		.amdhsa_system_sgpr_workgroup_id_y 0
		.amdhsa_system_sgpr_workgroup_id_z 0
		.amdhsa_system_sgpr_workgroup_info 0
		.amdhsa_system_vgpr_workitem_id 0
		.amdhsa_next_free_vgpr 25
		.amdhsa_next_free_sgpr 51
		.amdhsa_accum_offset 28
		.amdhsa_reserve_vcc 1
		.amdhsa_reserve_flat_scratch 0
		.amdhsa_float_round_mode_32 0
		.amdhsa_float_round_mode_16_64 0
		.amdhsa_float_denorm_mode_32 3
		.amdhsa_float_denorm_mode_16_64 3
		.amdhsa_dx10_clamp 1
		.amdhsa_ieee_mode 1
		.amdhsa_fp16_overflow 0
		.amdhsa_tg_split 0
		.amdhsa_exception_fp_ieee_invalid_op 0
		.amdhsa_exception_fp_denorm_src 0
		.amdhsa_exception_fp_ieee_div_zero 0
		.amdhsa_exception_fp_ieee_overflow 0
		.amdhsa_exception_fp_ieee_underflow 0
		.amdhsa_exception_fp_ieee_inexact 0
		.amdhsa_exception_int_div_zero 0
	.end_amdhsa_kernel
	.section	.text._ZN2at6native16triu_tril_kernelIflLb1ELi2ELb0EEEvNS_4cuda6detail10TensorInfoIT_T0_EENS4_IKS5_S6_EEllS6_,"axG",@progbits,_ZN2at6native16triu_tril_kernelIflLb1ELi2ELb0EEEvNS_4cuda6detail10TensorInfoIT_T0_EENS4_IKS5_S6_EEllS6_,comdat
.Lfunc_end79:
	.size	_ZN2at6native16triu_tril_kernelIflLb1ELi2ELb0EEEvNS_4cuda6detail10TensorInfoIT_T0_EENS4_IKS5_S6_EEllS6_, .Lfunc_end79-_ZN2at6native16triu_tril_kernelIflLb1ELi2ELb0EEEvNS_4cuda6detail10TensorInfoIT_T0_EENS4_IKS5_S6_EEllS6_
                                        ; -- End function
	.section	.AMDGPU.csdata,"",@progbits
; Kernel info:
; codeLenInByte = 3412
; NumSgprs: 55
; NumVgprs: 25
; NumAgprs: 0
; TotalNumVgprs: 25
; ScratchSize: 0
; MemoryBound: 0
; FloatMode: 240
; IeeeMode: 1
; LDSByteSize: 0 bytes/workgroup (compile time only)
; SGPRBlocks: 6
; VGPRBlocks: 3
; NumSGPRsForWavesPerEU: 55
; NumVGPRsForWavesPerEU: 25
; AccumOffset: 28
; Occupancy: 8
; WaveLimiterHint : 0
; COMPUTE_PGM_RSRC2:SCRATCH_EN: 0
; COMPUTE_PGM_RSRC2:USER_SGPR: 6
; COMPUTE_PGM_RSRC2:TRAP_HANDLER: 0
; COMPUTE_PGM_RSRC2:TGID_X_EN: 1
; COMPUTE_PGM_RSRC2:TGID_Y_EN: 0
; COMPUTE_PGM_RSRC2:TGID_Z_EN: 0
; COMPUTE_PGM_RSRC2:TIDIG_COMP_CNT: 0
; COMPUTE_PGM_RSRC3_GFX90A:ACCUM_OFFSET: 6
; COMPUTE_PGM_RSRC3_GFX90A:TG_SPLIT: 0
	.section	.text._ZN2at6native16triu_tril_kernelIN3c107complexIdEEiLb1ELi1ELb1EEEvNS_4cuda6detail10TensorInfoIT_T0_EENS7_IKS8_S9_EEllS9_,"axG",@progbits,_ZN2at6native16triu_tril_kernelIN3c107complexIdEEiLb1ELi1ELb1EEEvNS_4cuda6detail10TensorInfoIT_T0_EENS7_IKS8_S9_EEllS9_,comdat
	.protected	_ZN2at6native16triu_tril_kernelIN3c107complexIdEEiLb1ELi1ELb1EEEvNS_4cuda6detail10TensorInfoIT_T0_EENS7_IKS8_S9_EEllS9_ ; -- Begin function _ZN2at6native16triu_tril_kernelIN3c107complexIdEEiLb1ELi1ELb1EEEvNS_4cuda6detail10TensorInfoIT_T0_EENS7_IKS8_S9_EEllS9_
	.globl	_ZN2at6native16triu_tril_kernelIN3c107complexIdEEiLb1ELi1ELb1EEEvNS_4cuda6detail10TensorInfoIT_T0_EENS7_IKS8_S9_EEllS9_
	.p2align	8
	.type	_ZN2at6native16triu_tril_kernelIN3c107complexIdEEiLb1ELi1ELb1EEEvNS_4cuda6detail10TensorInfoIT_T0_EENS7_IKS8_S9_EEllS9_,@function
_ZN2at6native16triu_tril_kernelIN3c107complexIdEEiLb1ELi1ELb1EEEvNS_4cuda6detail10TensorInfoIT_T0_EENS7_IKS8_S9_EEllS9_: ; @_ZN2at6native16triu_tril_kernelIN3c107complexIdEEiLb1ELi1ELb1EEEvNS_4cuda6detail10TensorInfoIT_T0_EENS7_IKS8_S9_EEllS9_
; %bb.0:
	s_load_dword s2, s[4:5], 0x1d4
	s_load_dwordx4 s[8:11], s[4:5], 0x1b0
	s_add_u32 s0, s4, 0x1c8
	v_mov_b32_e32 v2, 0
	s_addc_u32 s1, s5, 0
	s_waitcnt lgkmcnt(0)
	s_and_b32 s16, s2, 0xffff
	v_mov_b32_e32 v1, v2
	v_mov_b32_e32 v3, s6
	v_mad_u64_u32 v[0:1], s[2:3], s16, v3, v[0:1]
	v_cmp_gt_i64_e32 vcc, s[10:11], v[0:1]
	s_and_saveexec_b64 s[2:3], vcc
	s_cbranch_execz .LBB80_59
; %bb.1:
	s_load_dword s33, s[4:5], 0x1c0
	s_load_dword s14, s[4:5], 0x1a8
	s_load_dwordx2 s[2:3], s[4:5], 0x0
	s_mov_b64 s[22:23], 0
	s_waitcnt lgkmcnt(0)
	s_ashr_i32 s38, s33, 31
	s_ashr_i32 s15, s14, 31
	s_add_u32 s39, s4, 0xe0
	s_addc_u32 s40, s5, 0
	s_add_i32 s18, s14, -2
	s_ashr_i32 s19, s18, 31
	s_lshl_b64 s[12:13], s[18:19], 2
	s_add_u32 s6, s39, s12
	s_addc_u32 s7, s40, s13
	s_load_dword s41, s[6:7], 0x0
	s_load_dword s17, s[0:1], 0x0
	s_lshl_b64 s[0:1], s[14:15], 2
	v_cvt_f32_u32_e32 v3, s33
	v_cmp_gt_i64_e64 s[6:7], s[14:15], 2
	s_waitcnt lgkmcnt(0)
	s_ashr_i32 s42, s41, 31
	s_add_u32 s0, s0, -4
	s_addc_u32 s1, s1, -1
	s_add_u32 s43, s4, 0x6c
	s_addc_u32 s44, s5, 0
	s_add_u32 s4, s43, s0
	v_rcp_iflag_f32_e32 v3, v3
	s_addc_u32 s5, s44, s1
	s_add_u32 s12, s43, s12
	s_addc_u32 s13, s44, s13
	s_add_i32 s45, s14, -3
	s_add_u32 s14, s39, s0
	v_mul_f32_e32 v3, 0x4f7ffffe, v3
	s_addc_u32 s15, s40, s1
	s_and_b32 s48, s18, 7
	v_cvt_u32_f32_e32 v24, v3
	s_cmp_lg_u32 s48, 0
	s_mul_i32 s46, s17, s16
	s_mov_b32 s17, 0
	s_cselect_b64 s[18:19], -1, 0
	s_cmp_gt_u32 s45, 6
	s_mov_b32 s47, s17
	s_cselect_b64 s[20:21], -1, 0
	s_branch .LBB80_3
.LBB80_2:                               ;   in Loop: Header=BB80_3 Depth=1
	s_or_b64 exec, exec, s[24:25]
	v_mov_b32_e32 v3, s47
	v_add_co_u32_e32 v0, vcc, s46, v0
	v_addc_co_u32_e32 v1, vcc, v1, v3, vcc
	v_cmp_le_i64_e32 vcc, s[10:11], v[0:1]
	s_or_b64 s[22:23], vcc, s[22:23]
	s_andn2_b64 exec, exec, s[22:23]
	s_cbranch_execz .LBB80_59
.LBB80_3:                               ; =>This Loop Header: Depth=1
                                        ;     Child Loop BB80_16 Depth 2
                                        ;     Child Loop BB80_23 Depth 2
	v_or_b32_e32 v3, s38, v1
	v_cmp_ne_u64_e32 vcc, 0, v[2:3]
                                        ; implicit-def: $vgpr4_vgpr5
	s_and_saveexec_b64 s[0:1], vcc
	s_xor_b64 s[24:25], exec, s[0:1]
	s_cbranch_execz .LBB80_5
; %bb.4:                                ;   in Loop: Header=BB80_3 Depth=1
	s_add_u32 s0, s33, s38
	s_mov_b32 s26, s38
	s_mov_b32 s27, s38
	s_addc_u32 s1, s38, s38
	s_xor_b64 s[28:29], s[0:1], s[26:27]
	v_cvt_f32_u32_e32 v3, s28
	v_cvt_f32_u32_e32 v4, s29
	s_sub_u32 s0, 0, s28
	s_subb_u32 s1, 0, s29
	v_mac_f32_e32 v3, 0x4f800000, v4
	v_rcp_f32_e32 v3, v3
	v_mul_f32_e32 v3, 0x5f7ffffc, v3
	v_mul_f32_e32 v4, 0x2f800000, v3
	v_trunc_f32_e32 v4, v4
	v_mac_f32_e32 v3, 0xcf800000, v4
	v_cvt_u32_f32_e32 v4, v4
	v_cvt_u32_f32_e32 v3, v3
	v_mul_lo_u32 v5, s0, v4
	v_mul_hi_u32 v7, s0, v3
	v_mul_lo_u32 v6, s1, v3
	v_add_u32_e32 v5, v7, v5
	v_mul_lo_u32 v8, s0, v3
	v_add_u32_e32 v5, v5, v6
	v_mul_lo_u32 v7, v3, v5
	v_mul_hi_u32 v9, v3, v8
	v_mul_hi_u32 v6, v3, v5
	v_add_co_u32_e32 v7, vcc, v9, v7
	v_addc_co_u32_e32 v6, vcc, 0, v6, vcc
	v_mul_hi_u32 v10, v4, v8
	v_mul_lo_u32 v8, v4, v8
	v_add_co_u32_e32 v7, vcc, v7, v8
	v_mul_hi_u32 v9, v4, v5
	v_addc_co_u32_e32 v6, vcc, v6, v10, vcc
	v_addc_co_u32_e32 v7, vcc, 0, v9, vcc
	v_mul_lo_u32 v5, v4, v5
	v_add_co_u32_e32 v5, vcc, v6, v5
	v_addc_co_u32_e32 v6, vcc, 0, v7, vcc
	v_add_co_u32_e32 v3, vcc, v3, v5
	v_addc_co_u32_e32 v4, vcc, v4, v6, vcc
	v_mul_lo_u32 v5, s0, v4
	v_mul_hi_u32 v6, s0, v3
	v_add_u32_e32 v5, v6, v5
	v_mul_lo_u32 v6, s1, v3
	v_add_u32_e32 v5, v5, v6
	v_mul_lo_u32 v7, s0, v3
	v_mul_hi_u32 v8, v4, v7
	v_mul_lo_u32 v9, v4, v7
	v_mul_lo_u32 v11, v3, v5
	v_mul_hi_u32 v7, v3, v7
	v_mul_hi_u32 v10, v3, v5
	v_add_co_u32_e32 v7, vcc, v7, v11
	v_addc_co_u32_e32 v10, vcc, 0, v10, vcc
	v_add_co_u32_e32 v7, vcc, v7, v9
	v_mul_hi_u32 v6, v4, v5
	v_addc_co_u32_e32 v7, vcc, v10, v8, vcc
	v_addc_co_u32_e32 v6, vcc, 0, v6, vcc
	v_mul_lo_u32 v5, v4, v5
	v_add_co_u32_e32 v5, vcc, v7, v5
	v_addc_co_u32_e32 v6, vcc, 0, v6, vcc
	v_add_co_u32_e32 v3, vcc, v3, v5
	v_addc_co_u32_e32 v6, vcc, v4, v6, vcc
	v_ashrrev_i32_e32 v8, 31, v1
	v_add_co_u32_e32 v4, vcc, v0, v8
	v_addc_co_u32_e32 v5, vcc, v1, v8, vcc
	v_xor_b32_e32 v10, v4, v8
	v_xor_b32_e32 v9, v5, v8
	v_mad_u64_u32 v[4:5], s[0:1], v10, v6, 0
	v_mul_hi_u32 v7, v10, v3
	v_add_co_u32_e32 v11, vcc, v7, v4
	v_addc_co_u32_e32 v12, vcc, 0, v5, vcc
	v_mad_u64_u32 v[4:5], s[0:1], v9, v6, 0
	v_mad_u64_u32 v[6:7], s[0:1], v9, v3, 0
	v_add_co_u32_e32 v3, vcc, v11, v6
	v_addc_co_u32_e32 v3, vcc, v12, v7, vcc
	v_addc_co_u32_e32 v5, vcc, 0, v5, vcc
	v_add_co_u32_e32 v3, vcc, v3, v4
	v_addc_co_u32_e32 v6, vcc, 0, v5, vcc
	v_mul_lo_u32 v7, s29, v3
	v_mul_lo_u32 v11, s28, v6
	v_mad_u64_u32 v[4:5], s[0:1], s28, v3, 0
	v_add3_u32 v5, v5, v11, v7
	v_sub_u32_e32 v7, v9, v5
	v_mov_b32_e32 v11, s29
	v_sub_co_u32_e32 v4, vcc, v10, v4
	v_subb_co_u32_e64 v7, s[0:1], v7, v11, vcc
	v_subrev_co_u32_e64 v10, s[0:1], s28, v4
	v_subbrev_co_u32_e64 v7, s[0:1], 0, v7, s[0:1]
	v_cmp_le_u32_e64 s[0:1], s29, v7
	v_cndmask_b32_e64 v11, 0, -1, s[0:1]
	v_cmp_le_u32_e64 s[0:1], s28, v10
	v_cndmask_b32_e64 v10, 0, -1, s[0:1]
	v_cmp_eq_u32_e64 s[0:1], s29, v7
	v_cndmask_b32_e64 v7, v11, v10, s[0:1]
	v_add_co_u32_e64 v10, s[0:1], 2, v3
	v_subb_co_u32_e32 v5, vcc, v9, v5, vcc
	v_addc_co_u32_e64 v11, s[0:1], 0, v6, s[0:1]
	v_cmp_le_u32_e32 vcc, s29, v5
	v_add_co_u32_e64 v12, s[0:1], 1, v3
	v_cndmask_b32_e64 v9, 0, -1, vcc
	v_cmp_le_u32_e32 vcc, s28, v4
	v_addc_co_u32_e64 v13, s[0:1], 0, v6, s[0:1]
	v_cndmask_b32_e64 v4, 0, -1, vcc
	v_cmp_eq_u32_e32 vcc, s29, v5
	v_cmp_ne_u32_e64 s[0:1], 0, v7
	v_cndmask_b32_e32 v4, v9, v4, vcc
	v_cndmask_b32_e64 v7, v13, v11, s[0:1]
	v_cmp_ne_u32_e32 vcc, 0, v4
	v_cndmask_b32_e64 v5, v12, v10, s[0:1]
	v_cndmask_b32_e32 v4, v6, v7, vcc
	v_cndmask_b32_e32 v3, v3, v5, vcc
	v_xor_b32_e32 v6, s26, v8
	v_xor_b32_e32 v5, s27, v8
	;; [unrolled: 1-line block ×4, first 2 shown]
	v_sub_co_u32_e32 v4, vcc, v3, v6
	v_subb_co_u32_e32 v5, vcc, v7, v5, vcc
.LBB80_5:                               ;   in Loop: Header=BB80_3 Depth=1
	s_andn2_saveexec_b64 s[0:1], s[24:25]
	s_cbranch_execz .LBB80_7
; %bb.6:                                ;   in Loop: Header=BB80_3 Depth=1
	s_sub_i32 s16, 0, s33
	v_mul_lo_u32 v3, s16, v24
	v_mul_hi_u32 v3, v24, v3
	v_add_u32_e32 v3, v24, v3
	v_mul_hi_u32 v3, v0, v3
	v_mul_lo_u32 v4, v3, s33
	v_sub_u32_e32 v4, v0, v4
	v_subrev_u32_e32 v5, s33, v4
	v_cmp_le_u32_e32 vcc, s33, v4
	v_cndmask_b32_e32 v4, v4, v5, vcc
	v_add_u32_e32 v5, 1, v3
	v_cndmask_b32_e32 v3, v3, v5, vcc
	v_add_u32_e32 v5, 1, v3
	v_cmp_le_u32_e32 vcc, s33, v4
	v_cndmask_b32_e32 v4, v3, v5, vcc
	v_mov_b32_e32 v5, v2
.LBB80_7:                               ;   in Loop: Header=BB80_3 Depth=1
	s_or_b64 exec, exec, s[0:1]
	v_or_b32_e32 v3, s42, v5
	v_cmp_ne_u64_e32 vcc, 0, v[2:3]
                                        ; implicit-def: $vgpr6_vgpr7
	s_and_saveexec_b64 s[0:1], vcc
	s_xor_b64 s[24:25], exec, s[0:1]
	s_cbranch_execz .LBB80_9
; %bb.8:                                ;   in Loop: Header=BB80_3 Depth=1
	s_add_u32 s0, s41, s42
	s_mov_b32 s26, s42
	s_mov_b32 s27, s42
	s_addc_u32 s1, s42, s42
	s_xor_b64 s[28:29], s[0:1], s[26:27]
	v_cvt_f32_u32_e32 v3, s28
	v_cvt_f32_u32_e32 v6, s29
	s_sub_u32 s0, 0, s28
	s_subb_u32 s1, 0, s29
	v_mac_f32_e32 v3, 0x4f800000, v6
	v_rcp_f32_e32 v3, v3
	v_mul_f32_e32 v3, 0x5f7ffffc, v3
	v_mul_f32_e32 v6, 0x2f800000, v3
	v_trunc_f32_e32 v6, v6
	v_mac_f32_e32 v3, 0xcf800000, v6
	v_cvt_u32_f32_e32 v6, v6
	v_cvt_u32_f32_e32 v3, v3
	v_mul_lo_u32 v7, s0, v6
	v_mul_hi_u32 v9, s0, v3
	v_mul_lo_u32 v8, s1, v3
	v_add_u32_e32 v7, v9, v7
	v_mul_lo_u32 v10, s0, v3
	v_add_u32_e32 v7, v7, v8
	v_mul_lo_u32 v9, v3, v7
	v_mul_hi_u32 v11, v3, v10
	v_mul_hi_u32 v8, v3, v7
	v_add_co_u32_e32 v9, vcc, v11, v9
	v_addc_co_u32_e32 v8, vcc, 0, v8, vcc
	v_mul_hi_u32 v12, v6, v10
	v_mul_lo_u32 v10, v6, v10
	v_add_co_u32_e32 v9, vcc, v9, v10
	v_mul_hi_u32 v11, v6, v7
	v_addc_co_u32_e32 v8, vcc, v8, v12, vcc
	v_addc_co_u32_e32 v9, vcc, 0, v11, vcc
	v_mul_lo_u32 v7, v6, v7
	v_add_co_u32_e32 v7, vcc, v8, v7
	v_addc_co_u32_e32 v8, vcc, 0, v9, vcc
	v_add_co_u32_e32 v3, vcc, v3, v7
	v_addc_co_u32_e32 v6, vcc, v6, v8, vcc
	v_mul_lo_u32 v7, s0, v6
	v_mul_hi_u32 v8, s0, v3
	v_add_u32_e32 v7, v8, v7
	v_mul_lo_u32 v8, s1, v3
	v_add_u32_e32 v7, v7, v8
	v_mul_lo_u32 v9, s0, v3
	v_mul_hi_u32 v10, v6, v9
	v_mul_lo_u32 v11, v6, v9
	v_mul_lo_u32 v13, v3, v7
	v_mul_hi_u32 v9, v3, v9
	v_mul_hi_u32 v12, v3, v7
	v_add_co_u32_e32 v9, vcc, v9, v13
	v_addc_co_u32_e32 v12, vcc, 0, v12, vcc
	v_add_co_u32_e32 v9, vcc, v9, v11
	v_mul_hi_u32 v8, v6, v7
	v_addc_co_u32_e32 v9, vcc, v12, v10, vcc
	v_addc_co_u32_e32 v8, vcc, 0, v8, vcc
	v_mul_lo_u32 v7, v6, v7
	v_add_co_u32_e32 v7, vcc, v9, v7
	v_addc_co_u32_e32 v8, vcc, 0, v8, vcc
	v_add_co_u32_e32 v3, vcc, v3, v7
	v_addc_co_u32_e32 v8, vcc, v6, v8, vcc
	v_ashrrev_i32_e32 v10, 31, v5
	v_add_co_u32_e32 v6, vcc, v4, v10
	v_xor_b32_e32 v11, v6, v10
	v_addc_co_u32_e32 v5, vcc, v5, v10, vcc
	v_mad_u64_u32 v[6:7], s[0:1], v11, v8, 0
	v_mul_hi_u32 v9, v11, v3
	v_xor_b32_e32 v5, v5, v10
	v_add_co_u32_e32 v12, vcc, v9, v6
	v_addc_co_u32_e32 v13, vcc, 0, v7, vcc
	v_mad_u64_u32 v[6:7], s[0:1], v5, v8, 0
	v_mad_u64_u32 v[8:9], s[0:1], v5, v3, 0
	v_add_co_u32_e32 v3, vcc, v12, v8
	v_addc_co_u32_e32 v3, vcc, v13, v9, vcc
	v_addc_co_u32_e32 v7, vcc, 0, v7, vcc
	v_add_co_u32_e32 v3, vcc, v3, v6
	v_addc_co_u32_e32 v8, vcc, 0, v7, vcc
	v_mul_lo_u32 v9, s29, v3
	v_mul_lo_u32 v12, s28, v8
	v_mad_u64_u32 v[6:7], s[0:1], s28, v3, 0
	v_add3_u32 v7, v7, v12, v9
	v_sub_u32_e32 v9, v5, v7
	v_mov_b32_e32 v12, s29
	v_sub_co_u32_e32 v6, vcc, v11, v6
	v_subb_co_u32_e64 v9, s[0:1], v9, v12, vcc
	v_subrev_co_u32_e64 v11, s[0:1], s28, v6
	v_subbrev_co_u32_e64 v9, s[0:1], 0, v9, s[0:1]
	v_cmp_le_u32_e64 s[0:1], s29, v9
	v_cndmask_b32_e64 v12, 0, -1, s[0:1]
	v_cmp_le_u32_e64 s[0:1], s28, v11
	v_cndmask_b32_e64 v11, 0, -1, s[0:1]
	v_cmp_eq_u32_e64 s[0:1], s29, v9
	v_cndmask_b32_e64 v9, v12, v11, s[0:1]
	v_add_co_u32_e64 v11, s[0:1], 2, v3
	v_subb_co_u32_e32 v5, vcc, v5, v7, vcc
	v_addc_co_u32_e64 v12, s[0:1], 0, v8, s[0:1]
	v_cmp_le_u32_e32 vcc, s29, v5
	v_add_co_u32_e64 v13, s[0:1], 1, v3
	v_cndmask_b32_e64 v7, 0, -1, vcc
	v_cmp_le_u32_e32 vcc, s28, v6
	v_addc_co_u32_e64 v14, s[0:1], 0, v8, s[0:1]
	v_cndmask_b32_e64 v6, 0, -1, vcc
	v_cmp_eq_u32_e32 vcc, s29, v5
	v_cmp_ne_u32_e64 s[0:1], 0, v9
	v_cndmask_b32_e32 v5, v7, v6, vcc
	v_cmp_ne_u32_e32 vcc, 0, v5
	v_cndmask_b32_e64 v6, v13, v11, s[0:1]
	v_cndmask_b32_e64 v9, v14, v12, s[0:1]
	v_cndmask_b32_e32 v3, v3, v6, vcc
	v_xor_b32_e32 v6, s26, v10
	v_cndmask_b32_e32 v5, v8, v9, vcc
	v_xor_b32_e32 v7, s27, v10
	v_xor_b32_e32 v3, v3, v6
	;; [unrolled: 1-line block ×3, first 2 shown]
	v_sub_co_u32_e32 v6, vcc, v3, v6
	v_subb_co_u32_e32 v7, vcc, v5, v7, vcc
.LBB80_9:                               ;   in Loop: Header=BB80_3 Depth=1
	s_andn2_saveexec_b64 s[0:1], s[24:25]
	s_cbranch_execz .LBB80_11
; %bb.10:                               ;   in Loop: Header=BB80_3 Depth=1
	v_cvt_f32_u32_e32 v3, s41
	s_sub_i32 s16, 0, s41
	v_rcp_iflag_f32_e32 v3, v3
	v_mul_f32_e32 v3, 0x4f7ffffe, v3
	v_cvt_u32_f32_e32 v3, v3
	v_mul_lo_u32 v5, s16, v3
	v_mul_hi_u32 v5, v3, v5
	v_add_u32_e32 v3, v3, v5
	v_mul_hi_u32 v3, v4, v3
	v_mul_lo_u32 v5, v3, s41
	v_sub_u32_e32 v5, v4, v5
	v_add_u32_e32 v6, 1, v3
	v_subrev_u32_e32 v7, s41, v5
	v_cmp_le_u32_e32 vcc, s41, v5
	v_cndmask_b32_e32 v5, v5, v7, vcc
	v_cndmask_b32_e32 v3, v3, v6, vcc
	v_add_u32_e32 v6, 1, v3
	v_cmp_le_u32_e32 vcc, s41, v5
	v_cndmask_b32_e32 v6, v3, v6, vcc
	v_mov_b32_e32 v7, v2
.LBB80_11:                              ;   in Loop: Header=BB80_3 Depth=1
	s_or_b64 exec, exec, s[0:1]
	v_mad_u64_u32 v[8:9], s[0:1], v4, s33, 0
	v_sub_co_u32_e32 v25, vcc, v0, v8
	v_mad_u64_u32 v[8:9], s[0:1], v6, s41, 0
	v_sub_co_u32_e32 v3, vcc, v4, v8
	v_sub_u32_e32 v4, v25, v3
	v_ashrrev_i32_e32 v5, 31, v4
	v_cmp_gt_i64_e32 vcc, s[8:9], v[4:5]
	s_and_saveexec_b64 s[24:25], vcc
	s_cbranch_execz .LBB80_2
; %bb.12:                               ;   in Loop: Header=BB80_3 Depth=1
	s_load_dword s0, s[4:5], 0x0
	s_load_dword s1, s[12:13], 0x0
	s_andn2_b64 vcc, exec, s[6:7]
	s_waitcnt lgkmcnt(0)
	v_mul_lo_u32 v4, s0, v25
	v_mad_u64_u32 v[4:5], s[0:1], s1, v3, v[4:5]
	s_cbranch_vccnz .LBB80_57
; %bb.13:                               ;   in Loop: Header=BB80_3 Depth=1
	s_andn2_b64 vcc, exec, s[18:19]
	s_cbranch_vccnz .LBB80_20
; %bb.14:                               ;   in Loop: Header=BB80_3 Depth=1
	s_mov_b32 s36, s48
	s_mov_b32 s16, s45
	s_branch .LBB80_16
.LBB80_15:                              ;   in Loop: Header=BB80_16 Depth=2
	s_or_b64 exec, exec, s[0:1]
	s_add_u32 s0, s43, s26
	s_addc_u32 s1, s44, s27
	s_load_dword s0, s[0:1], 0x0
	v_mul_lo_u32 v3, v6, s37
	v_sub_u32_e32 v3, v8, v3
	s_add_i32 s16, s16, -1
	s_add_i32 s36, s36, -1
	s_cmp_lg_u32 s36, 0
	s_waitcnt lgkmcnt(0)
	v_mad_u64_u32 v[4:5], s[0:1], s0, v3, v[4:5]
	s_cbranch_scc0 .LBB80_21
.LBB80_16:                              ;   Parent Loop BB80_3 Depth=1
                                        ; =>  This Inner Loop Header: Depth=2
	s_lshl_b64 s[26:27], s[16:17], 2
	s_add_u32 s0, s39, s26
	s_addc_u32 s1, s40, s27
	s_load_dword s37, s[0:1], 0x0
	v_pk_mov_b32 v[8:9], v[6:7], v[6:7] op_sel:[0,1]
                                        ; implicit-def: $vgpr6_vgpr7
	s_waitcnt lgkmcnt(0)
	s_ashr_i32 s0, s37, 31
	v_or_b32_e32 v3, s0, v9
	v_cmp_ne_u64_e32 vcc, 0, v[2:3]
	s_and_saveexec_b64 s[28:29], vcc
	s_xor_b64 s[28:29], exec, s[28:29]
	s_cbranch_execz .LBB80_18
; %bb.17:                               ;   in Loop: Header=BB80_16 Depth=2
	s_add_u32 s34, s37, s0
	s_mov_b32 s30, s0
	s_mov_b32 s31, s0
	s_addc_u32 s35, s0, s0
	s_xor_b64 s[34:35], s[34:35], s[30:31]
	v_cvt_f32_u32_e32 v3, s34
	v_cvt_f32_u32_e32 v5, s35
	s_sub_u32 s0, 0, s34
	s_subb_u32 s1, 0, s35
	v_mac_f32_e32 v3, 0x4f800000, v5
	v_rcp_f32_e32 v3, v3
	v_mul_f32_e32 v3, 0x5f7ffffc, v3
	v_mul_f32_e32 v5, 0x2f800000, v3
	v_trunc_f32_e32 v5, v5
	v_mac_f32_e32 v3, 0xcf800000, v5
	v_cvt_u32_f32_e32 v5, v5
	v_cvt_u32_f32_e32 v3, v3
	v_mul_lo_u32 v6, s0, v5
	v_mul_hi_u32 v10, s0, v3
	v_mul_lo_u32 v7, s1, v3
	v_add_u32_e32 v6, v10, v6
	v_mul_lo_u32 v11, s0, v3
	v_add_u32_e32 v6, v6, v7
	v_mul_lo_u32 v10, v3, v6
	v_mul_hi_u32 v12, v3, v11
	v_mul_hi_u32 v7, v3, v6
	v_add_co_u32_e32 v10, vcc, v12, v10
	v_addc_co_u32_e32 v7, vcc, 0, v7, vcc
	v_mul_hi_u32 v13, v5, v11
	v_mul_lo_u32 v11, v5, v11
	v_add_co_u32_e32 v10, vcc, v10, v11
	v_mul_hi_u32 v12, v5, v6
	v_addc_co_u32_e32 v7, vcc, v7, v13, vcc
	v_addc_co_u32_e32 v10, vcc, 0, v12, vcc
	v_mul_lo_u32 v6, v5, v6
	v_add_co_u32_e32 v6, vcc, v7, v6
	v_addc_co_u32_e32 v7, vcc, 0, v10, vcc
	v_add_co_u32_e32 v3, vcc, v3, v6
	v_addc_co_u32_e32 v5, vcc, v5, v7, vcc
	v_mul_lo_u32 v6, s0, v5
	v_mul_hi_u32 v7, s0, v3
	v_add_u32_e32 v6, v7, v6
	v_mul_lo_u32 v7, s1, v3
	v_add_u32_e32 v6, v6, v7
	v_mul_lo_u32 v10, s0, v3
	v_mul_hi_u32 v11, v5, v10
	v_mul_lo_u32 v12, v5, v10
	v_mul_lo_u32 v14, v3, v6
	v_mul_hi_u32 v10, v3, v10
	v_mul_hi_u32 v13, v3, v6
	v_add_co_u32_e32 v10, vcc, v10, v14
	v_addc_co_u32_e32 v13, vcc, 0, v13, vcc
	v_add_co_u32_e32 v10, vcc, v10, v12
	v_mul_hi_u32 v7, v5, v6
	v_addc_co_u32_e32 v10, vcc, v13, v11, vcc
	v_addc_co_u32_e32 v7, vcc, 0, v7, vcc
	v_mul_lo_u32 v6, v5, v6
	v_add_co_u32_e32 v6, vcc, v10, v6
	v_addc_co_u32_e32 v7, vcc, 0, v7, vcc
	v_add_co_u32_e32 v3, vcc, v3, v6
	v_addc_co_u32_e32 v5, vcc, v5, v7, vcc
	v_ashrrev_i32_e32 v12, 31, v9
	v_add_co_u32_e32 v6, vcc, v8, v12
	v_addc_co_u32_e32 v7, vcc, v9, v12, vcc
	v_xor_b32_e32 v13, v6, v12
	v_xor_b32_e32 v9, v7, v12
	v_mad_u64_u32 v[6:7], s[0:1], v13, v5, 0
	v_mul_hi_u32 v10, v13, v3
	v_add_co_u32_e32 v14, vcc, v10, v6
	v_addc_co_u32_e32 v15, vcc, 0, v7, vcc
	v_mad_u64_u32 v[10:11], s[0:1], v9, v3, 0
	v_add_co_u32_e32 v3, vcc, v14, v10
	v_mad_u64_u32 v[6:7], s[0:1], v9, v5, 0
	v_addc_co_u32_e32 v3, vcc, v15, v11, vcc
	v_addc_co_u32_e32 v5, vcc, 0, v7, vcc
	v_add_co_u32_e32 v3, vcc, v3, v6
	v_addc_co_u32_e32 v5, vcc, 0, v5, vcc
	v_mul_lo_u32 v10, s35, v3
	v_mul_lo_u32 v11, s34, v5
	v_mad_u64_u32 v[6:7], s[0:1], s34, v3, 0
	v_add3_u32 v7, v7, v11, v10
	v_sub_u32_e32 v10, v9, v7
	v_mov_b32_e32 v11, s35
	v_sub_co_u32_e32 v6, vcc, v13, v6
	v_subb_co_u32_e64 v10, s[0:1], v10, v11, vcc
	v_subrev_co_u32_e64 v11, s[0:1], s34, v6
	v_subbrev_co_u32_e64 v10, s[0:1], 0, v10, s[0:1]
	v_cmp_le_u32_e64 s[0:1], s35, v10
	v_cndmask_b32_e64 v13, 0, -1, s[0:1]
	v_cmp_le_u32_e64 s[0:1], s34, v11
	v_cndmask_b32_e64 v11, 0, -1, s[0:1]
	v_cmp_eq_u32_e64 s[0:1], s35, v10
	v_cndmask_b32_e64 v10, v13, v11, s[0:1]
	v_add_co_u32_e64 v11, s[0:1], 2, v3
	v_subb_co_u32_e32 v7, vcc, v9, v7, vcc
	v_addc_co_u32_e64 v13, s[0:1], 0, v5, s[0:1]
	v_cmp_le_u32_e32 vcc, s35, v7
	v_add_co_u32_e64 v14, s[0:1], 1, v3
	v_cndmask_b32_e64 v9, 0, -1, vcc
	v_cmp_le_u32_e32 vcc, s34, v6
	v_addc_co_u32_e64 v15, s[0:1], 0, v5, s[0:1]
	v_cndmask_b32_e64 v6, 0, -1, vcc
	v_cmp_eq_u32_e32 vcc, s35, v7
	v_cmp_ne_u32_e64 s[0:1], 0, v10
	v_cndmask_b32_e32 v6, v9, v6, vcc
	v_cmp_ne_u32_e32 vcc, 0, v6
	v_cndmask_b32_e64 v6, v14, v11, s[0:1]
	v_cndmask_b32_e64 v10, v15, v13, s[0:1]
	v_cndmask_b32_e32 v3, v3, v6, vcc
	v_xor_b32_e32 v6, s30, v12
	v_cndmask_b32_e32 v5, v5, v10, vcc
	v_xor_b32_e32 v7, s31, v12
	v_xor_b32_e32 v3, v3, v6
	;; [unrolled: 1-line block ×3, first 2 shown]
	v_sub_co_u32_e32 v6, vcc, v3, v6
	v_subb_co_u32_e32 v7, vcc, v5, v7, vcc
.LBB80_18:                              ;   in Loop: Header=BB80_16 Depth=2
	s_andn2_saveexec_b64 s[0:1], s[28:29]
	s_cbranch_execz .LBB80_15
; %bb.19:                               ;   in Loop: Header=BB80_16 Depth=2
	v_cvt_f32_u32_e32 v3, s37
	s_sub_i32 s28, 0, s37
	v_rcp_iflag_f32_e32 v3, v3
	v_mul_f32_e32 v3, 0x4f7ffffe, v3
	v_cvt_u32_f32_e32 v3, v3
	v_mul_lo_u32 v5, s28, v3
	v_mul_hi_u32 v5, v3, v5
	v_add_u32_e32 v3, v3, v5
	v_mul_hi_u32 v3, v8, v3
	v_mul_lo_u32 v5, v3, s37
	v_sub_u32_e32 v5, v8, v5
	v_add_u32_e32 v6, 1, v3
	v_subrev_u32_e32 v7, s37, v5
	v_cmp_le_u32_e32 vcc, s37, v5
	v_cndmask_b32_e32 v5, v5, v7, vcc
	v_cndmask_b32_e32 v3, v3, v6, vcc
	v_add_u32_e32 v6, 1, v3
	v_cmp_le_u32_e32 vcc, s37, v5
	v_cndmask_b32_e32 v6, v3, v6, vcc
	v_mov_b32_e32 v7, v2
	s_branch .LBB80_15
.LBB80_20:                              ;   in Loop: Header=BB80_3 Depth=1
	s_mov_b32 s16, s45
.LBB80_21:                              ;   in Loop: Header=BB80_3 Depth=1
	s_andn2_b64 vcc, exec, s[20:21]
	s_cbranch_vccnz .LBB80_57
; %bb.22:                               ;   in Loop: Header=BB80_3 Depth=1
	s_add_i32 s26, s16, -7
.LBB80_23:                              ;   Parent Loop BB80_3 Depth=1
                                        ; =>  This Inner Loop Header: Depth=2
	s_add_i32 s16, s26, 7
	s_lshl_b64 s[28:29], s[16:17], 2
	s_add_u32 s0, s39, s28
	s_addc_u32 s1, s40, s29
	s_load_dword s49, s[0:1], 0x0
                                        ; implicit-def: $vgpr8_vgpr9
	s_waitcnt lgkmcnt(0)
	s_ashr_i32 s0, s49, 31
	v_or_b32_e32 v3, s0, v7
	v_cmp_ne_u64_e32 vcc, 0, v[2:3]
	s_and_saveexec_b64 s[30:31], vcc
	s_xor_b64 s[30:31], exec, s[30:31]
	s_cbranch_execz .LBB80_25
; %bb.24:                               ;   in Loop: Header=BB80_23 Depth=2
	s_add_u32 s36, s49, s0
	s_mov_b32 s34, s0
	s_mov_b32 s35, s0
	s_addc_u32 s37, s0, s0
	s_xor_b64 s[36:37], s[36:37], s[34:35]
	v_cvt_f32_u32_e32 v3, s36
	v_cvt_f32_u32_e32 v5, s37
	s_sub_u32 s0, 0, s36
	s_subb_u32 s1, 0, s37
	v_mac_f32_e32 v3, 0x4f800000, v5
	v_rcp_f32_e32 v3, v3
	v_mul_f32_e32 v3, 0x5f7ffffc, v3
	v_mul_f32_e32 v5, 0x2f800000, v3
	v_trunc_f32_e32 v5, v5
	v_mac_f32_e32 v3, 0xcf800000, v5
	v_cvt_u32_f32_e32 v5, v5
	v_cvt_u32_f32_e32 v3, v3
	v_mul_lo_u32 v8, s0, v5
	v_mul_hi_u32 v10, s0, v3
	v_mul_lo_u32 v9, s1, v3
	v_add_u32_e32 v8, v10, v8
	v_mul_lo_u32 v11, s0, v3
	v_add_u32_e32 v8, v8, v9
	v_mul_lo_u32 v10, v3, v8
	v_mul_hi_u32 v12, v3, v11
	v_mul_hi_u32 v9, v3, v8
	v_add_co_u32_e32 v10, vcc, v12, v10
	v_addc_co_u32_e32 v9, vcc, 0, v9, vcc
	v_mul_hi_u32 v13, v5, v11
	v_mul_lo_u32 v11, v5, v11
	v_add_co_u32_e32 v10, vcc, v10, v11
	v_mul_hi_u32 v12, v5, v8
	v_addc_co_u32_e32 v9, vcc, v9, v13, vcc
	v_addc_co_u32_e32 v10, vcc, 0, v12, vcc
	v_mul_lo_u32 v8, v5, v8
	v_add_co_u32_e32 v8, vcc, v9, v8
	v_addc_co_u32_e32 v9, vcc, 0, v10, vcc
	v_add_co_u32_e32 v3, vcc, v3, v8
	v_addc_co_u32_e32 v5, vcc, v5, v9, vcc
	v_mul_lo_u32 v8, s0, v5
	v_mul_hi_u32 v9, s0, v3
	v_add_u32_e32 v8, v9, v8
	v_mul_lo_u32 v9, s1, v3
	v_add_u32_e32 v8, v8, v9
	v_mul_lo_u32 v10, s0, v3
	v_mul_hi_u32 v11, v5, v10
	v_mul_lo_u32 v12, v5, v10
	v_mul_lo_u32 v14, v3, v8
	v_mul_hi_u32 v10, v3, v10
	v_mul_hi_u32 v13, v3, v8
	v_add_co_u32_e32 v10, vcc, v10, v14
	v_addc_co_u32_e32 v13, vcc, 0, v13, vcc
	v_add_co_u32_e32 v10, vcc, v10, v12
	v_mul_hi_u32 v9, v5, v8
	v_addc_co_u32_e32 v10, vcc, v13, v11, vcc
	v_addc_co_u32_e32 v9, vcc, 0, v9, vcc
	v_mul_lo_u32 v8, v5, v8
	v_add_co_u32_e32 v8, vcc, v10, v8
	v_addc_co_u32_e32 v9, vcc, 0, v9, vcc
	v_add_co_u32_e32 v3, vcc, v3, v8
	v_addc_co_u32_e32 v5, vcc, v5, v9, vcc
	v_ashrrev_i32_e32 v12, 31, v7
	v_add_co_u32_e32 v8, vcc, v6, v12
	v_xor_b32_e32 v13, v8, v12
	v_addc_co_u32_e32 v7, vcc, v7, v12, vcc
	v_mad_u64_u32 v[8:9], s[0:1], v13, v5, 0
	v_mul_hi_u32 v10, v13, v3
	v_xor_b32_e32 v7, v7, v12
	v_add_co_u32_e32 v14, vcc, v10, v8
	v_addc_co_u32_e32 v15, vcc, 0, v9, vcc
	v_mad_u64_u32 v[10:11], s[0:1], v7, v3, 0
	v_add_co_u32_e32 v3, vcc, v14, v10
	v_mad_u64_u32 v[8:9], s[0:1], v7, v5, 0
	v_addc_co_u32_e32 v3, vcc, v15, v11, vcc
	v_addc_co_u32_e32 v5, vcc, 0, v9, vcc
	v_add_co_u32_e32 v3, vcc, v3, v8
	v_addc_co_u32_e32 v5, vcc, 0, v5, vcc
	v_mul_lo_u32 v10, s37, v3
	v_mul_lo_u32 v11, s36, v5
	v_mad_u64_u32 v[8:9], s[0:1], s36, v3, 0
	v_add3_u32 v9, v9, v11, v10
	v_sub_u32_e32 v10, v7, v9
	v_mov_b32_e32 v11, s37
	v_sub_co_u32_e32 v8, vcc, v13, v8
	v_subb_co_u32_e64 v10, s[0:1], v10, v11, vcc
	v_subrev_co_u32_e64 v11, s[0:1], s36, v8
	v_subbrev_co_u32_e64 v10, s[0:1], 0, v10, s[0:1]
	v_cmp_le_u32_e64 s[0:1], s37, v10
	v_cndmask_b32_e64 v13, 0, -1, s[0:1]
	v_cmp_le_u32_e64 s[0:1], s36, v11
	v_cndmask_b32_e64 v11, 0, -1, s[0:1]
	v_cmp_eq_u32_e64 s[0:1], s37, v10
	v_cndmask_b32_e64 v10, v13, v11, s[0:1]
	v_add_co_u32_e64 v11, s[0:1], 2, v3
	v_subb_co_u32_e32 v7, vcc, v7, v9, vcc
	v_addc_co_u32_e64 v13, s[0:1], 0, v5, s[0:1]
	v_cmp_le_u32_e32 vcc, s37, v7
	v_add_co_u32_e64 v14, s[0:1], 1, v3
	v_cndmask_b32_e64 v9, 0, -1, vcc
	v_cmp_le_u32_e32 vcc, s36, v8
	v_addc_co_u32_e64 v15, s[0:1], 0, v5, s[0:1]
	v_cndmask_b32_e64 v8, 0, -1, vcc
	v_cmp_eq_u32_e32 vcc, s37, v7
	v_cmp_ne_u32_e64 s[0:1], 0, v10
	v_cndmask_b32_e32 v7, v9, v8, vcc
	v_cmp_ne_u32_e32 vcc, 0, v7
	v_cndmask_b32_e64 v7, v14, v11, s[0:1]
	v_cndmask_b32_e64 v10, v15, v13, s[0:1]
	v_cndmask_b32_e32 v3, v3, v7, vcc
	v_xor_b32_e32 v8, s34, v12
	v_cndmask_b32_e32 v5, v5, v10, vcc
	v_xor_b32_e32 v7, s35, v12
	v_xor_b32_e32 v3, v3, v8
	;; [unrolled: 1-line block ×3, first 2 shown]
	v_sub_co_u32_e32 v8, vcc, v3, v8
	v_subb_co_u32_e32 v9, vcc, v5, v7, vcc
.LBB80_25:                              ;   in Loop: Header=BB80_23 Depth=2
	s_andn2_saveexec_b64 s[0:1], s[30:31]
	s_cbranch_execz .LBB80_27
; %bb.26:                               ;   in Loop: Header=BB80_23 Depth=2
	v_cvt_f32_u32_e32 v3, s49
	s_sub_i32 s16, 0, s49
	v_mov_b32_e32 v9, v2
	v_rcp_iflag_f32_e32 v3, v3
	v_mul_f32_e32 v3, 0x4f7ffffe, v3
	v_cvt_u32_f32_e32 v3, v3
	v_mul_lo_u32 v5, s16, v3
	v_mul_hi_u32 v5, v3, v5
	v_add_u32_e32 v3, v3, v5
	v_mul_hi_u32 v3, v6, v3
	v_mul_lo_u32 v5, v3, s49
	v_sub_u32_e32 v5, v6, v5
	v_add_u32_e32 v7, 1, v3
	v_subrev_u32_e32 v8, s49, v5
	v_cmp_le_u32_e32 vcc, s49, v5
	v_cndmask_b32_e32 v5, v5, v8, vcc
	v_cndmask_b32_e32 v3, v3, v7, vcc
	v_add_u32_e32 v7, 1, v3
	v_cmp_le_u32_e32 vcc, s49, v5
	v_cndmask_b32_e32 v8, v3, v7, vcc
.LBB80_27:                              ;   in Loop: Header=BB80_23 Depth=2
	s_or_b64 exec, exec, s[0:1]
	s_add_u32 s0, s43, s28
	s_addc_u32 s1, s44, s29
	s_add_i32 s16, s26, 6
	s_lshl_b64 s[28:29], s[16:17], 2
	s_add_u32 s30, s39, s28
	s_addc_u32 s31, s40, s29
	s_load_dword s50, s[30:31], 0x0
	s_load_dword s51, s[0:1], 0x0
                                        ; implicit-def: $vgpr10_vgpr11
	s_waitcnt lgkmcnt(0)
	s_ashr_i32 s0, s50, 31
	v_or_b32_e32 v3, s0, v9
	v_cmp_ne_u64_e32 vcc, 0, v[2:3]
	s_and_saveexec_b64 s[30:31], vcc
	s_xor_b64 s[30:31], exec, s[30:31]
	s_cbranch_execz .LBB80_29
; %bb.28:                               ;   in Loop: Header=BB80_23 Depth=2
	s_add_u32 s36, s50, s0
	s_mov_b32 s34, s0
	s_mov_b32 s35, s0
	s_addc_u32 s37, s0, s0
	s_xor_b64 s[36:37], s[36:37], s[34:35]
	v_cvt_f32_u32_e32 v3, s36
	v_cvt_f32_u32_e32 v5, s37
	s_sub_u32 s0, 0, s36
	s_subb_u32 s1, 0, s37
	v_mac_f32_e32 v3, 0x4f800000, v5
	v_rcp_f32_e32 v3, v3
	v_mul_f32_e32 v3, 0x5f7ffffc, v3
	v_mul_f32_e32 v5, 0x2f800000, v3
	v_trunc_f32_e32 v5, v5
	v_mac_f32_e32 v3, 0xcf800000, v5
	v_cvt_u32_f32_e32 v5, v5
	v_cvt_u32_f32_e32 v3, v3
	v_mul_lo_u32 v7, s0, v5
	v_mul_hi_u32 v11, s0, v3
	v_mul_lo_u32 v10, s1, v3
	v_add_u32_e32 v7, v11, v7
	v_mul_lo_u32 v12, s0, v3
	v_add_u32_e32 v7, v7, v10
	v_mul_lo_u32 v11, v3, v7
	v_mul_hi_u32 v13, v3, v12
	v_mul_hi_u32 v10, v3, v7
	v_add_co_u32_e32 v11, vcc, v13, v11
	v_addc_co_u32_e32 v10, vcc, 0, v10, vcc
	v_mul_hi_u32 v14, v5, v12
	v_mul_lo_u32 v12, v5, v12
	v_add_co_u32_e32 v11, vcc, v11, v12
	v_mul_hi_u32 v13, v5, v7
	v_addc_co_u32_e32 v10, vcc, v10, v14, vcc
	v_addc_co_u32_e32 v11, vcc, 0, v13, vcc
	v_mul_lo_u32 v7, v5, v7
	v_add_co_u32_e32 v7, vcc, v10, v7
	v_addc_co_u32_e32 v10, vcc, 0, v11, vcc
	v_add_co_u32_e32 v3, vcc, v3, v7
	v_addc_co_u32_e32 v5, vcc, v5, v10, vcc
	v_mul_lo_u32 v7, s0, v5
	v_mul_hi_u32 v10, s0, v3
	v_add_u32_e32 v7, v10, v7
	v_mul_lo_u32 v10, s1, v3
	v_add_u32_e32 v7, v7, v10
	v_mul_lo_u32 v11, s0, v3
	v_mul_hi_u32 v12, v5, v11
	v_mul_lo_u32 v13, v5, v11
	v_mul_lo_u32 v15, v3, v7
	v_mul_hi_u32 v11, v3, v11
	v_mul_hi_u32 v14, v3, v7
	v_add_co_u32_e32 v11, vcc, v11, v15
	v_addc_co_u32_e32 v14, vcc, 0, v14, vcc
	v_add_co_u32_e32 v11, vcc, v11, v13
	v_mul_hi_u32 v10, v5, v7
	v_addc_co_u32_e32 v11, vcc, v14, v12, vcc
	v_addc_co_u32_e32 v10, vcc, 0, v10, vcc
	v_mul_lo_u32 v7, v5, v7
	v_add_co_u32_e32 v7, vcc, v11, v7
	v_addc_co_u32_e32 v10, vcc, 0, v10, vcc
	v_add_co_u32_e32 v3, vcc, v3, v7
	v_addc_co_u32_e32 v5, vcc, v5, v10, vcc
	v_ashrrev_i32_e32 v7, 31, v9
	v_add_co_u32_e32 v10, vcc, v8, v7
	v_xor_b32_e32 v14, v10, v7
	v_addc_co_u32_e32 v9, vcc, v9, v7, vcc
	v_mad_u64_u32 v[10:11], s[0:1], v14, v5, 0
	v_mul_hi_u32 v12, v14, v3
	v_xor_b32_e32 v9, v9, v7
	v_add_co_u32_e32 v15, vcc, v12, v10
	v_addc_co_u32_e32 v16, vcc, 0, v11, vcc
	v_mad_u64_u32 v[12:13], s[0:1], v9, v3, 0
	v_add_co_u32_e32 v3, vcc, v15, v12
	v_mad_u64_u32 v[10:11], s[0:1], v9, v5, 0
	v_addc_co_u32_e32 v3, vcc, v16, v13, vcc
	v_addc_co_u32_e32 v5, vcc, 0, v11, vcc
	v_add_co_u32_e32 v3, vcc, v3, v10
	v_addc_co_u32_e32 v5, vcc, 0, v5, vcc
	v_mul_lo_u32 v12, s37, v3
	v_mul_lo_u32 v13, s36, v5
	v_mad_u64_u32 v[10:11], s[0:1], s36, v3, 0
	v_add3_u32 v11, v11, v13, v12
	v_sub_u32_e32 v12, v9, v11
	v_mov_b32_e32 v13, s37
	v_sub_co_u32_e32 v10, vcc, v14, v10
	v_subb_co_u32_e64 v12, s[0:1], v12, v13, vcc
	v_subrev_co_u32_e64 v13, s[0:1], s36, v10
	v_subbrev_co_u32_e64 v12, s[0:1], 0, v12, s[0:1]
	v_cmp_le_u32_e64 s[0:1], s37, v12
	v_cndmask_b32_e64 v14, 0, -1, s[0:1]
	v_cmp_le_u32_e64 s[0:1], s36, v13
	v_cndmask_b32_e64 v13, 0, -1, s[0:1]
	v_cmp_eq_u32_e64 s[0:1], s37, v12
	v_cndmask_b32_e64 v12, v14, v13, s[0:1]
	v_add_co_u32_e64 v13, s[0:1], 2, v3
	v_subb_co_u32_e32 v9, vcc, v9, v11, vcc
	v_addc_co_u32_e64 v14, s[0:1], 0, v5, s[0:1]
	v_cmp_le_u32_e32 vcc, s37, v9
	v_add_co_u32_e64 v15, s[0:1], 1, v3
	v_cndmask_b32_e64 v11, 0, -1, vcc
	v_cmp_le_u32_e32 vcc, s36, v10
	v_addc_co_u32_e64 v16, s[0:1], 0, v5, s[0:1]
	v_cndmask_b32_e64 v10, 0, -1, vcc
	v_cmp_eq_u32_e32 vcc, s37, v9
	v_cmp_ne_u32_e64 s[0:1], 0, v12
	v_cndmask_b32_e32 v9, v11, v10, vcc
	v_cmp_ne_u32_e32 vcc, 0, v9
	v_cndmask_b32_e64 v9, v15, v13, s[0:1]
	v_cndmask_b32_e64 v12, v16, v14, s[0:1]
	v_cndmask_b32_e32 v3, v3, v9, vcc
	v_xor_b32_e32 v9, s35, v7
	v_xor_b32_e32 v7, s34, v7
	v_cndmask_b32_e32 v5, v5, v12, vcc
	v_xor_b32_e32 v3, v3, v7
	v_xor_b32_e32 v5, v5, v9
	v_sub_co_u32_e32 v10, vcc, v3, v7
	v_subb_co_u32_e32 v11, vcc, v5, v9, vcc
.LBB80_29:                              ;   in Loop: Header=BB80_23 Depth=2
	s_andn2_saveexec_b64 s[0:1], s[30:31]
	s_cbranch_execz .LBB80_31
; %bb.30:                               ;   in Loop: Header=BB80_23 Depth=2
	v_cvt_f32_u32_e32 v3, s50
	s_sub_i32 s16, 0, s50
	v_mov_b32_e32 v11, v2
	v_rcp_iflag_f32_e32 v3, v3
	v_mul_f32_e32 v3, 0x4f7ffffe, v3
	v_cvt_u32_f32_e32 v3, v3
	v_mul_lo_u32 v5, s16, v3
	v_mul_hi_u32 v5, v3, v5
	v_add_u32_e32 v3, v3, v5
	v_mul_hi_u32 v3, v8, v3
	v_mul_lo_u32 v5, v3, s50
	v_sub_u32_e32 v5, v8, v5
	v_add_u32_e32 v7, 1, v3
	v_subrev_u32_e32 v9, s50, v5
	v_cmp_le_u32_e32 vcc, s50, v5
	v_cndmask_b32_e32 v5, v5, v9, vcc
	v_cndmask_b32_e32 v3, v3, v7, vcc
	v_add_u32_e32 v7, 1, v3
	v_cmp_le_u32_e32 vcc, s50, v5
	v_cndmask_b32_e32 v10, v3, v7, vcc
.LBB80_31:                              ;   in Loop: Header=BB80_23 Depth=2
	s_or_b64 exec, exec, s[0:1]
	s_add_u32 s0, s43, s28
	s_addc_u32 s1, s44, s29
	s_add_i32 s16, s26, 5
	s_lshl_b64 s[28:29], s[16:17], 2
	s_add_u32 s30, s39, s28
	s_addc_u32 s31, s40, s29
	s_load_dword s52, s[30:31], 0x0
	s_load_dword s53, s[0:1], 0x0
                                        ; implicit-def: $vgpr12_vgpr13
	s_waitcnt lgkmcnt(0)
	s_ashr_i32 s0, s52, 31
	v_or_b32_e32 v3, s0, v11
	v_cmp_ne_u64_e32 vcc, 0, v[2:3]
	s_and_saveexec_b64 s[30:31], vcc
	s_xor_b64 s[30:31], exec, s[30:31]
	s_cbranch_execz .LBB80_33
; %bb.32:                               ;   in Loop: Header=BB80_23 Depth=2
	s_add_u32 s36, s52, s0
	s_mov_b32 s34, s0
	s_mov_b32 s35, s0
	s_addc_u32 s37, s0, s0
	s_xor_b64 s[36:37], s[36:37], s[34:35]
	v_cvt_f32_u32_e32 v3, s36
	v_cvt_f32_u32_e32 v5, s37
	s_sub_u32 s0, 0, s36
	s_subb_u32 s1, 0, s37
	v_mac_f32_e32 v3, 0x4f800000, v5
	v_rcp_f32_e32 v3, v3
	v_mul_f32_e32 v3, 0x5f7ffffc, v3
	v_mul_f32_e32 v5, 0x2f800000, v3
	v_trunc_f32_e32 v5, v5
	v_mac_f32_e32 v3, 0xcf800000, v5
	v_cvt_u32_f32_e32 v5, v5
	v_cvt_u32_f32_e32 v3, v3
	v_mul_lo_u32 v7, s0, v5
	v_mul_hi_u32 v12, s0, v3
	v_mul_lo_u32 v9, s1, v3
	v_add_u32_e32 v7, v12, v7
	v_mul_lo_u32 v13, s0, v3
	v_add_u32_e32 v7, v7, v9
	v_mul_lo_u32 v12, v3, v7
	v_mul_hi_u32 v14, v3, v13
	v_mul_hi_u32 v9, v3, v7
	v_add_co_u32_e32 v12, vcc, v14, v12
	v_addc_co_u32_e32 v9, vcc, 0, v9, vcc
	v_mul_hi_u32 v15, v5, v13
	v_mul_lo_u32 v13, v5, v13
	v_add_co_u32_e32 v12, vcc, v12, v13
	v_mul_hi_u32 v14, v5, v7
	v_addc_co_u32_e32 v9, vcc, v9, v15, vcc
	v_addc_co_u32_e32 v12, vcc, 0, v14, vcc
	v_mul_lo_u32 v7, v5, v7
	v_add_co_u32_e32 v7, vcc, v9, v7
	v_addc_co_u32_e32 v9, vcc, 0, v12, vcc
	v_add_co_u32_e32 v3, vcc, v3, v7
	v_addc_co_u32_e32 v5, vcc, v5, v9, vcc
	v_mul_lo_u32 v7, s0, v5
	v_mul_hi_u32 v9, s0, v3
	v_add_u32_e32 v7, v9, v7
	v_mul_lo_u32 v9, s1, v3
	v_add_u32_e32 v7, v7, v9
	v_mul_lo_u32 v12, s0, v3
	v_mul_hi_u32 v13, v5, v12
	v_mul_lo_u32 v14, v5, v12
	v_mul_lo_u32 v16, v3, v7
	v_mul_hi_u32 v12, v3, v12
	v_mul_hi_u32 v15, v3, v7
	v_add_co_u32_e32 v12, vcc, v12, v16
	v_addc_co_u32_e32 v15, vcc, 0, v15, vcc
	v_add_co_u32_e32 v12, vcc, v12, v14
	v_mul_hi_u32 v9, v5, v7
	v_addc_co_u32_e32 v12, vcc, v15, v13, vcc
	v_addc_co_u32_e32 v9, vcc, 0, v9, vcc
	v_mul_lo_u32 v7, v5, v7
	v_add_co_u32_e32 v7, vcc, v12, v7
	v_addc_co_u32_e32 v9, vcc, 0, v9, vcc
	v_add_co_u32_e32 v3, vcc, v3, v7
	v_addc_co_u32_e32 v5, vcc, v5, v9, vcc
	v_ashrrev_i32_e32 v7, 31, v11
	v_add_co_u32_e32 v9, vcc, v10, v7
	v_xor_b32_e32 v9, v9, v7
	v_addc_co_u32_e32 v11, vcc, v11, v7, vcc
	v_mad_u64_u32 v[12:13], s[0:1], v9, v5, 0
	v_mul_hi_u32 v14, v9, v3
	v_xor_b32_e32 v11, v11, v7
	v_add_co_u32_e32 v16, vcc, v14, v12
	v_addc_co_u32_e32 v17, vcc, 0, v13, vcc
	v_mad_u64_u32 v[14:15], s[0:1], v11, v3, 0
	v_add_co_u32_e32 v3, vcc, v16, v14
	v_mad_u64_u32 v[12:13], s[0:1], v11, v5, 0
	v_addc_co_u32_e32 v3, vcc, v17, v15, vcc
	v_addc_co_u32_e32 v5, vcc, 0, v13, vcc
	v_add_co_u32_e32 v3, vcc, v3, v12
	v_addc_co_u32_e32 v5, vcc, 0, v5, vcc
	v_mul_lo_u32 v14, s37, v3
	v_mul_lo_u32 v15, s36, v5
	v_mad_u64_u32 v[12:13], s[0:1], s36, v3, 0
	v_add3_u32 v13, v13, v15, v14
	v_sub_u32_e32 v14, v11, v13
	v_mov_b32_e32 v15, s37
	v_sub_co_u32_e32 v9, vcc, v9, v12
	v_subb_co_u32_e64 v12, s[0:1], v14, v15, vcc
	v_subrev_co_u32_e64 v14, s[0:1], s36, v9
	v_subbrev_co_u32_e64 v12, s[0:1], 0, v12, s[0:1]
	v_cmp_le_u32_e64 s[0:1], s37, v12
	v_cndmask_b32_e64 v15, 0, -1, s[0:1]
	v_cmp_le_u32_e64 s[0:1], s36, v14
	v_cndmask_b32_e64 v14, 0, -1, s[0:1]
	v_cmp_eq_u32_e64 s[0:1], s37, v12
	v_cndmask_b32_e64 v12, v15, v14, s[0:1]
	v_add_co_u32_e64 v14, s[0:1], 2, v3
	v_subb_co_u32_e32 v11, vcc, v11, v13, vcc
	v_addc_co_u32_e64 v15, s[0:1], 0, v5, s[0:1]
	v_cmp_le_u32_e32 vcc, s37, v11
	v_add_co_u32_e64 v16, s[0:1], 1, v3
	v_cndmask_b32_e64 v13, 0, -1, vcc
	v_cmp_le_u32_e32 vcc, s36, v9
	v_addc_co_u32_e64 v17, s[0:1], 0, v5, s[0:1]
	v_cndmask_b32_e64 v9, 0, -1, vcc
	v_cmp_eq_u32_e32 vcc, s37, v11
	v_cmp_ne_u32_e64 s[0:1], 0, v12
	v_cndmask_b32_e32 v9, v13, v9, vcc
	v_cmp_ne_u32_e32 vcc, 0, v9
	v_cndmask_b32_e64 v9, v16, v14, s[0:1]
	v_cndmask_b32_e64 v12, v17, v15, s[0:1]
	v_cndmask_b32_e32 v3, v3, v9, vcc
	v_xor_b32_e32 v9, s35, v7
	v_xor_b32_e32 v7, s34, v7
	v_cndmask_b32_e32 v5, v5, v12, vcc
	v_xor_b32_e32 v3, v3, v7
	v_xor_b32_e32 v5, v5, v9
	v_sub_co_u32_e32 v12, vcc, v3, v7
	v_subb_co_u32_e32 v13, vcc, v5, v9, vcc
.LBB80_33:                              ;   in Loop: Header=BB80_23 Depth=2
	s_andn2_saveexec_b64 s[0:1], s[30:31]
	s_cbranch_execz .LBB80_35
; %bb.34:                               ;   in Loop: Header=BB80_23 Depth=2
	v_cvt_f32_u32_e32 v3, s52
	s_sub_i32 s16, 0, s52
	v_mov_b32_e32 v13, v2
	v_rcp_iflag_f32_e32 v3, v3
	v_mul_f32_e32 v3, 0x4f7ffffe, v3
	v_cvt_u32_f32_e32 v3, v3
	v_mul_lo_u32 v5, s16, v3
	v_mul_hi_u32 v5, v3, v5
	v_add_u32_e32 v3, v3, v5
	v_mul_hi_u32 v3, v10, v3
	v_mul_lo_u32 v5, v3, s52
	v_sub_u32_e32 v5, v10, v5
	v_add_u32_e32 v7, 1, v3
	v_subrev_u32_e32 v9, s52, v5
	v_cmp_le_u32_e32 vcc, s52, v5
	v_cndmask_b32_e32 v5, v5, v9, vcc
	v_cndmask_b32_e32 v3, v3, v7, vcc
	v_add_u32_e32 v7, 1, v3
	v_cmp_le_u32_e32 vcc, s52, v5
	v_cndmask_b32_e32 v12, v3, v7, vcc
.LBB80_35:                              ;   in Loop: Header=BB80_23 Depth=2
	s_or_b64 exec, exec, s[0:1]
	s_add_u32 s0, s43, s28
	s_addc_u32 s1, s44, s29
	s_add_i32 s16, s26, 4
	s_lshl_b64 s[28:29], s[16:17], 2
	s_add_u32 s30, s39, s28
	s_addc_u32 s31, s40, s29
	s_load_dword s54, s[30:31], 0x0
	s_load_dword s55, s[0:1], 0x0
                                        ; implicit-def: $vgpr14_vgpr15
	s_waitcnt lgkmcnt(0)
	s_ashr_i32 s0, s54, 31
	v_or_b32_e32 v3, s0, v13
	v_cmp_ne_u64_e32 vcc, 0, v[2:3]
	s_and_saveexec_b64 s[30:31], vcc
	s_xor_b64 s[30:31], exec, s[30:31]
	s_cbranch_execz .LBB80_37
; %bb.36:                               ;   in Loop: Header=BB80_23 Depth=2
	s_add_u32 s36, s54, s0
	s_mov_b32 s34, s0
	s_mov_b32 s35, s0
	s_addc_u32 s37, s0, s0
	s_xor_b64 s[36:37], s[36:37], s[34:35]
	v_cvt_f32_u32_e32 v3, s36
	v_cvt_f32_u32_e32 v5, s37
	s_sub_u32 s0, 0, s36
	s_subb_u32 s1, 0, s37
	v_mac_f32_e32 v3, 0x4f800000, v5
	v_rcp_f32_e32 v3, v3
	v_mul_f32_e32 v3, 0x5f7ffffc, v3
	v_mul_f32_e32 v5, 0x2f800000, v3
	v_trunc_f32_e32 v5, v5
	v_mac_f32_e32 v3, 0xcf800000, v5
	v_cvt_u32_f32_e32 v5, v5
	v_cvt_u32_f32_e32 v3, v3
	v_mul_lo_u32 v7, s0, v5
	v_mul_hi_u32 v11, s0, v3
	v_mul_lo_u32 v9, s1, v3
	v_add_u32_e32 v7, v11, v7
	v_mul_lo_u32 v14, s0, v3
	v_add_u32_e32 v7, v7, v9
	v_mul_lo_u32 v11, v3, v7
	v_mul_hi_u32 v15, v3, v14
	v_mul_hi_u32 v9, v3, v7
	v_add_co_u32_e32 v11, vcc, v15, v11
	v_addc_co_u32_e32 v9, vcc, 0, v9, vcc
	v_mul_hi_u32 v16, v5, v14
	v_mul_lo_u32 v14, v5, v14
	v_add_co_u32_e32 v11, vcc, v11, v14
	v_mul_hi_u32 v15, v5, v7
	v_addc_co_u32_e32 v9, vcc, v9, v16, vcc
	v_addc_co_u32_e32 v11, vcc, 0, v15, vcc
	v_mul_lo_u32 v7, v5, v7
	v_add_co_u32_e32 v7, vcc, v9, v7
	v_addc_co_u32_e32 v9, vcc, 0, v11, vcc
	v_add_co_u32_e32 v3, vcc, v3, v7
	v_addc_co_u32_e32 v5, vcc, v5, v9, vcc
	v_mul_lo_u32 v7, s0, v5
	v_mul_hi_u32 v9, s0, v3
	v_add_u32_e32 v7, v9, v7
	v_mul_lo_u32 v9, s1, v3
	v_add_u32_e32 v7, v7, v9
	v_mul_lo_u32 v11, s0, v3
	v_mul_hi_u32 v14, v5, v11
	v_mul_lo_u32 v15, v5, v11
	v_mul_lo_u32 v17, v3, v7
	v_mul_hi_u32 v11, v3, v11
	v_mul_hi_u32 v16, v3, v7
	v_add_co_u32_e32 v11, vcc, v11, v17
	v_addc_co_u32_e32 v16, vcc, 0, v16, vcc
	v_add_co_u32_e32 v11, vcc, v11, v15
	v_mul_hi_u32 v9, v5, v7
	v_addc_co_u32_e32 v11, vcc, v16, v14, vcc
	v_addc_co_u32_e32 v9, vcc, 0, v9, vcc
	v_mul_lo_u32 v7, v5, v7
	v_add_co_u32_e32 v7, vcc, v11, v7
	v_addc_co_u32_e32 v9, vcc, 0, v9, vcc
	v_add_co_u32_e32 v3, vcc, v3, v7
	v_addc_co_u32_e32 v5, vcc, v5, v9, vcc
	v_ashrrev_i32_e32 v7, 31, v13
	v_add_co_u32_e32 v9, vcc, v12, v7
	v_xor_b32_e32 v9, v9, v7
	v_addc_co_u32_e32 v11, vcc, v13, v7, vcc
	v_mad_u64_u32 v[14:15], s[0:1], v9, v5, 0
	v_mul_hi_u32 v13, v9, v3
	v_xor_b32_e32 v11, v11, v7
	v_add_co_u32_e32 v13, vcc, v13, v14
	v_addc_co_u32_e32 v18, vcc, 0, v15, vcc
	v_mad_u64_u32 v[16:17], s[0:1], v11, v3, 0
	v_add_co_u32_e32 v3, vcc, v13, v16
	v_mad_u64_u32 v[14:15], s[0:1], v11, v5, 0
	v_addc_co_u32_e32 v3, vcc, v18, v17, vcc
	v_addc_co_u32_e32 v5, vcc, 0, v15, vcc
	v_add_co_u32_e32 v3, vcc, v3, v14
	v_addc_co_u32_e32 v5, vcc, 0, v5, vcc
	v_mul_lo_u32 v13, s37, v3
	v_mul_lo_u32 v16, s36, v5
	v_mad_u64_u32 v[14:15], s[0:1], s36, v3, 0
	v_add3_u32 v13, v15, v16, v13
	v_sub_u32_e32 v15, v11, v13
	v_mov_b32_e32 v16, s37
	v_sub_co_u32_e32 v9, vcc, v9, v14
	v_subb_co_u32_e64 v14, s[0:1], v15, v16, vcc
	v_subrev_co_u32_e64 v15, s[0:1], s36, v9
	v_subbrev_co_u32_e64 v14, s[0:1], 0, v14, s[0:1]
	v_cmp_le_u32_e64 s[0:1], s37, v14
	v_cndmask_b32_e64 v16, 0, -1, s[0:1]
	v_cmp_le_u32_e64 s[0:1], s36, v15
	v_cndmask_b32_e64 v15, 0, -1, s[0:1]
	v_cmp_eq_u32_e64 s[0:1], s37, v14
	v_cndmask_b32_e64 v14, v16, v15, s[0:1]
	v_add_co_u32_e64 v15, s[0:1], 2, v3
	v_subb_co_u32_e32 v11, vcc, v11, v13, vcc
	v_addc_co_u32_e64 v16, s[0:1], 0, v5, s[0:1]
	v_cmp_le_u32_e32 vcc, s37, v11
	v_add_co_u32_e64 v17, s[0:1], 1, v3
	v_cndmask_b32_e64 v13, 0, -1, vcc
	v_cmp_le_u32_e32 vcc, s36, v9
	v_addc_co_u32_e64 v18, s[0:1], 0, v5, s[0:1]
	v_cndmask_b32_e64 v9, 0, -1, vcc
	v_cmp_eq_u32_e32 vcc, s37, v11
	v_cmp_ne_u32_e64 s[0:1], 0, v14
	v_cndmask_b32_e32 v9, v13, v9, vcc
	v_cmp_ne_u32_e32 vcc, 0, v9
	v_cndmask_b32_e64 v9, v17, v15, s[0:1]
	v_cndmask_b32_e64 v14, v18, v16, s[0:1]
	v_cndmask_b32_e32 v3, v3, v9, vcc
	v_xor_b32_e32 v9, s35, v7
	v_xor_b32_e32 v7, s34, v7
	v_cndmask_b32_e32 v5, v5, v14, vcc
	v_xor_b32_e32 v3, v3, v7
	v_xor_b32_e32 v5, v5, v9
	v_sub_co_u32_e32 v14, vcc, v3, v7
	v_subb_co_u32_e32 v15, vcc, v5, v9, vcc
.LBB80_37:                              ;   in Loop: Header=BB80_23 Depth=2
	s_andn2_saveexec_b64 s[0:1], s[30:31]
	s_cbranch_execz .LBB80_39
; %bb.38:                               ;   in Loop: Header=BB80_23 Depth=2
	v_cvt_f32_u32_e32 v3, s54
	s_sub_i32 s16, 0, s54
	v_mov_b32_e32 v15, v2
	v_rcp_iflag_f32_e32 v3, v3
	v_mul_f32_e32 v3, 0x4f7ffffe, v3
	v_cvt_u32_f32_e32 v3, v3
	v_mul_lo_u32 v5, s16, v3
	v_mul_hi_u32 v5, v3, v5
	v_add_u32_e32 v3, v3, v5
	v_mul_hi_u32 v3, v12, v3
	v_mul_lo_u32 v5, v3, s54
	v_sub_u32_e32 v5, v12, v5
	v_add_u32_e32 v7, 1, v3
	v_subrev_u32_e32 v9, s54, v5
	v_cmp_le_u32_e32 vcc, s54, v5
	v_cndmask_b32_e32 v5, v5, v9, vcc
	v_cndmask_b32_e32 v3, v3, v7, vcc
	v_add_u32_e32 v7, 1, v3
	v_cmp_le_u32_e32 vcc, s54, v5
	v_cndmask_b32_e32 v14, v3, v7, vcc
.LBB80_39:                              ;   in Loop: Header=BB80_23 Depth=2
	s_or_b64 exec, exec, s[0:1]
	s_add_u32 s0, s43, s28
	s_addc_u32 s1, s44, s29
	s_add_i32 s16, s26, 3
	s_lshl_b64 s[28:29], s[16:17], 2
	s_add_u32 s30, s39, s28
	s_addc_u32 s31, s40, s29
	s_load_dword s56, s[30:31], 0x0
	s_load_dword s57, s[0:1], 0x0
                                        ; implicit-def: $vgpr16_vgpr17
	s_waitcnt lgkmcnt(0)
	s_ashr_i32 s0, s56, 31
	v_or_b32_e32 v3, s0, v15
	v_cmp_ne_u64_e32 vcc, 0, v[2:3]
	s_and_saveexec_b64 s[30:31], vcc
	s_xor_b64 s[30:31], exec, s[30:31]
	s_cbranch_execz .LBB80_41
; %bb.40:                               ;   in Loop: Header=BB80_23 Depth=2
	s_add_u32 s36, s56, s0
	s_mov_b32 s34, s0
	s_mov_b32 s35, s0
	s_addc_u32 s37, s0, s0
	s_xor_b64 s[36:37], s[36:37], s[34:35]
	v_cvt_f32_u32_e32 v3, s36
	v_cvt_f32_u32_e32 v5, s37
	s_sub_u32 s0, 0, s36
	s_subb_u32 s1, 0, s37
	v_mac_f32_e32 v3, 0x4f800000, v5
	v_rcp_f32_e32 v3, v3
	v_mul_f32_e32 v3, 0x5f7ffffc, v3
	v_mul_f32_e32 v5, 0x2f800000, v3
	v_trunc_f32_e32 v5, v5
	v_mac_f32_e32 v3, 0xcf800000, v5
	v_cvt_u32_f32_e32 v5, v5
	v_cvt_u32_f32_e32 v3, v3
	v_mul_lo_u32 v7, s0, v5
	v_mul_hi_u32 v11, s0, v3
	v_mul_lo_u32 v9, s1, v3
	v_add_u32_e32 v7, v11, v7
	v_mul_lo_u32 v13, s0, v3
	v_add_u32_e32 v7, v7, v9
	v_mul_lo_u32 v11, v3, v7
	v_mul_hi_u32 v16, v3, v13
	v_mul_hi_u32 v9, v3, v7
	v_add_co_u32_e32 v11, vcc, v16, v11
	v_addc_co_u32_e32 v9, vcc, 0, v9, vcc
	v_mul_hi_u32 v17, v5, v13
	v_mul_lo_u32 v13, v5, v13
	v_add_co_u32_e32 v11, vcc, v11, v13
	v_mul_hi_u32 v16, v5, v7
	v_addc_co_u32_e32 v9, vcc, v9, v17, vcc
	v_addc_co_u32_e32 v11, vcc, 0, v16, vcc
	v_mul_lo_u32 v7, v5, v7
	v_add_co_u32_e32 v7, vcc, v9, v7
	v_addc_co_u32_e32 v9, vcc, 0, v11, vcc
	v_add_co_u32_e32 v3, vcc, v3, v7
	v_addc_co_u32_e32 v5, vcc, v5, v9, vcc
	v_mul_lo_u32 v7, s0, v5
	v_mul_hi_u32 v9, s0, v3
	v_add_u32_e32 v7, v9, v7
	v_mul_lo_u32 v9, s1, v3
	v_add_u32_e32 v7, v7, v9
	v_mul_lo_u32 v11, s0, v3
	v_mul_hi_u32 v13, v5, v11
	v_mul_lo_u32 v16, v5, v11
	v_mul_lo_u32 v18, v3, v7
	v_mul_hi_u32 v11, v3, v11
	v_mul_hi_u32 v17, v3, v7
	v_add_co_u32_e32 v11, vcc, v11, v18
	v_addc_co_u32_e32 v17, vcc, 0, v17, vcc
	v_add_co_u32_e32 v11, vcc, v11, v16
	v_mul_hi_u32 v9, v5, v7
	v_addc_co_u32_e32 v11, vcc, v17, v13, vcc
	v_addc_co_u32_e32 v9, vcc, 0, v9, vcc
	v_mul_lo_u32 v7, v5, v7
	v_add_co_u32_e32 v7, vcc, v11, v7
	v_addc_co_u32_e32 v9, vcc, 0, v9, vcc
	v_add_co_u32_e32 v3, vcc, v3, v7
	v_addc_co_u32_e32 v5, vcc, v5, v9, vcc
	v_ashrrev_i32_e32 v7, 31, v15
	v_add_co_u32_e32 v9, vcc, v14, v7
	v_xor_b32_e32 v9, v9, v7
	v_addc_co_u32_e32 v11, vcc, v15, v7, vcc
	v_mad_u64_u32 v[16:17], s[0:1], v9, v5, 0
	v_mul_hi_u32 v13, v9, v3
	v_xor_b32_e32 v11, v11, v7
	v_add_co_u32_e32 v13, vcc, v13, v16
	v_addc_co_u32_e32 v15, vcc, 0, v17, vcc
	v_mad_u64_u32 v[18:19], s[0:1], v11, v3, 0
	v_add_co_u32_e32 v3, vcc, v13, v18
	v_mad_u64_u32 v[16:17], s[0:1], v11, v5, 0
	v_addc_co_u32_e32 v3, vcc, v15, v19, vcc
	v_addc_co_u32_e32 v5, vcc, 0, v17, vcc
	v_add_co_u32_e32 v3, vcc, v3, v16
	v_addc_co_u32_e32 v5, vcc, 0, v5, vcc
	v_mul_lo_u32 v13, s37, v3
	v_mul_lo_u32 v15, s36, v5
	v_mad_u64_u32 v[16:17], s[0:1], s36, v3, 0
	v_add3_u32 v13, v17, v15, v13
	v_sub_u32_e32 v15, v11, v13
	v_mov_b32_e32 v17, s37
	v_sub_co_u32_e32 v9, vcc, v9, v16
	v_subb_co_u32_e64 v15, s[0:1], v15, v17, vcc
	v_subrev_co_u32_e64 v16, s[0:1], s36, v9
	v_subbrev_co_u32_e64 v15, s[0:1], 0, v15, s[0:1]
	v_cmp_le_u32_e64 s[0:1], s37, v15
	v_cndmask_b32_e64 v17, 0, -1, s[0:1]
	v_cmp_le_u32_e64 s[0:1], s36, v16
	v_cndmask_b32_e64 v16, 0, -1, s[0:1]
	v_cmp_eq_u32_e64 s[0:1], s37, v15
	v_cndmask_b32_e64 v15, v17, v16, s[0:1]
	v_add_co_u32_e64 v16, s[0:1], 2, v3
	v_subb_co_u32_e32 v11, vcc, v11, v13, vcc
	v_addc_co_u32_e64 v17, s[0:1], 0, v5, s[0:1]
	v_cmp_le_u32_e32 vcc, s37, v11
	v_add_co_u32_e64 v18, s[0:1], 1, v3
	v_cndmask_b32_e64 v13, 0, -1, vcc
	v_cmp_le_u32_e32 vcc, s36, v9
	v_addc_co_u32_e64 v19, s[0:1], 0, v5, s[0:1]
	v_cndmask_b32_e64 v9, 0, -1, vcc
	v_cmp_eq_u32_e32 vcc, s37, v11
	v_cmp_ne_u32_e64 s[0:1], 0, v15
	v_cndmask_b32_e32 v9, v13, v9, vcc
	v_cmp_ne_u32_e32 vcc, 0, v9
	v_cndmask_b32_e64 v9, v18, v16, s[0:1]
	v_cndmask_b32_e64 v15, v19, v17, s[0:1]
	v_cndmask_b32_e32 v3, v3, v9, vcc
	v_xor_b32_e32 v9, s35, v7
	v_xor_b32_e32 v7, s34, v7
	v_cndmask_b32_e32 v5, v5, v15, vcc
	v_xor_b32_e32 v3, v3, v7
	v_xor_b32_e32 v5, v5, v9
	v_sub_co_u32_e32 v16, vcc, v3, v7
	v_subb_co_u32_e32 v17, vcc, v5, v9, vcc
.LBB80_41:                              ;   in Loop: Header=BB80_23 Depth=2
	s_andn2_saveexec_b64 s[0:1], s[30:31]
	s_cbranch_execz .LBB80_43
; %bb.42:                               ;   in Loop: Header=BB80_23 Depth=2
	v_cvt_f32_u32_e32 v3, s56
	s_sub_i32 s16, 0, s56
	v_mov_b32_e32 v17, v2
	v_rcp_iflag_f32_e32 v3, v3
	v_mul_f32_e32 v3, 0x4f7ffffe, v3
	v_cvt_u32_f32_e32 v3, v3
	v_mul_lo_u32 v5, s16, v3
	v_mul_hi_u32 v5, v3, v5
	v_add_u32_e32 v3, v3, v5
	v_mul_hi_u32 v3, v14, v3
	v_mul_lo_u32 v5, v3, s56
	v_sub_u32_e32 v5, v14, v5
	v_add_u32_e32 v7, 1, v3
	v_subrev_u32_e32 v9, s56, v5
	v_cmp_le_u32_e32 vcc, s56, v5
	v_cndmask_b32_e32 v5, v5, v9, vcc
	v_cndmask_b32_e32 v3, v3, v7, vcc
	v_add_u32_e32 v7, 1, v3
	v_cmp_le_u32_e32 vcc, s56, v5
	v_cndmask_b32_e32 v16, v3, v7, vcc
.LBB80_43:                              ;   in Loop: Header=BB80_23 Depth=2
	s_or_b64 exec, exec, s[0:1]
	s_add_u32 s0, s43, s28
	s_addc_u32 s1, s44, s29
	s_add_i32 s16, s26, 2
	s_lshl_b64 s[28:29], s[16:17], 2
	s_add_u32 s30, s39, s28
	s_addc_u32 s31, s40, s29
	s_load_dword s58, s[30:31], 0x0
	s_load_dword s59, s[0:1], 0x0
                                        ; implicit-def: $vgpr18_vgpr19
	s_waitcnt lgkmcnt(0)
	s_ashr_i32 s0, s58, 31
	v_or_b32_e32 v3, s0, v17
	v_cmp_ne_u64_e32 vcc, 0, v[2:3]
	s_and_saveexec_b64 s[30:31], vcc
	s_xor_b64 s[30:31], exec, s[30:31]
	s_cbranch_execz .LBB80_45
; %bb.44:                               ;   in Loop: Header=BB80_23 Depth=2
	s_add_u32 s36, s58, s0
	s_mov_b32 s34, s0
	s_mov_b32 s35, s0
	s_addc_u32 s37, s0, s0
	s_xor_b64 s[36:37], s[36:37], s[34:35]
	v_cvt_f32_u32_e32 v3, s36
	v_cvt_f32_u32_e32 v5, s37
	s_sub_u32 s0, 0, s36
	s_subb_u32 s1, 0, s37
	v_mac_f32_e32 v3, 0x4f800000, v5
	v_rcp_f32_e32 v3, v3
	v_mul_f32_e32 v3, 0x5f7ffffc, v3
	v_mul_f32_e32 v5, 0x2f800000, v3
	v_trunc_f32_e32 v5, v5
	v_mac_f32_e32 v3, 0xcf800000, v5
	v_cvt_u32_f32_e32 v5, v5
	v_cvt_u32_f32_e32 v3, v3
	v_mul_lo_u32 v7, s0, v5
	v_mul_hi_u32 v11, s0, v3
	v_mul_lo_u32 v9, s1, v3
	v_add_u32_e32 v7, v11, v7
	v_mul_lo_u32 v13, s0, v3
	v_add_u32_e32 v7, v7, v9
	v_mul_lo_u32 v11, v3, v7
	v_mul_hi_u32 v15, v3, v13
	v_mul_hi_u32 v9, v3, v7
	v_add_co_u32_e32 v11, vcc, v15, v11
	v_addc_co_u32_e32 v9, vcc, 0, v9, vcc
	v_mul_hi_u32 v18, v5, v13
	v_mul_lo_u32 v13, v5, v13
	v_add_co_u32_e32 v11, vcc, v11, v13
	v_mul_hi_u32 v15, v5, v7
	v_addc_co_u32_e32 v9, vcc, v9, v18, vcc
	v_addc_co_u32_e32 v11, vcc, 0, v15, vcc
	v_mul_lo_u32 v7, v5, v7
	v_add_co_u32_e32 v7, vcc, v9, v7
	v_addc_co_u32_e32 v9, vcc, 0, v11, vcc
	v_add_co_u32_e32 v3, vcc, v3, v7
	v_addc_co_u32_e32 v5, vcc, v5, v9, vcc
	v_mul_lo_u32 v7, s0, v5
	v_mul_hi_u32 v9, s0, v3
	v_add_u32_e32 v7, v9, v7
	v_mul_lo_u32 v9, s1, v3
	v_add_u32_e32 v7, v7, v9
	v_mul_lo_u32 v11, s0, v3
	v_mul_hi_u32 v13, v5, v11
	v_mul_lo_u32 v15, v5, v11
	v_mul_lo_u32 v19, v3, v7
	v_mul_hi_u32 v11, v3, v11
	v_mul_hi_u32 v18, v3, v7
	v_add_co_u32_e32 v11, vcc, v11, v19
	v_addc_co_u32_e32 v18, vcc, 0, v18, vcc
	v_add_co_u32_e32 v11, vcc, v11, v15
	v_mul_hi_u32 v9, v5, v7
	v_addc_co_u32_e32 v11, vcc, v18, v13, vcc
	v_addc_co_u32_e32 v9, vcc, 0, v9, vcc
	v_mul_lo_u32 v7, v5, v7
	v_add_co_u32_e32 v7, vcc, v11, v7
	v_addc_co_u32_e32 v9, vcc, 0, v9, vcc
	v_add_co_u32_e32 v3, vcc, v3, v7
	v_addc_co_u32_e32 v5, vcc, v5, v9, vcc
	v_ashrrev_i32_e32 v7, 31, v17
	v_add_co_u32_e32 v9, vcc, v16, v7
	v_xor_b32_e32 v9, v9, v7
	v_addc_co_u32_e32 v11, vcc, v17, v7, vcc
	v_mad_u64_u32 v[18:19], s[0:1], v9, v5, 0
	v_mul_hi_u32 v13, v9, v3
	v_xor_b32_e32 v11, v11, v7
	v_add_co_u32_e32 v13, vcc, v13, v18
	v_addc_co_u32_e32 v15, vcc, 0, v19, vcc
	v_mad_u64_u32 v[20:21], s[0:1], v11, v3, 0
	v_add_co_u32_e32 v3, vcc, v13, v20
	v_mad_u64_u32 v[18:19], s[0:1], v11, v5, 0
	v_addc_co_u32_e32 v3, vcc, v15, v21, vcc
	v_addc_co_u32_e32 v5, vcc, 0, v19, vcc
	v_add_co_u32_e32 v3, vcc, v3, v18
	v_addc_co_u32_e32 v5, vcc, 0, v5, vcc
	v_mul_lo_u32 v13, s37, v3
	v_mul_lo_u32 v15, s36, v5
	v_mad_u64_u32 v[18:19], s[0:1], s36, v3, 0
	v_add3_u32 v13, v19, v15, v13
	v_sub_u32_e32 v15, v11, v13
	v_mov_b32_e32 v17, s37
	v_sub_co_u32_e32 v9, vcc, v9, v18
	v_subb_co_u32_e64 v15, s[0:1], v15, v17, vcc
	v_subrev_co_u32_e64 v17, s[0:1], s36, v9
	v_subbrev_co_u32_e64 v15, s[0:1], 0, v15, s[0:1]
	v_cmp_le_u32_e64 s[0:1], s37, v15
	v_cndmask_b32_e64 v18, 0, -1, s[0:1]
	v_cmp_le_u32_e64 s[0:1], s36, v17
	v_cndmask_b32_e64 v17, 0, -1, s[0:1]
	v_cmp_eq_u32_e64 s[0:1], s37, v15
	v_cndmask_b32_e64 v15, v18, v17, s[0:1]
	v_add_co_u32_e64 v17, s[0:1], 2, v3
	v_subb_co_u32_e32 v11, vcc, v11, v13, vcc
	v_addc_co_u32_e64 v18, s[0:1], 0, v5, s[0:1]
	v_cmp_le_u32_e32 vcc, s37, v11
	v_add_co_u32_e64 v19, s[0:1], 1, v3
	v_cndmask_b32_e64 v13, 0, -1, vcc
	v_cmp_le_u32_e32 vcc, s36, v9
	v_addc_co_u32_e64 v20, s[0:1], 0, v5, s[0:1]
	v_cndmask_b32_e64 v9, 0, -1, vcc
	v_cmp_eq_u32_e32 vcc, s37, v11
	v_cmp_ne_u32_e64 s[0:1], 0, v15
	v_cndmask_b32_e32 v9, v13, v9, vcc
	v_cmp_ne_u32_e32 vcc, 0, v9
	v_cndmask_b32_e64 v9, v19, v17, s[0:1]
	v_cndmask_b32_e64 v15, v20, v18, s[0:1]
	v_cndmask_b32_e32 v3, v3, v9, vcc
	v_xor_b32_e32 v9, s35, v7
	v_xor_b32_e32 v7, s34, v7
	v_cndmask_b32_e32 v5, v5, v15, vcc
	v_xor_b32_e32 v3, v3, v7
	v_xor_b32_e32 v5, v5, v9
	v_sub_co_u32_e32 v18, vcc, v3, v7
	v_subb_co_u32_e32 v19, vcc, v5, v9, vcc
.LBB80_45:                              ;   in Loop: Header=BB80_23 Depth=2
	s_andn2_saveexec_b64 s[0:1], s[30:31]
	s_cbranch_execz .LBB80_47
; %bb.46:                               ;   in Loop: Header=BB80_23 Depth=2
	v_cvt_f32_u32_e32 v3, s58
	s_sub_i32 s16, 0, s58
	v_mov_b32_e32 v19, v2
	v_rcp_iflag_f32_e32 v3, v3
	v_mul_f32_e32 v3, 0x4f7ffffe, v3
	v_cvt_u32_f32_e32 v3, v3
	v_mul_lo_u32 v5, s16, v3
	v_mul_hi_u32 v5, v3, v5
	v_add_u32_e32 v3, v3, v5
	v_mul_hi_u32 v3, v16, v3
	v_mul_lo_u32 v5, v3, s58
	v_sub_u32_e32 v5, v16, v5
	v_add_u32_e32 v7, 1, v3
	v_subrev_u32_e32 v9, s58, v5
	v_cmp_le_u32_e32 vcc, s58, v5
	v_cndmask_b32_e32 v5, v5, v9, vcc
	v_cndmask_b32_e32 v3, v3, v7, vcc
	v_add_u32_e32 v7, 1, v3
	v_cmp_le_u32_e32 vcc, s58, v5
	v_cndmask_b32_e32 v18, v3, v7, vcc
.LBB80_47:                              ;   in Loop: Header=BB80_23 Depth=2
	s_or_b64 exec, exec, s[0:1]
	s_add_u32 s0, s43, s28
	s_addc_u32 s1, s44, s29
	s_add_i32 s16, s26, 1
	s_lshl_b64 s[28:29], s[16:17], 2
	s_add_u32 s30, s39, s28
	s_addc_u32 s31, s40, s29
	s_load_dword s16, s[30:31], 0x0
	s_load_dword s60, s[0:1], 0x0
                                        ; implicit-def: $vgpr20_vgpr21
	s_waitcnt lgkmcnt(0)
	s_ashr_i32 s0, s16, 31
	v_or_b32_e32 v3, s0, v19
	v_cmp_ne_u64_e32 vcc, 0, v[2:3]
	s_and_saveexec_b64 s[30:31], vcc
	s_xor_b64 s[30:31], exec, s[30:31]
	s_cbranch_execz .LBB80_49
; %bb.48:                               ;   in Loop: Header=BB80_23 Depth=2
	s_add_u32 s36, s16, s0
	s_mov_b32 s34, s0
	s_mov_b32 s35, s0
	s_addc_u32 s37, s0, s0
	s_xor_b64 s[36:37], s[36:37], s[34:35]
	v_cvt_f32_u32_e32 v3, s36
	v_cvt_f32_u32_e32 v5, s37
	s_sub_u32 s0, 0, s36
	s_subb_u32 s1, 0, s37
	v_mac_f32_e32 v3, 0x4f800000, v5
	v_rcp_f32_e32 v3, v3
	v_mul_f32_e32 v3, 0x5f7ffffc, v3
	v_mul_f32_e32 v5, 0x2f800000, v3
	v_trunc_f32_e32 v5, v5
	v_mac_f32_e32 v3, 0xcf800000, v5
	v_cvt_u32_f32_e32 v5, v5
	v_cvt_u32_f32_e32 v3, v3
	v_mul_lo_u32 v7, s0, v5
	v_mul_hi_u32 v11, s0, v3
	v_mul_lo_u32 v9, s1, v3
	v_add_u32_e32 v7, v11, v7
	v_mul_lo_u32 v13, s0, v3
	v_add_u32_e32 v7, v7, v9
	v_mul_lo_u32 v11, v3, v7
	v_mul_hi_u32 v15, v3, v13
	v_mul_hi_u32 v9, v3, v7
	v_add_co_u32_e32 v11, vcc, v15, v11
	v_addc_co_u32_e32 v9, vcc, 0, v9, vcc
	v_mul_hi_u32 v17, v5, v13
	v_mul_lo_u32 v13, v5, v13
	v_add_co_u32_e32 v11, vcc, v11, v13
	v_mul_hi_u32 v15, v5, v7
	v_addc_co_u32_e32 v9, vcc, v9, v17, vcc
	v_addc_co_u32_e32 v11, vcc, 0, v15, vcc
	v_mul_lo_u32 v7, v5, v7
	v_add_co_u32_e32 v7, vcc, v9, v7
	v_addc_co_u32_e32 v9, vcc, 0, v11, vcc
	v_add_co_u32_e32 v3, vcc, v3, v7
	v_addc_co_u32_e32 v5, vcc, v5, v9, vcc
	v_mul_lo_u32 v7, s0, v5
	v_mul_hi_u32 v9, s0, v3
	v_add_u32_e32 v7, v9, v7
	v_mul_lo_u32 v9, s1, v3
	v_add_u32_e32 v7, v7, v9
	v_mul_lo_u32 v11, s0, v3
	v_mul_hi_u32 v13, v5, v11
	v_mul_lo_u32 v15, v5, v11
	v_mul_lo_u32 v20, v3, v7
	v_mul_hi_u32 v11, v3, v11
	v_mul_hi_u32 v17, v3, v7
	v_add_co_u32_e32 v11, vcc, v11, v20
	v_addc_co_u32_e32 v17, vcc, 0, v17, vcc
	v_add_co_u32_e32 v11, vcc, v11, v15
	v_mul_hi_u32 v9, v5, v7
	v_addc_co_u32_e32 v11, vcc, v17, v13, vcc
	v_addc_co_u32_e32 v9, vcc, 0, v9, vcc
	v_mul_lo_u32 v7, v5, v7
	v_add_co_u32_e32 v7, vcc, v11, v7
	v_addc_co_u32_e32 v9, vcc, 0, v9, vcc
	v_add_co_u32_e32 v3, vcc, v3, v7
	v_addc_co_u32_e32 v5, vcc, v5, v9, vcc
	v_ashrrev_i32_e32 v7, 31, v19
	v_add_co_u32_e32 v9, vcc, v18, v7
	v_xor_b32_e32 v9, v9, v7
	v_addc_co_u32_e32 v11, vcc, v19, v7, vcc
	v_mad_u64_u32 v[20:21], s[0:1], v9, v5, 0
	v_mul_hi_u32 v13, v9, v3
	v_xor_b32_e32 v11, v11, v7
	v_add_co_u32_e32 v13, vcc, v13, v20
	v_addc_co_u32_e32 v15, vcc, 0, v21, vcc
	v_mad_u64_u32 v[22:23], s[0:1], v11, v3, 0
	v_add_co_u32_e32 v3, vcc, v13, v22
	v_mad_u64_u32 v[20:21], s[0:1], v11, v5, 0
	v_addc_co_u32_e32 v3, vcc, v15, v23, vcc
	v_addc_co_u32_e32 v5, vcc, 0, v21, vcc
	v_add_co_u32_e32 v3, vcc, v3, v20
	v_addc_co_u32_e32 v5, vcc, 0, v5, vcc
	v_mul_lo_u32 v13, s37, v3
	v_mul_lo_u32 v15, s36, v5
	v_mad_u64_u32 v[20:21], s[0:1], s36, v3, 0
	v_add3_u32 v13, v21, v15, v13
	v_sub_u32_e32 v15, v11, v13
	v_mov_b32_e32 v17, s37
	v_sub_co_u32_e32 v9, vcc, v9, v20
	v_subb_co_u32_e64 v15, s[0:1], v15, v17, vcc
	v_subrev_co_u32_e64 v17, s[0:1], s36, v9
	v_subbrev_co_u32_e64 v15, s[0:1], 0, v15, s[0:1]
	v_cmp_le_u32_e64 s[0:1], s37, v15
	v_cndmask_b32_e64 v19, 0, -1, s[0:1]
	v_cmp_le_u32_e64 s[0:1], s36, v17
	v_cndmask_b32_e64 v17, 0, -1, s[0:1]
	v_cmp_eq_u32_e64 s[0:1], s37, v15
	v_cndmask_b32_e64 v15, v19, v17, s[0:1]
	v_add_co_u32_e64 v17, s[0:1], 2, v3
	v_subb_co_u32_e32 v11, vcc, v11, v13, vcc
	v_addc_co_u32_e64 v19, s[0:1], 0, v5, s[0:1]
	v_cmp_le_u32_e32 vcc, s37, v11
	v_add_co_u32_e64 v20, s[0:1], 1, v3
	v_cndmask_b32_e64 v13, 0, -1, vcc
	v_cmp_le_u32_e32 vcc, s36, v9
	v_addc_co_u32_e64 v21, s[0:1], 0, v5, s[0:1]
	v_cndmask_b32_e64 v9, 0, -1, vcc
	v_cmp_eq_u32_e32 vcc, s37, v11
	v_cmp_ne_u32_e64 s[0:1], 0, v15
	v_cndmask_b32_e32 v9, v13, v9, vcc
	v_cmp_ne_u32_e32 vcc, 0, v9
	v_cndmask_b32_e64 v9, v20, v17, s[0:1]
	v_cndmask_b32_e64 v15, v21, v19, s[0:1]
	v_cndmask_b32_e32 v3, v3, v9, vcc
	v_xor_b32_e32 v9, s35, v7
	v_xor_b32_e32 v7, s34, v7
	v_cndmask_b32_e32 v5, v5, v15, vcc
	v_xor_b32_e32 v3, v3, v7
	v_xor_b32_e32 v5, v5, v9
	v_sub_co_u32_e32 v20, vcc, v3, v7
	v_subb_co_u32_e32 v21, vcc, v5, v9, vcc
.LBB80_49:                              ;   in Loop: Header=BB80_23 Depth=2
	s_andn2_saveexec_b64 s[0:1], s[30:31]
	s_cbranch_execz .LBB80_51
; %bb.50:                               ;   in Loop: Header=BB80_23 Depth=2
	v_cvt_f32_u32_e32 v3, s16
	s_sub_i32 s27, 0, s16
	v_mov_b32_e32 v21, v2
	v_rcp_iflag_f32_e32 v3, v3
	v_mul_f32_e32 v3, 0x4f7ffffe, v3
	v_cvt_u32_f32_e32 v3, v3
	v_mul_lo_u32 v5, s27, v3
	v_mul_hi_u32 v5, v3, v5
	v_add_u32_e32 v3, v3, v5
	v_mul_hi_u32 v3, v18, v3
	v_mul_lo_u32 v5, v3, s16
	v_sub_u32_e32 v5, v18, v5
	v_add_u32_e32 v7, 1, v3
	v_subrev_u32_e32 v9, s16, v5
	v_cmp_le_u32_e32 vcc, s16, v5
	v_cndmask_b32_e32 v5, v5, v9, vcc
	v_cndmask_b32_e32 v3, v3, v7, vcc
	v_add_u32_e32 v7, 1, v3
	v_cmp_le_u32_e32 vcc, s16, v5
	v_cndmask_b32_e32 v20, v3, v7, vcc
.LBB80_51:                              ;   in Loop: Header=BB80_23 Depth=2
	s_or_b64 exec, exec, s[0:1]
	s_add_u32 s0, s43, s28
	s_mov_b32 s27, s17
	s_addc_u32 s1, s44, s29
	s_lshl_b64 s[28:29], s[26:27], 2
	s_add_u32 s30, s39, s28
	s_addc_u32 s31, s40, s29
	s_load_dword s27, s[30:31], 0x0
	s_load_dword s61, s[0:1], 0x0
                                        ; implicit-def: $vgpr22_vgpr23
	s_waitcnt lgkmcnt(0)
	s_ashr_i32 s0, s27, 31
	v_or_b32_e32 v3, s0, v21
	v_cmp_ne_u64_e32 vcc, 0, v[2:3]
	s_and_saveexec_b64 s[30:31], vcc
	s_xor_b64 s[30:31], exec, s[30:31]
	s_cbranch_execz .LBB80_53
; %bb.52:                               ;   in Loop: Header=BB80_23 Depth=2
	s_add_u32 s36, s27, s0
	s_mov_b32 s34, s0
	s_mov_b32 s35, s0
	s_addc_u32 s37, s0, s0
	s_xor_b64 s[36:37], s[36:37], s[34:35]
	v_cvt_f32_u32_e32 v3, s36
	v_cvt_f32_u32_e32 v5, s37
	s_sub_u32 s0, 0, s36
	s_subb_u32 s1, 0, s37
	v_mac_f32_e32 v3, 0x4f800000, v5
	v_rcp_f32_e32 v3, v3
	v_mul_f32_e32 v3, 0x5f7ffffc, v3
	v_mul_f32_e32 v5, 0x2f800000, v3
	v_trunc_f32_e32 v5, v5
	v_mac_f32_e32 v3, 0xcf800000, v5
	v_cvt_u32_f32_e32 v5, v5
	v_cvt_u32_f32_e32 v3, v3
	v_mul_lo_u32 v7, s0, v5
	v_mul_hi_u32 v11, s0, v3
	v_mul_lo_u32 v9, s1, v3
	v_add_u32_e32 v7, v11, v7
	v_mul_lo_u32 v13, s0, v3
	v_add_u32_e32 v7, v7, v9
	v_mul_lo_u32 v11, v3, v7
	v_mul_hi_u32 v15, v3, v13
	v_mul_hi_u32 v9, v3, v7
	v_add_co_u32_e32 v11, vcc, v15, v11
	v_addc_co_u32_e32 v9, vcc, 0, v9, vcc
	v_mul_hi_u32 v17, v5, v13
	v_mul_lo_u32 v13, v5, v13
	v_add_co_u32_e32 v11, vcc, v11, v13
	v_mul_hi_u32 v15, v5, v7
	v_addc_co_u32_e32 v9, vcc, v9, v17, vcc
	v_addc_co_u32_e32 v11, vcc, 0, v15, vcc
	v_mul_lo_u32 v7, v5, v7
	v_add_co_u32_e32 v7, vcc, v9, v7
	v_addc_co_u32_e32 v9, vcc, 0, v11, vcc
	v_add_co_u32_e32 v3, vcc, v3, v7
	v_addc_co_u32_e32 v5, vcc, v5, v9, vcc
	v_mul_lo_u32 v7, s0, v5
	v_mul_hi_u32 v9, s0, v3
	v_add_u32_e32 v7, v9, v7
	v_mul_lo_u32 v9, s1, v3
	v_add_u32_e32 v7, v7, v9
	v_mul_lo_u32 v11, s0, v3
	v_mul_hi_u32 v13, v5, v11
	v_mul_lo_u32 v15, v5, v11
	v_mul_lo_u32 v19, v3, v7
	v_mul_hi_u32 v11, v3, v11
	v_mul_hi_u32 v17, v3, v7
	v_add_co_u32_e32 v11, vcc, v11, v19
	v_addc_co_u32_e32 v17, vcc, 0, v17, vcc
	v_add_co_u32_e32 v11, vcc, v11, v15
	v_mul_hi_u32 v9, v5, v7
	v_addc_co_u32_e32 v11, vcc, v17, v13, vcc
	v_addc_co_u32_e32 v9, vcc, 0, v9, vcc
	v_mul_lo_u32 v7, v5, v7
	v_add_co_u32_e32 v7, vcc, v11, v7
	v_addc_co_u32_e32 v9, vcc, 0, v9, vcc
	v_add_co_u32_e32 v3, vcc, v3, v7
	v_addc_co_u32_e32 v5, vcc, v5, v9, vcc
	v_ashrrev_i32_e32 v7, 31, v21
	v_add_co_u32_e32 v9, vcc, v20, v7
	v_xor_b32_e32 v9, v9, v7
	v_addc_co_u32_e32 v11, vcc, v21, v7, vcc
	v_mad_u64_u32 v[22:23], s[0:1], v9, v5, 0
	v_mul_hi_u32 v13, v9, v3
	v_xor_b32_e32 v11, v11, v7
	v_add_co_u32_e32 v13, vcc, v13, v22
	v_addc_co_u32_e32 v15, vcc, 0, v23, vcc
	v_mad_u64_u32 v[26:27], s[0:1], v11, v3, 0
	v_add_co_u32_e32 v3, vcc, v13, v26
	v_mad_u64_u32 v[22:23], s[0:1], v11, v5, 0
	v_addc_co_u32_e32 v3, vcc, v15, v27, vcc
	v_addc_co_u32_e32 v5, vcc, 0, v23, vcc
	v_add_co_u32_e32 v3, vcc, v3, v22
	v_addc_co_u32_e32 v5, vcc, 0, v5, vcc
	v_mul_lo_u32 v13, s37, v3
	v_mul_lo_u32 v15, s36, v5
	v_mad_u64_u32 v[22:23], s[0:1], s36, v3, 0
	v_add3_u32 v13, v23, v15, v13
	v_sub_u32_e32 v15, v11, v13
	v_mov_b32_e32 v17, s37
	v_sub_co_u32_e32 v9, vcc, v9, v22
	v_subb_co_u32_e64 v15, s[0:1], v15, v17, vcc
	v_subrev_co_u32_e64 v17, s[0:1], s36, v9
	v_subbrev_co_u32_e64 v15, s[0:1], 0, v15, s[0:1]
	v_cmp_le_u32_e64 s[0:1], s37, v15
	v_cndmask_b32_e64 v19, 0, -1, s[0:1]
	v_cmp_le_u32_e64 s[0:1], s36, v17
	v_cndmask_b32_e64 v17, 0, -1, s[0:1]
	v_cmp_eq_u32_e64 s[0:1], s37, v15
	v_cndmask_b32_e64 v15, v19, v17, s[0:1]
	v_add_co_u32_e64 v17, s[0:1], 2, v3
	v_subb_co_u32_e32 v11, vcc, v11, v13, vcc
	v_addc_co_u32_e64 v19, s[0:1], 0, v5, s[0:1]
	v_cmp_le_u32_e32 vcc, s37, v11
	v_add_co_u32_e64 v21, s[0:1], 1, v3
	v_cndmask_b32_e64 v13, 0, -1, vcc
	v_cmp_le_u32_e32 vcc, s36, v9
	v_addc_co_u32_e64 v22, s[0:1], 0, v5, s[0:1]
	v_cndmask_b32_e64 v9, 0, -1, vcc
	v_cmp_eq_u32_e32 vcc, s37, v11
	v_cmp_ne_u32_e64 s[0:1], 0, v15
	v_cndmask_b32_e32 v9, v13, v9, vcc
	v_cmp_ne_u32_e32 vcc, 0, v9
	v_cndmask_b32_e64 v9, v21, v17, s[0:1]
	v_cndmask_b32_e64 v15, v22, v19, s[0:1]
	v_cndmask_b32_e32 v3, v3, v9, vcc
	v_xor_b32_e32 v9, s35, v7
	v_xor_b32_e32 v7, s34, v7
	v_cndmask_b32_e32 v5, v5, v15, vcc
	v_xor_b32_e32 v3, v3, v7
	v_xor_b32_e32 v5, v5, v9
	v_sub_co_u32_e32 v22, vcc, v3, v7
	v_subb_co_u32_e32 v23, vcc, v5, v9, vcc
.LBB80_53:                              ;   in Loop: Header=BB80_23 Depth=2
	s_andn2_saveexec_b64 s[0:1], s[30:31]
	s_cbranch_execz .LBB80_55
; %bb.54:                               ;   in Loop: Header=BB80_23 Depth=2
	v_cvt_f32_u32_e32 v3, s27
	s_sub_i32 s30, 0, s27
	v_mov_b32_e32 v23, v2
	v_rcp_iflag_f32_e32 v3, v3
	v_mul_f32_e32 v3, 0x4f7ffffe, v3
	v_cvt_u32_f32_e32 v3, v3
	v_mul_lo_u32 v5, s30, v3
	v_mul_hi_u32 v5, v3, v5
	v_add_u32_e32 v3, v3, v5
	v_mul_hi_u32 v3, v20, v3
	v_mul_lo_u32 v5, v3, s27
	v_sub_u32_e32 v5, v20, v5
	v_add_u32_e32 v7, 1, v3
	v_subrev_u32_e32 v9, s27, v5
	v_cmp_le_u32_e32 vcc, s27, v5
	v_cndmask_b32_e32 v5, v5, v9, vcc
	v_cndmask_b32_e32 v3, v3, v7, vcc
	v_add_u32_e32 v7, 1, v3
	v_cmp_le_u32_e32 vcc, s27, v5
	v_cndmask_b32_e32 v22, v3, v7, vcc
.LBB80_55:                              ;   in Loop: Header=BB80_23 Depth=2
	s_or_b64 exec, exec, s[0:1]
	v_mul_lo_u32 v3, v8, s49
	v_mul_lo_u32 v5, v10, s50
	v_sub_u32_e32 v3, v6, v3
	v_sub_u32_e32 v5, v8, v5
	v_mul_lo_u32 v3, s51, v3
	v_mul_lo_u32 v5, s53, v5
	v_add3_u32 v3, v3, v4, v5
	v_mul_lo_u32 v4, v12, s52
	v_mul_lo_u32 v5, v14, s54
	v_sub_u32_e32 v4, v10, v4
	v_sub_u32_e32 v5, v12, v5
	s_add_u32 s0, s43, s28
	v_mul_lo_u32 v4, s55, v4
	v_mul_lo_u32 v5, s57, v5
	s_addc_u32 s1, s44, s29
	v_add3_u32 v3, v4, v3, v5
	v_mul_lo_u32 v4, v16, s56
	v_mul_lo_u32 v5, v18, s58
	s_load_dword s0, s[0:1], 0x0
	v_sub_u32_e32 v4, v14, v4
	v_sub_u32_e32 v5, v16, v5
	v_mul_lo_u32 v4, s59, v4
	v_mul_lo_u32 v5, s60, v5
	v_add3_u32 v3, v4, v3, v5
	v_mul_lo_u32 v4, v20, s16
	v_mul_lo_u32 v5, v22, s27
	v_sub_u32_e32 v4, v18, v4
	v_sub_u32_e32 v5, v20, v5
	v_mul_lo_u32 v4, s61, v4
	s_waitcnt lgkmcnt(0)
	v_mul_lo_u32 v5, s0, v5
	s_add_i32 s26, s26, -8
	s_cmp_lg_u32 s26, -8
	v_add3_u32 v4, v4, v3, v5
	s_cbranch_scc0 .LBB80_57
; %bb.56:                               ;   in Loop: Header=BB80_23 Depth=2
	v_pk_mov_b32 v[6:7], v[22:23], v[22:23] op_sel:[0,1]
	s_branch .LBB80_23
.LBB80_57:                              ;   in Loop: Header=BB80_3 Depth=1
	s_load_dword s0, s[14:15], 0x0
	s_waitcnt lgkmcnt(0)
	v_cmp_gt_i32_e32 vcc, s0, v25
	s_and_b64 exec, exec, vcc
	s_cbranch_execz .LBB80_2
; %bb.58:                               ;   in Loop: Header=BB80_3 Depth=1
	v_ashrrev_i32_e32 v5, 31, v4
	v_lshlrev_b64 v[4:5], 4, v[4:5]
	v_mov_b32_e32 v3, s3
	v_add_co_u32_e32 v6, vcc, s2, v4
	v_addc_co_u32_e32 v7, vcc, v3, v5, vcc
	v_mov_b32_e32 v3, v2
	v_mov_b32_e32 v4, v2
	;; [unrolled: 1-line block ×3, first 2 shown]
	global_store_dwordx4 v[6:7], v[2:5], off
	s_branch .LBB80_2
.LBB80_59:
	s_endpgm
	.section	.rodata,"a",@progbits
	.p2align	6, 0x0
	.amdhsa_kernel _ZN2at6native16triu_tril_kernelIN3c107complexIdEEiLb1ELi1ELb1EEEvNS_4cuda6detail10TensorInfoIT_T0_EENS7_IKS8_S9_EEllS9_
		.amdhsa_group_segment_fixed_size 0
		.amdhsa_private_segment_fixed_size 0
		.amdhsa_kernarg_size 712
		.amdhsa_user_sgpr_count 6
		.amdhsa_user_sgpr_private_segment_buffer 1
		.amdhsa_user_sgpr_dispatch_ptr 0
		.amdhsa_user_sgpr_queue_ptr 0
		.amdhsa_user_sgpr_kernarg_segment_ptr 1
		.amdhsa_user_sgpr_dispatch_id 0
		.amdhsa_user_sgpr_flat_scratch_init 0
		.amdhsa_user_sgpr_kernarg_preload_length 0
		.amdhsa_user_sgpr_kernarg_preload_offset 0
		.amdhsa_user_sgpr_private_segment_size 0
		.amdhsa_uses_dynamic_stack 0
		.amdhsa_system_sgpr_private_segment_wavefront_offset 0
		.amdhsa_system_sgpr_workgroup_id_x 1
		.amdhsa_system_sgpr_workgroup_id_y 0
		.amdhsa_system_sgpr_workgroup_id_z 0
		.amdhsa_system_sgpr_workgroup_info 0
		.amdhsa_system_vgpr_workitem_id 0
		.amdhsa_next_free_vgpr 28
		.amdhsa_next_free_sgpr 62
		.amdhsa_accum_offset 28
		.amdhsa_reserve_vcc 1
		.amdhsa_reserve_flat_scratch 0
		.amdhsa_float_round_mode_32 0
		.amdhsa_float_round_mode_16_64 0
		.amdhsa_float_denorm_mode_32 3
		.amdhsa_float_denorm_mode_16_64 3
		.amdhsa_dx10_clamp 1
		.amdhsa_ieee_mode 1
		.amdhsa_fp16_overflow 0
		.amdhsa_tg_split 0
		.amdhsa_exception_fp_ieee_invalid_op 0
		.amdhsa_exception_fp_denorm_src 0
		.amdhsa_exception_fp_ieee_div_zero 0
		.amdhsa_exception_fp_ieee_overflow 0
		.amdhsa_exception_fp_ieee_underflow 0
		.amdhsa_exception_fp_ieee_inexact 0
		.amdhsa_exception_int_div_zero 0
	.end_amdhsa_kernel
	.section	.text._ZN2at6native16triu_tril_kernelIN3c107complexIdEEiLb1ELi1ELb1EEEvNS_4cuda6detail10TensorInfoIT_T0_EENS7_IKS8_S9_EEllS9_,"axG",@progbits,_ZN2at6native16triu_tril_kernelIN3c107complexIdEEiLb1ELi1ELb1EEEvNS_4cuda6detail10TensorInfoIT_T0_EENS7_IKS8_S9_EEllS9_,comdat
.Lfunc_end80:
	.size	_ZN2at6native16triu_tril_kernelIN3c107complexIdEEiLb1ELi1ELb1EEEvNS_4cuda6detail10TensorInfoIT_T0_EENS7_IKS8_S9_EEllS9_, .Lfunc_end80-_ZN2at6native16triu_tril_kernelIN3c107complexIdEEiLb1ELi1ELb1EEEvNS_4cuda6detail10TensorInfoIT_T0_EENS7_IKS8_S9_EEllS9_
                                        ; -- End function
	.section	.AMDGPU.csdata,"",@progbits
; Kernel info:
; codeLenInByte = 10040
; NumSgprs: 66
; NumVgprs: 28
; NumAgprs: 0
; TotalNumVgprs: 28
; ScratchSize: 0
; MemoryBound: 0
; FloatMode: 240
; IeeeMode: 1
; LDSByteSize: 0 bytes/workgroup (compile time only)
; SGPRBlocks: 8
; VGPRBlocks: 3
; NumSGPRsForWavesPerEU: 66
; NumVGPRsForWavesPerEU: 28
; AccumOffset: 28
; Occupancy: 8
; WaveLimiterHint : 0
; COMPUTE_PGM_RSRC2:SCRATCH_EN: 0
; COMPUTE_PGM_RSRC2:USER_SGPR: 6
; COMPUTE_PGM_RSRC2:TRAP_HANDLER: 0
; COMPUTE_PGM_RSRC2:TGID_X_EN: 1
; COMPUTE_PGM_RSRC2:TGID_Y_EN: 0
; COMPUTE_PGM_RSRC2:TGID_Z_EN: 0
; COMPUTE_PGM_RSRC2:TIDIG_COMP_CNT: 0
; COMPUTE_PGM_RSRC3_GFX90A:ACCUM_OFFSET: 6
; COMPUTE_PGM_RSRC3_GFX90A:TG_SPLIT: 0
	.section	.text._ZN2at6native16triu_tril_kernelIN3c107complexIdEEiLb1ELi1ELb0EEEvNS_4cuda6detail10TensorInfoIT_T0_EENS7_IKS8_S9_EEllS9_,"axG",@progbits,_ZN2at6native16triu_tril_kernelIN3c107complexIdEEiLb1ELi1ELb0EEEvNS_4cuda6detail10TensorInfoIT_T0_EENS7_IKS8_S9_EEllS9_,comdat
	.protected	_ZN2at6native16triu_tril_kernelIN3c107complexIdEEiLb1ELi1ELb0EEEvNS_4cuda6detail10TensorInfoIT_T0_EENS7_IKS8_S9_EEllS9_ ; -- Begin function _ZN2at6native16triu_tril_kernelIN3c107complexIdEEiLb1ELi1ELb0EEEvNS_4cuda6detail10TensorInfoIT_T0_EENS7_IKS8_S9_EEllS9_
	.globl	_ZN2at6native16triu_tril_kernelIN3c107complexIdEEiLb1ELi1ELb0EEEvNS_4cuda6detail10TensorInfoIT_T0_EENS7_IKS8_S9_EEllS9_
	.p2align	8
	.type	_ZN2at6native16triu_tril_kernelIN3c107complexIdEEiLb1ELi1ELb0EEEvNS_4cuda6detail10TensorInfoIT_T0_EENS7_IKS8_S9_EEllS9_,@function
_ZN2at6native16triu_tril_kernelIN3c107complexIdEEiLb1ELi1ELb0EEEvNS_4cuda6detail10TensorInfoIT_T0_EENS7_IKS8_S9_EEllS9_: ; @_ZN2at6native16triu_tril_kernelIN3c107complexIdEEiLb1ELi1ELb0EEEvNS_4cuda6detail10TensorInfoIT_T0_EENS7_IKS8_S9_EEllS9_
; %bb.0:
	s_load_dword s2, s[4:5], 0x1d4
	s_load_dwordx4 s[8:11], s[4:5], 0x1b0
	s_add_u32 s0, s4, 0x1c8
	v_mov_b32_e32 v4, 0
	s_addc_u32 s1, s5, 0
	s_waitcnt lgkmcnt(0)
	s_and_b32 s2, s2, 0xffff
	v_mov_b32_e32 v1, v4
	v_mov_b32_e32 v2, s6
	v_mad_u64_u32 v[6:7], s[6:7], s2, v2, v[0:1]
	v_cmp_gt_i64_e32 vcc, s[10:11], v[6:7]
	s_and_saveexec_b64 s[6:7], vcc
	s_cbranch_execz .LBB81_49
; %bb.1:
	s_load_dword s20, s[4:5], 0x1a8
	s_load_dwordx2 s[6:7], s[4:5], 0xd8
	s_add_u32 s33, s4, 0xd8
	s_addc_u32 s38, s5, 0
	s_mov_b64 s[24:25], 0
	s_waitcnt lgkmcnt(0)
	s_ashr_i32 s21, s20, 31
	s_lshl_b64 s[12:13], s[20:21], 2
	s_add_u32 s3, s12, -8
	s_addc_u32 s18, s13, -1
	s_add_u32 s16, s33, s3
	s_addc_u32 s17, s38, s18
	s_load_dwordx2 s[12:13], s[16:17], 0x8
	s_load_dword s39, s[4:5], 0x1c0
	s_load_dword s22, s[0:1], 0x0
	v_cmp_gt_i64_e64 s[14:15], s[20:21], 2
	s_load_dwordx2 s[16:17], s[16:17], 0x6c
	s_waitcnt lgkmcnt(0)
	s_ashr_i32 s40, s12, 31
	v_cvt_f32_u32_e32 v0, s39
	s_ashr_i32 s41, s39, 31
	s_add_u32 s42, s4, 0x6c
	s_addc_u32 s43, s5, 0
	s_load_dwordx2 s[4:5], s[4:5], 0x0
	v_rcp_iflag_f32_e32 v0, v0
	s_add_u32 s0, s42, s3
	s_addc_u32 s1, s43, s18
	s_load_dwordx2 s[18:19], s[0:1], 0x0
	v_mul_f32_e32 v0, 0x4f7ffffe, v0
	s_add_i32 s44, s20, -3
	s_and_b32 s47, s20, 3
	v_cvt_u32_f32_e32 v22, v0
	s_cmp_lg_u32 s47, 2
	s_mul_i32 s45, s22, s2
	s_mov_b32 s21, 0
	s_cselect_b64 s[22:23], -1, 0
	s_cmp_gt_u32 s44, 2
	s_mov_b32 s46, s21
	s_cselect_b64 s[26:27], -1, 0
	s_branch .LBB81_3
.LBB81_2:                               ;   in Loop: Header=BB81_3 Depth=1
	s_or_b64 exec, exec, s[0:1]
	v_mov_b32_e32 v0, s46
	v_add_co_u32_e32 v6, vcc, s45, v6
	v_addc_co_u32_e32 v7, vcc, v7, v0, vcc
	v_cmp_le_i64_e32 vcc, s[10:11], v[6:7]
	s_or_b64 s[24:25], vcc, s[24:25]
	s_andn2_b64 exec, exec, s[24:25]
	s_cbranch_execz .LBB81_49
.LBB81_3:                               ; =>This Loop Header: Depth=1
                                        ;     Child Loop BB81_37 Depth 2
                                        ;     Child Loop BB81_18 Depth 2
	v_or_b32_e32 v5, s41, v7
	v_cmp_ne_u64_e32 vcc, 0, v[4:5]
                                        ; implicit-def: $vgpr0_vgpr1
                                        ; implicit-def: $vgpr14_vgpr15
	s_and_saveexec_b64 s[0:1], vcc
	s_xor_b64 s[28:29], exec, s[0:1]
	s_cbranch_execz .LBB81_5
; %bb.4:                                ;   in Loop: Header=BB81_3 Depth=1
	s_add_u32 s0, s39, s41
	s_mov_b32 s2, s41
	s_mov_b32 s3, s41
	s_addc_u32 s1, s41, s41
	s_xor_b64 s[30:31], s[0:1], s[2:3]
	v_cvt_f32_u32_e32 v0, s30
	v_cvt_f32_u32_e32 v1, s31
	s_sub_u32 s0, 0, s30
	s_subb_u32 s1, 0, s31
	v_mac_f32_e32 v0, 0x4f800000, v1
	v_rcp_f32_e32 v0, v0
	v_mul_f32_e32 v0, 0x5f7ffffc, v0
	v_mul_f32_e32 v1, 0x2f800000, v0
	v_trunc_f32_e32 v1, v1
	v_mac_f32_e32 v0, 0xcf800000, v1
	v_cvt_u32_f32_e32 v1, v1
	v_cvt_u32_f32_e32 v0, v0
	v_mul_lo_u32 v2, s0, v1
	v_mul_hi_u32 v5, s0, v0
	v_mul_lo_u32 v3, s1, v0
	v_add_u32_e32 v2, v5, v2
	v_mul_lo_u32 v8, s0, v0
	v_add_u32_e32 v2, v2, v3
	v_mul_lo_u32 v5, v0, v2
	v_mul_hi_u32 v9, v0, v8
	v_mul_hi_u32 v3, v0, v2
	v_add_co_u32_e32 v5, vcc, v9, v5
	v_addc_co_u32_e32 v3, vcc, 0, v3, vcc
	v_mul_hi_u32 v10, v1, v8
	v_mul_lo_u32 v8, v1, v8
	v_add_co_u32_e32 v5, vcc, v5, v8
	v_mul_hi_u32 v9, v1, v2
	v_addc_co_u32_e32 v3, vcc, v3, v10, vcc
	v_addc_co_u32_e32 v5, vcc, 0, v9, vcc
	v_mul_lo_u32 v2, v1, v2
	v_add_co_u32_e32 v2, vcc, v3, v2
	v_addc_co_u32_e32 v3, vcc, 0, v5, vcc
	v_add_co_u32_e32 v0, vcc, v0, v2
	v_addc_co_u32_e32 v1, vcc, v1, v3, vcc
	v_mul_lo_u32 v2, s0, v1
	v_mul_hi_u32 v3, s0, v0
	v_add_u32_e32 v2, v3, v2
	v_mul_lo_u32 v3, s1, v0
	v_add_u32_e32 v2, v2, v3
	v_mul_lo_u32 v5, s0, v0
	v_mul_hi_u32 v8, v1, v5
	v_mul_lo_u32 v9, v1, v5
	v_mul_lo_u32 v11, v0, v2
	v_mul_hi_u32 v5, v0, v5
	v_mul_hi_u32 v10, v0, v2
	v_add_co_u32_e32 v5, vcc, v5, v11
	v_addc_co_u32_e32 v10, vcc, 0, v10, vcc
	v_add_co_u32_e32 v5, vcc, v5, v9
	v_mul_hi_u32 v3, v1, v2
	v_addc_co_u32_e32 v5, vcc, v10, v8, vcc
	v_addc_co_u32_e32 v3, vcc, 0, v3, vcc
	v_mul_lo_u32 v2, v1, v2
	v_add_co_u32_e32 v2, vcc, v5, v2
	v_addc_co_u32_e32 v3, vcc, 0, v3, vcc
	v_add_co_u32_e32 v2, vcc, v0, v2
	v_addc_co_u32_e32 v3, vcc, v1, v3, vcc
	v_ashrrev_i32_e32 v5, 31, v7
	v_add_co_u32_e32 v0, vcc, v6, v5
	v_addc_co_u32_e32 v1, vcc, v7, v5, vcc
	v_xor_b32_e32 v9, v0, v5
	v_xor_b32_e32 v8, v1, v5
	v_mad_u64_u32 v[0:1], s[0:1], v9, v3, 0
	v_mul_hi_u32 v10, v9, v2
	v_add_co_u32_e32 v10, vcc, v10, v0
	v_addc_co_u32_e32 v11, vcc, 0, v1, vcc
	v_mad_u64_u32 v[0:1], s[0:1], v8, v3, 0
	v_mad_u64_u32 v[2:3], s[0:1], v8, v2, 0
	v_add_co_u32_e32 v2, vcc, v10, v2
	v_addc_co_u32_e32 v2, vcc, v11, v3, vcc
	v_addc_co_u32_e32 v1, vcc, 0, v1, vcc
	v_add_co_u32_e32 v2, vcc, v2, v0
	v_addc_co_u32_e32 v3, vcc, 0, v1, vcc
	v_mul_lo_u32 v10, s31, v2
	v_mul_lo_u32 v11, s30, v3
	v_mad_u64_u32 v[0:1], s[0:1], s30, v2, 0
	v_add3_u32 v1, v1, v11, v10
	v_sub_u32_e32 v10, v8, v1
	v_mov_b32_e32 v11, s31
	v_sub_co_u32_e32 v0, vcc, v9, v0
	v_subb_co_u32_e64 v9, s[0:1], v10, v11, vcc
	v_subrev_co_u32_e64 v10, s[0:1], s30, v0
	v_subbrev_co_u32_e64 v9, s[0:1], 0, v9, s[0:1]
	v_cmp_le_u32_e64 s[0:1], s31, v9
	v_cndmask_b32_e64 v11, 0, -1, s[0:1]
	v_cmp_le_u32_e64 s[0:1], s30, v10
	v_cndmask_b32_e64 v12, 0, -1, s[0:1]
	v_cmp_eq_u32_e64 s[0:1], s31, v9
	v_cndmask_b32_e64 v9, v11, v12, s[0:1]
	v_add_co_u32_e64 v11, s[0:1], 2, v2
	v_addc_co_u32_e64 v12, s[0:1], 0, v3, s[0:1]
	v_add_co_u32_e64 v13, s[0:1], 1, v2
	v_subb_co_u32_e32 v1, vcc, v8, v1, vcc
	v_addc_co_u32_e64 v14, s[0:1], 0, v3, s[0:1]
	v_cmp_le_u32_e32 vcc, s31, v1
	v_cmp_ne_u32_e64 s[0:1], 0, v9
	v_cndmask_b32_e64 v8, 0, -1, vcc
	v_cmp_le_u32_e32 vcc, s30, v0
	v_cndmask_b32_e64 v9, v14, v12, s[0:1]
	v_cndmask_b32_e64 v12, 0, -1, vcc
	v_cmp_eq_u32_e32 vcc, s31, v1
	v_cndmask_b32_e32 v1, v8, v12, vcc
	v_cmp_ne_u32_e32 vcc, 0, v1
	v_cndmask_b32_e32 v1, v3, v9, vcc
	v_cndmask_b32_e64 v3, v13, v11, s[0:1]
	v_cndmask_b32_e32 v2, v2, v3, vcc
	v_xor_b32_e32 v8, s2, v5
	v_xor_b32_e32 v3, s3, v5
	;; [unrolled: 1-line block ×4, first 2 shown]
	v_sub_co_u32_e64 v14, s[2:3], v2, v8
	v_subb_co_u32_e64 v15, s[2:3], v1, v3, s[2:3]
	v_subrev_co_u32_e64 v1, s[2:3], s30, v10
	v_cndmask_b32_e64 v1, v10, v1, s[0:1]
	v_cndmask_b32_e32 v0, v0, v1, vcc
	v_xor_b32_e32 v0, v0, v5
	v_sub_co_u32_e32 v0, vcc, v0, v5
.LBB81_5:                               ;   in Loop: Header=BB81_3 Depth=1
	s_andn2_saveexec_b64 s[2:3], s[28:29]
	s_cbranch_execz .LBB81_7
; %bb.6:                                ;   in Loop: Header=BB81_3 Depth=1
	s_sub_i32 s0, 0, s39
	v_mul_lo_u32 v0, s0, v22
	v_mul_hi_u32 v0, v22, v0
	v_add_u32_e32 v0, v22, v0
	v_mul_hi_u32 v1, v6, v0
	v_mul_lo_u32 v0, v1, s39
	v_sub_u32_e32 v0, v6, v0
	v_subrev_u32_e32 v2, s39, v0
	v_cmp_le_u32_e32 vcc, s39, v0
	v_cndmask_b32_e32 v0, v0, v2, vcc
	v_subrev_u32_e32 v2, s39, v0
	v_cmp_le_u32_e64 s[0:1], s39, v0
	v_cndmask_b32_e64 v0, v0, v2, s[0:1]
	v_add_u32_e32 v2, 1, v1
	v_cndmask_b32_e32 v1, v1, v2, vcc
	v_add_u32_e32 v2, 1, v1
	v_cndmask_b32_e64 v14, v1, v2, s[0:1]
	v_mov_b32_e32 v15, v4
.LBB81_7:                               ;   in Loop: Header=BB81_3 Depth=1
	s_or_b64 exec, exec, s[2:3]
	v_or_b32_e32 v5, s40, v15
	v_cmp_ne_u64_e32 vcc, 0, v[4:5]
                                        ; implicit-def: $vgpr2_vgpr3
	s_and_saveexec_b64 s[0:1], vcc
	s_xor_b64 s[2:3], exec, s[0:1]
	s_cbranch_execz .LBB81_9
; %bb.8:                                ;   in Loop: Header=BB81_3 Depth=1
	s_add_u32 s28, s12, s40
	s_mov_b32 s0, s40
	s_mov_b32 s1, s40
	s_addc_u32 s29, s40, s40
	s_xor_b64 s[28:29], s[28:29], s[0:1]
	v_cvt_f32_u32_e32 v1, s28
	v_cvt_f32_u32_e32 v2, s29
	s_sub_u32 s0, 0, s28
	s_subb_u32 s1, 0, s29
	v_mac_f32_e32 v1, 0x4f800000, v2
	v_rcp_f32_e32 v1, v1
	v_mul_f32_e32 v1, 0x5f7ffffc, v1
	v_mul_f32_e32 v2, 0x2f800000, v1
	v_trunc_f32_e32 v2, v2
	v_mac_f32_e32 v1, 0xcf800000, v2
	v_cvt_u32_f32_e32 v2, v2
	v_cvt_u32_f32_e32 v1, v1
	v_mul_lo_u32 v3, s0, v2
	v_mul_hi_u32 v9, s0, v1
	v_mul_lo_u32 v8, s1, v1
	v_add_u32_e32 v3, v9, v3
	v_mul_lo_u32 v10, s0, v1
	v_add_u32_e32 v3, v3, v8
	v_mul_lo_u32 v9, v1, v3
	v_mul_hi_u32 v11, v1, v10
	v_mul_hi_u32 v8, v1, v3
	v_add_co_u32_e32 v9, vcc, v11, v9
	v_addc_co_u32_e32 v8, vcc, 0, v8, vcc
	v_mul_hi_u32 v12, v2, v10
	v_mul_lo_u32 v10, v2, v10
	v_add_co_u32_e32 v9, vcc, v9, v10
	v_mul_hi_u32 v11, v2, v3
	v_addc_co_u32_e32 v8, vcc, v8, v12, vcc
	v_addc_co_u32_e32 v9, vcc, 0, v11, vcc
	v_mul_lo_u32 v3, v2, v3
	v_add_co_u32_e32 v3, vcc, v8, v3
	v_addc_co_u32_e32 v8, vcc, 0, v9, vcc
	v_add_co_u32_e32 v1, vcc, v1, v3
	v_addc_co_u32_e32 v2, vcc, v2, v8, vcc
	v_mul_lo_u32 v3, s0, v2
	v_mul_hi_u32 v8, s0, v1
	v_add_u32_e32 v3, v8, v3
	v_mul_lo_u32 v8, s1, v1
	v_add_u32_e32 v3, v3, v8
	v_mul_lo_u32 v9, s0, v1
	v_mul_hi_u32 v10, v2, v9
	v_mul_lo_u32 v11, v2, v9
	v_mul_lo_u32 v13, v1, v3
	v_mul_hi_u32 v9, v1, v9
	v_mul_hi_u32 v12, v1, v3
	v_add_co_u32_e32 v9, vcc, v9, v13
	v_addc_co_u32_e32 v12, vcc, 0, v12, vcc
	v_add_co_u32_e32 v9, vcc, v9, v11
	v_mul_hi_u32 v8, v2, v3
	v_addc_co_u32_e32 v9, vcc, v12, v10, vcc
	v_addc_co_u32_e32 v8, vcc, 0, v8, vcc
	v_mul_lo_u32 v3, v2, v3
	v_add_co_u32_e32 v3, vcc, v9, v3
	v_addc_co_u32_e32 v8, vcc, 0, v8, vcc
	v_add_co_u32_e32 v1, vcc, v1, v3
	v_addc_co_u32_e32 v8, vcc, v2, v8, vcc
	v_ashrrev_i32_e32 v10, 31, v15
	v_add_co_u32_e32 v2, vcc, v14, v10
	v_addc_co_u32_e32 v3, vcc, v15, v10, vcc
	v_xor_b32_e32 v12, v2, v10
	v_xor_b32_e32 v11, v3, v10
	v_mad_u64_u32 v[2:3], s[0:1], v12, v8, 0
	v_mul_hi_u32 v9, v12, v1
	v_add_co_u32_e32 v13, vcc, v9, v2
	v_addc_co_u32_e32 v16, vcc, 0, v3, vcc
	v_mad_u64_u32 v[2:3], s[0:1], v11, v8, 0
	v_mad_u64_u32 v[8:9], s[0:1], v11, v1, 0
	v_add_co_u32_e32 v1, vcc, v13, v8
	v_addc_co_u32_e32 v1, vcc, v16, v9, vcc
	v_addc_co_u32_e32 v3, vcc, 0, v3, vcc
	v_add_co_u32_e32 v1, vcc, v1, v2
	v_addc_co_u32_e32 v2, vcc, 0, v3, vcc
	v_mul_lo_u32 v8, s29, v1
	v_mul_lo_u32 v9, s28, v2
	v_mad_u64_u32 v[2:3], s[0:1], s28, v1, 0
	v_add3_u32 v1, v3, v9, v8
	v_sub_u32_e32 v3, v11, v1
	v_mov_b32_e32 v8, s29
	v_sub_co_u32_e32 v2, vcc, v12, v2
	v_subb_co_u32_e64 v3, s[0:1], v3, v8, vcc
	v_subrev_co_u32_e64 v8, s[0:1], s28, v2
	v_subbrev_co_u32_e64 v3, s[0:1], 0, v3, s[0:1]
	v_cmp_le_u32_e64 s[0:1], s29, v3
	v_subb_co_u32_e32 v1, vcc, v11, v1, vcc
	v_cndmask_b32_e64 v9, 0, -1, s[0:1]
	v_cmp_le_u32_e64 s[0:1], s28, v8
	v_cmp_le_u32_e32 vcc, s29, v1
	v_cndmask_b32_e64 v12, 0, -1, s[0:1]
	v_cmp_eq_u32_e64 s[0:1], s29, v3
	v_cndmask_b32_e64 v11, 0, -1, vcc
	v_cmp_le_u32_e32 vcc, s28, v2
	v_cndmask_b32_e64 v3, v9, v12, s[0:1]
	v_cndmask_b32_e64 v12, 0, -1, vcc
	v_cmp_eq_u32_e32 vcc, s29, v1
	v_subrev_co_u32_e64 v9, s[0:1], s28, v8
	v_cndmask_b32_e32 v1, v11, v12, vcc
	v_cmp_ne_u32_e32 vcc, 0, v3
	v_cndmask_b32_e32 v3, v8, v9, vcc
	v_cmp_ne_u32_e32 vcc, 0, v1
	v_cndmask_b32_e32 v1, v2, v3, vcc
	v_xor_b32_e32 v1, v1, v10
	v_sub_co_u32_e32 v2, vcc, v1, v10
.LBB81_9:                               ;   in Loop: Header=BB81_3 Depth=1
	s_andn2_saveexec_b64 s[0:1], s[2:3]
	s_cbranch_execz .LBB81_11
; %bb.10:                               ;   in Loop: Header=BB81_3 Depth=1
	v_cvt_f32_u32_e32 v1, s12
	s_sub_i32 s2, 0, s12
	v_rcp_iflag_f32_e32 v1, v1
	v_mul_f32_e32 v1, 0x4f7ffffe, v1
	v_cvt_u32_f32_e32 v1, v1
	v_mul_lo_u32 v2, s2, v1
	v_mul_hi_u32 v2, v1, v2
	v_add_u32_e32 v1, v1, v2
	v_mul_hi_u32 v1, v14, v1
	v_mul_lo_u32 v1, v1, s12
	v_sub_u32_e32 v1, v14, v1
	v_subrev_u32_e32 v2, s12, v1
	v_cmp_le_u32_e32 vcc, s12, v1
	v_cndmask_b32_e32 v1, v1, v2, vcc
	v_subrev_u32_e32 v2, s12, v1
	v_cmp_le_u32_e32 vcc, s12, v1
	v_cndmask_b32_e32 v2, v1, v2, vcc
.LBB81_11:                              ;   in Loop: Header=BB81_3 Depth=1
	s_or_b64 exec, exec, s[0:1]
	v_mul_lo_u32 v8, s17, v0
	v_mad_u64_u32 v[10:11], s[0:1], s16, v2, v[8:9]
	s_waitcnt lgkmcnt(0)
	v_mul_lo_u32 v8, s19, v0
	s_andn2_b64 vcc, exec, s[14:15]
	v_mad_u64_u32 v[8:9], s[0:1], s18, v2, v[8:9]
	s_cbranch_vccnz .LBB81_41
; %bb.12:                               ;   in Loop: Header=BB81_3 Depth=1
	v_cmp_ne_u64_e32 vcc, 0, v[4:5]
                                        ; implicit-def: $vgpr12_vgpr13
	s_and_saveexec_b64 s[0:1], vcc
	s_xor_b64 s[2:3], exec, s[0:1]
	s_cbranch_execz .LBB81_14
; %bb.13:                               ;   in Loop: Header=BB81_3 Depth=1
	s_add_u32 s0, s12, s40
	s_mov_b32 s28, s40
	s_mov_b32 s29, s40
	s_addc_u32 s1, s40, s40
	s_xor_b64 s[30:31], s[0:1], s[28:29]
	v_cvt_f32_u32_e32 v1, s30
	v_cvt_f32_u32_e32 v3, s31
	s_sub_u32 s0, 0, s30
	s_subb_u32 s1, 0, s31
	v_mac_f32_e32 v1, 0x4f800000, v3
	v_rcp_f32_e32 v1, v1
	v_mul_f32_e32 v1, 0x5f7ffffc, v1
	v_mul_f32_e32 v3, 0x2f800000, v1
	v_trunc_f32_e32 v3, v3
	v_mac_f32_e32 v1, 0xcf800000, v3
	v_cvt_u32_f32_e32 v3, v3
	v_cvt_u32_f32_e32 v1, v1
	v_mul_lo_u32 v5, s0, v3
	v_mul_hi_u32 v11, s0, v1
	v_mul_lo_u32 v9, s1, v1
	v_add_u32_e32 v5, v11, v5
	v_mul_lo_u32 v12, s0, v1
	v_add_u32_e32 v5, v5, v9
	v_mul_lo_u32 v11, v1, v5
	v_mul_hi_u32 v13, v1, v12
	v_mul_hi_u32 v9, v1, v5
	v_add_co_u32_e32 v11, vcc, v13, v11
	v_addc_co_u32_e32 v9, vcc, 0, v9, vcc
	v_mul_hi_u32 v16, v3, v12
	v_mul_lo_u32 v12, v3, v12
	v_add_co_u32_e32 v11, vcc, v11, v12
	v_mul_hi_u32 v13, v3, v5
	v_addc_co_u32_e32 v9, vcc, v9, v16, vcc
	v_addc_co_u32_e32 v11, vcc, 0, v13, vcc
	v_mul_lo_u32 v5, v3, v5
	v_add_co_u32_e32 v5, vcc, v9, v5
	v_addc_co_u32_e32 v9, vcc, 0, v11, vcc
	v_add_co_u32_e32 v1, vcc, v1, v5
	v_addc_co_u32_e32 v3, vcc, v3, v9, vcc
	v_mul_lo_u32 v5, s0, v3
	v_mul_hi_u32 v9, s0, v1
	v_add_u32_e32 v5, v9, v5
	v_mul_lo_u32 v9, s1, v1
	v_add_u32_e32 v5, v5, v9
	v_mul_lo_u32 v11, s0, v1
	v_mul_hi_u32 v12, v3, v11
	v_mul_lo_u32 v13, v3, v11
	v_mul_lo_u32 v17, v1, v5
	v_mul_hi_u32 v11, v1, v11
	v_mul_hi_u32 v16, v1, v5
	v_add_co_u32_e32 v11, vcc, v11, v17
	v_addc_co_u32_e32 v16, vcc, 0, v16, vcc
	v_add_co_u32_e32 v11, vcc, v11, v13
	v_mul_hi_u32 v9, v3, v5
	v_addc_co_u32_e32 v11, vcc, v16, v12, vcc
	v_addc_co_u32_e32 v9, vcc, 0, v9, vcc
	v_mul_lo_u32 v5, v3, v5
	v_add_co_u32_e32 v5, vcc, v11, v5
	v_addc_co_u32_e32 v9, vcc, 0, v9, vcc
	v_add_co_u32_e32 v1, vcc, v1, v5
	v_addc_co_u32_e32 v3, vcc, v3, v9, vcc
	v_ashrrev_i32_e32 v5, 31, v15
	v_add_co_u32_e32 v9, vcc, v14, v5
	v_xor_b32_e32 v9, v9, v5
	v_addc_co_u32_e32 v11, vcc, v15, v5, vcc
	v_mad_u64_u32 v[12:13], s[0:1], v9, v3, 0
	v_mul_hi_u32 v14, v9, v1
	v_xor_b32_e32 v11, v11, v5
	v_add_co_u32_e32 v16, vcc, v14, v12
	v_addc_co_u32_e32 v17, vcc, 0, v13, vcc
	v_mad_u64_u32 v[14:15], s[0:1], v11, v1, 0
	v_add_co_u32_e32 v1, vcc, v16, v14
	v_mad_u64_u32 v[12:13], s[0:1], v11, v3, 0
	v_addc_co_u32_e32 v1, vcc, v17, v15, vcc
	v_addc_co_u32_e32 v3, vcc, 0, v13, vcc
	v_add_co_u32_e32 v1, vcc, v1, v12
	v_addc_co_u32_e32 v3, vcc, 0, v3, vcc
	v_mul_lo_u32 v14, s31, v1
	v_mul_lo_u32 v15, s30, v3
	v_mad_u64_u32 v[12:13], s[0:1], s30, v1, 0
	v_add3_u32 v13, v13, v15, v14
	v_sub_u32_e32 v14, v11, v13
	v_mov_b32_e32 v15, s31
	v_sub_co_u32_e32 v9, vcc, v9, v12
	v_subb_co_u32_e64 v12, s[0:1], v14, v15, vcc
	v_subrev_co_u32_e64 v14, s[0:1], s30, v9
	v_subbrev_co_u32_e64 v12, s[0:1], 0, v12, s[0:1]
	v_cmp_le_u32_e64 s[0:1], s31, v12
	v_cndmask_b32_e64 v15, 0, -1, s[0:1]
	v_cmp_le_u32_e64 s[0:1], s30, v14
	v_cndmask_b32_e64 v14, 0, -1, s[0:1]
	v_cmp_eq_u32_e64 s[0:1], s31, v12
	v_cndmask_b32_e64 v12, v15, v14, s[0:1]
	v_add_co_u32_e64 v14, s[0:1], 2, v1
	v_subb_co_u32_e32 v11, vcc, v11, v13, vcc
	v_addc_co_u32_e64 v15, s[0:1], 0, v3, s[0:1]
	v_cmp_le_u32_e32 vcc, s31, v11
	v_add_co_u32_e64 v16, s[0:1], 1, v1
	v_cndmask_b32_e64 v13, 0, -1, vcc
	v_cmp_le_u32_e32 vcc, s30, v9
	v_addc_co_u32_e64 v17, s[0:1], 0, v3, s[0:1]
	v_cndmask_b32_e64 v9, 0, -1, vcc
	v_cmp_eq_u32_e32 vcc, s31, v11
	v_cmp_ne_u32_e64 s[0:1], 0, v12
	v_cndmask_b32_e32 v9, v13, v9, vcc
	v_cmp_ne_u32_e32 vcc, 0, v9
	v_cndmask_b32_e64 v9, v16, v14, s[0:1]
	v_cndmask_b32_e64 v12, v17, v15, s[0:1]
	v_cndmask_b32_e32 v1, v1, v9, vcc
	v_xor_b32_e32 v9, s29, v5
	v_xor_b32_e32 v5, s28, v5
	v_cndmask_b32_e32 v3, v3, v12, vcc
	v_xor_b32_e32 v1, v1, v5
	v_xor_b32_e32 v3, v3, v9
	v_sub_co_u32_e32 v12, vcc, v1, v5
	v_subb_co_u32_e32 v13, vcc, v3, v9, vcc
                                        ; implicit-def: $vgpr14_vgpr15
.LBB81_14:                              ;   in Loop: Header=BB81_3 Depth=1
	s_andn2_saveexec_b64 s[0:1], s[2:3]
	s_cbranch_execz .LBB81_16
; %bb.15:                               ;   in Loop: Header=BB81_3 Depth=1
	v_cvt_f32_u32_e32 v1, s12
	s_sub_i32 s2, 0, s12
	v_mov_b32_e32 v13, v4
	v_rcp_iflag_f32_e32 v1, v1
	v_mul_f32_e32 v1, 0x4f7ffffe, v1
	v_cvt_u32_f32_e32 v1, v1
	v_mul_lo_u32 v3, s2, v1
	v_mul_hi_u32 v3, v1, v3
	v_add_u32_e32 v1, v1, v3
	v_mul_hi_u32 v1, v14, v1
	v_mul_lo_u32 v3, v1, s12
	v_sub_u32_e32 v3, v14, v3
	v_add_u32_e32 v5, 1, v1
	v_subrev_u32_e32 v9, s12, v3
	v_cmp_le_u32_e32 vcc, s12, v3
	v_cndmask_b32_e32 v3, v3, v9, vcc
	v_cndmask_b32_e32 v1, v1, v5, vcc
	v_add_u32_e32 v5, 1, v1
	v_cmp_le_u32_e32 vcc, s12, v3
	v_cndmask_b32_e32 v12, v1, v5, vcc
.LBB81_16:                              ;   in Loop: Header=BB81_3 Depth=1
	s_or_b64 exec, exec, s[0:1]
	s_andn2_b64 vcc, exec, s[22:23]
	s_mov_b32 s48, 1
	s_mov_b32 s20, s44
	s_cbranch_vccz .LBB81_37
.LBB81_17:                              ;   in Loop: Header=BB81_3 Depth=1
	s_and_b64 vcc, exec, s[26:27]
	s_cbranch_vccz .LBB81_41
.LBB81_18:                              ;   Parent Loop BB81_3 Depth=1
                                        ; =>  This Inner Loop Header: Depth=2
	s_lshl_b64 s[2:3], s[20:21], 2
	s_add_u32 s28, s33, s2
	s_addc_u32 s29, s38, s3
	s_load_dword s48, s[28:29], 0x8
                                        ; implicit-def: $vgpr14_vgpr15
	s_waitcnt lgkmcnt(0)
	s_ashr_i32 s0, s48, 31
	v_or_b32_e32 v5, s0, v13
	v_cmp_ne_u64_e32 vcc, 0, v[4:5]
	s_and_saveexec_b64 s[30:31], vcc
	s_xor_b64 s[30:31], exec, s[30:31]
	s_cbranch_execz .LBB81_20
; %bb.19:                               ;   in Loop: Header=BB81_18 Depth=2
	s_add_u32 s36, s48, s0
	s_mov_b32 s34, s0
	s_mov_b32 s35, s0
	s_addc_u32 s37, s0, s0
	s_xor_b64 s[36:37], s[36:37], s[34:35]
	v_cvt_f32_u32_e32 v1, s36
	v_cvt_f32_u32_e32 v3, s37
	s_sub_u32 s0, 0, s36
	s_subb_u32 s1, 0, s37
	v_mac_f32_e32 v1, 0x4f800000, v3
	v_rcp_f32_e32 v1, v1
	v_mul_f32_e32 v1, 0x5f7ffffc, v1
	v_mul_f32_e32 v3, 0x2f800000, v1
	v_trunc_f32_e32 v3, v3
	v_mac_f32_e32 v1, 0xcf800000, v3
	v_cvt_u32_f32_e32 v3, v3
	v_cvt_u32_f32_e32 v1, v1
	v_mul_lo_u32 v5, s0, v3
	v_mul_hi_u32 v11, s0, v1
	v_mul_lo_u32 v9, s1, v1
	v_add_u32_e32 v5, v11, v5
	v_mul_lo_u32 v14, s0, v1
	v_add_u32_e32 v5, v5, v9
	v_mul_lo_u32 v11, v1, v5
	v_mul_hi_u32 v15, v1, v14
	v_mul_hi_u32 v9, v1, v5
	v_add_co_u32_e32 v11, vcc, v15, v11
	v_addc_co_u32_e32 v9, vcc, 0, v9, vcc
	v_mul_hi_u32 v16, v3, v14
	v_mul_lo_u32 v14, v3, v14
	v_add_co_u32_e32 v11, vcc, v11, v14
	v_mul_hi_u32 v15, v3, v5
	v_addc_co_u32_e32 v9, vcc, v9, v16, vcc
	v_addc_co_u32_e32 v11, vcc, 0, v15, vcc
	v_mul_lo_u32 v5, v3, v5
	v_add_co_u32_e32 v5, vcc, v9, v5
	v_addc_co_u32_e32 v9, vcc, 0, v11, vcc
	v_add_co_u32_e32 v1, vcc, v1, v5
	v_addc_co_u32_e32 v3, vcc, v3, v9, vcc
	v_mul_lo_u32 v5, s0, v3
	v_mul_hi_u32 v9, s0, v1
	v_add_u32_e32 v5, v9, v5
	v_mul_lo_u32 v9, s1, v1
	v_add_u32_e32 v5, v5, v9
	v_mul_lo_u32 v11, s0, v1
	v_mul_hi_u32 v14, v3, v11
	v_mul_lo_u32 v15, v3, v11
	v_mul_lo_u32 v17, v1, v5
	v_mul_hi_u32 v11, v1, v11
	v_mul_hi_u32 v16, v1, v5
	v_add_co_u32_e32 v11, vcc, v11, v17
	v_addc_co_u32_e32 v16, vcc, 0, v16, vcc
	v_add_co_u32_e32 v11, vcc, v11, v15
	v_mul_hi_u32 v9, v3, v5
	v_addc_co_u32_e32 v11, vcc, v16, v14, vcc
	v_addc_co_u32_e32 v9, vcc, 0, v9, vcc
	v_mul_lo_u32 v5, v3, v5
	v_add_co_u32_e32 v5, vcc, v11, v5
	v_addc_co_u32_e32 v9, vcc, 0, v9, vcc
	v_add_co_u32_e32 v1, vcc, v1, v5
	v_addc_co_u32_e32 v3, vcc, v3, v9, vcc
	v_ashrrev_i32_e32 v5, 31, v13
	v_add_co_u32_e32 v9, vcc, v12, v5
	v_xor_b32_e32 v9, v9, v5
	v_addc_co_u32_e32 v11, vcc, v13, v5, vcc
	v_mad_u64_u32 v[14:15], s[0:1], v9, v3, 0
	v_mul_hi_u32 v13, v9, v1
	v_xor_b32_e32 v11, v11, v5
	v_add_co_u32_e32 v13, vcc, v13, v14
	v_addc_co_u32_e32 v18, vcc, 0, v15, vcc
	v_mad_u64_u32 v[16:17], s[0:1], v11, v1, 0
	v_add_co_u32_e32 v1, vcc, v13, v16
	v_mad_u64_u32 v[14:15], s[0:1], v11, v3, 0
	v_addc_co_u32_e32 v1, vcc, v18, v17, vcc
	v_addc_co_u32_e32 v3, vcc, 0, v15, vcc
	v_add_co_u32_e32 v1, vcc, v1, v14
	v_addc_co_u32_e32 v3, vcc, 0, v3, vcc
	v_mul_lo_u32 v13, s37, v1
	v_mul_lo_u32 v16, s36, v3
	v_mad_u64_u32 v[14:15], s[0:1], s36, v1, 0
	v_add3_u32 v13, v15, v16, v13
	v_sub_u32_e32 v15, v11, v13
	v_mov_b32_e32 v16, s37
	v_sub_co_u32_e32 v9, vcc, v9, v14
	v_subb_co_u32_e64 v14, s[0:1], v15, v16, vcc
	v_subrev_co_u32_e64 v15, s[0:1], s36, v9
	v_subbrev_co_u32_e64 v14, s[0:1], 0, v14, s[0:1]
	v_cmp_le_u32_e64 s[0:1], s37, v14
	v_cndmask_b32_e64 v16, 0, -1, s[0:1]
	v_cmp_le_u32_e64 s[0:1], s36, v15
	v_cndmask_b32_e64 v15, 0, -1, s[0:1]
	v_cmp_eq_u32_e64 s[0:1], s37, v14
	v_cndmask_b32_e64 v14, v16, v15, s[0:1]
	v_add_co_u32_e64 v15, s[0:1], 2, v1
	v_subb_co_u32_e32 v11, vcc, v11, v13, vcc
	v_addc_co_u32_e64 v16, s[0:1], 0, v3, s[0:1]
	v_cmp_le_u32_e32 vcc, s37, v11
	v_add_co_u32_e64 v17, s[0:1], 1, v1
	v_cndmask_b32_e64 v13, 0, -1, vcc
	v_cmp_le_u32_e32 vcc, s36, v9
	v_addc_co_u32_e64 v18, s[0:1], 0, v3, s[0:1]
	v_cndmask_b32_e64 v9, 0, -1, vcc
	v_cmp_eq_u32_e32 vcc, s37, v11
	v_cmp_ne_u32_e64 s[0:1], 0, v14
	v_cndmask_b32_e32 v9, v13, v9, vcc
	v_cmp_ne_u32_e32 vcc, 0, v9
	v_cndmask_b32_e64 v9, v17, v15, s[0:1]
	v_cndmask_b32_e64 v14, v18, v16, s[0:1]
	v_cndmask_b32_e32 v1, v1, v9, vcc
	v_xor_b32_e32 v9, s35, v5
	v_xor_b32_e32 v5, s34, v5
	v_cndmask_b32_e32 v3, v3, v14, vcc
	v_xor_b32_e32 v1, v1, v5
	v_xor_b32_e32 v3, v3, v9
	v_sub_co_u32_e32 v14, vcc, v1, v5
	v_subb_co_u32_e32 v15, vcc, v3, v9, vcc
.LBB81_20:                              ;   in Loop: Header=BB81_18 Depth=2
	s_andn2_saveexec_b64 s[0:1], s[30:31]
	s_cbranch_execz .LBB81_22
; %bb.21:                               ;   in Loop: Header=BB81_18 Depth=2
	v_cvt_f32_u32_e32 v1, s48
	s_sub_i32 s30, 0, s48
	v_mov_b32_e32 v15, v4
	v_rcp_iflag_f32_e32 v1, v1
	v_mul_f32_e32 v1, 0x4f7ffffe, v1
	v_cvt_u32_f32_e32 v1, v1
	v_mul_lo_u32 v3, s30, v1
	v_mul_hi_u32 v3, v1, v3
	v_add_u32_e32 v1, v1, v3
	v_mul_hi_u32 v1, v12, v1
	v_mul_lo_u32 v3, v1, s48
	v_sub_u32_e32 v3, v12, v3
	v_add_u32_e32 v5, 1, v1
	v_subrev_u32_e32 v9, s48, v3
	v_cmp_le_u32_e32 vcc, s48, v3
	v_cndmask_b32_e32 v3, v3, v9, vcc
	v_cndmask_b32_e32 v1, v1, v5, vcc
	v_add_u32_e32 v5, 1, v1
	v_cmp_le_u32_e32 vcc, s48, v3
	v_cndmask_b32_e32 v14, v1, v5, vcc
.LBB81_22:                              ;   in Loop: Header=BB81_18 Depth=2
	s_or_b64 exec, exec, s[0:1]
	s_add_u32 s0, s42, s2
	s_addc_u32 s1, s43, s3
	s_add_i32 s2, s20, -1
	s_mov_b32 s3, s21
	s_lshl_b64 s[30:31], s[2:3], 2
	s_add_u32 s2, s33, s30
	s_addc_u32 s3, s38, s31
	s_load_dword s49, s[2:3], 0x8
	s_load_dword s50, s[28:29], 0x6c
	;; [unrolled: 1-line block ×3, first 2 shown]
                                        ; implicit-def: $vgpr16_vgpr17
	s_waitcnt lgkmcnt(0)
	s_ashr_i32 s0, s49, 31
	v_or_b32_e32 v5, s0, v15
	v_cmp_ne_u64_e32 vcc, 0, v[4:5]
	s_and_saveexec_b64 s[28:29], vcc
	s_xor_b64 s[28:29], exec, s[28:29]
	s_cbranch_execz .LBB81_24
; %bb.23:                               ;   in Loop: Header=BB81_18 Depth=2
	s_add_u32 s36, s49, s0
	s_mov_b32 s34, s0
	s_mov_b32 s35, s0
	s_addc_u32 s37, s0, s0
	s_xor_b64 s[36:37], s[36:37], s[34:35]
	v_cvt_f32_u32_e32 v1, s36
	v_cvt_f32_u32_e32 v3, s37
	s_sub_u32 s0, 0, s36
	s_subb_u32 s1, 0, s37
	v_mac_f32_e32 v1, 0x4f800000, v3
	v_rcp_f32_e32 v1, v1
	v_mul_f32_e32 v1, 0x5f7ffffc, v1
	v_mul_f32_e32 v3, 0x2f800000, v1
	v_trunc_f32_e32 v3, v3
	v_mac_f32_e32 v1, 0xcf800000, v3
	v_cvt_u32_f32_e32 v3, v3
	v_cvt_u32_f32_e32 v1, v1
	v_mul_lo_u32 v5, s0, v3
	v_mul_hi_u32 v11, s0, v1
	v_mul_lo_u32 v9, s1, v1
	v_add_u32_e32 v5, v11, v5
	v_mul_lo_u32 v13, s0, v1
	v_add_u32_e32 v5, v5, v9
	v_mul_lo_u32 v11, v1, v5
	v_mul_hi_u32 v16, v1, v13
	v_mul_hi_u32 v9, v1, v5
	v_add_co_u32_e32 v11, vcc, v16, v11
	v_addc_co_u32_e32 v9, vcc, 0, v9, vcc
	v_mul_hi_u32 v17, v3, v13
	v_mul_lo_u32 v13, v3, v13
	v_add_co_u32_e32 v11, vcc, v11, v13
	v_mul_hi_u32 v16, v3, v5
	v_addc_co_u32_e32 v9, vcc, v9, v17, vcc
	v_addc_co_u32_e32 v11, vcc, 0, v16, vcc
	v_mul_lo_u32 v5, v3, v5
	v_add_co_u32_e32 v5, vcc, v9, v5
	v_addc_co_u32_e32 v9, vcc, 0, v11, vcc
	v_add_co_u32_e32 v1, vcc, v1, v5
	v_addc_co_u32_e32 v3, vcc, v3, v9, vcc
	v_mul_lo_u32 v5, s0, v3
	v_mul_hi_u32 v9, s0, v1
	v_add_u32_e32 v5, v9, v5
	v_mul_lo_u32 v9, s1, v1
	v_add_u32_e32 v5, v5, v9
	v_mul_lo_u32 v11, s0, v1
	v_mul_hi_u32 v13, v3, v11
	v_mul_lo_u32 v16, v3, v11
	v_mul_lo_u32 v18, v1, v5
	v_mul_hi_u32 v11, v1, v11
	v_mul_hi_u32 v17, v1, v5
	v_add_co_u32_e32 v11, vcc, v11, v18
	v_addc_co_u32_e32 v17, vcc, 0, v17, vcc
	v_add_co_u32_e32 v11, vcc, v11, v16
	v_mul_hi_u32 v9, v3, v5
	v_addc_co_u32_e32 v11, vcc, v17, v13, vcc
	v_addc_co_u32_e32 v9, vcc, 0, v9, vcc
	v_mul_lo_u32 v5, v3, v5
	v_add_co_u32_e32 v5, vcc, v11, v5
	v_addc_co_u32_e32 v9, vcc, 0, v9, vcc
	v_add_co_u32_e32 v1, vcc, v1, v5
	v_addc_co_u32_e32 v3, vcc, v3, v9, vcc
	v_ashrrev_i32_e32 v5, 31, v15
	v_add_co_u32_e32 v9, vcc, v14, v5
	v_xor_b32_e32 v9, v9, v5
	v_addc_co_u32_e32 v11, vcc, v15, v5, vcc
	v_mad_u64_u32 v[16:17], s[0:1], v9, v3, 0
	v_mul_hi_u32 v13, v9, v1
	v_xor_b32_e32 v11, v11, v5
	v_add_co_u32_e32 v13, vcc, v13, v16
	v_addc_co_u32_e32 v15, vcc, 0, v17, vcc
	v_mad_u64_u32 v[18:19], s[0:1], v11, v1, 0
	v_add_co_u32_e32 v1, vcc, v13, v18
	v_mad_u64_u32 v[16:17], s[0:1], v11, v3, 0
	v_addc_co_u32_e32 v1, vcc, v15, v19, vcc
	v_addc_co_u32_e32 v3, vcc, 0, v17, vcc
	v_add_co_u32_e32 v1, vcc, v1, v16
	v_addc_co_u32_e32 v3, vcc, 0, v3, vcc
	v_mul_lo_u32 v13, s37, v1
	v_mul_lo_u32 v15, s36, v3
	v_mad_u64_u32 v[16:17], s[0:1], s36, v1, 0
	v_add3_u32 v13, v17, v15, v13
	v_sub_u32_e32 v15, v11, v13
	v_mov_b32_e32 v17, s37
	v_sub_co_u32_e32 v9, vcc, v9, v16
	v_subb_co_u32_e64 v15, s[0:1], v15, v17, vcc
	v_subrev_co_u32_e64 v16, s[0:1], s36, v9
	v_subbrev_co_u32_e64 v15, s[0:1], 0, v15, s[0:1]
	v_cmp_le_u32_e64 s[0:1], s37, v15
	v_cndmask_b32_e64 v17, 0, -1, s[0:1]
	v_cmp_le_u32_e64 s[0:1], s36, v16
	v_cndmask_b32_e64 v16, 0, -1, s[0:1]
	v_cmp_eq_u32_e64 s[0:1], s37, v15
	v_cndmask_b32_e64 v15, v17, v16, s[0:1]
	v_add_co_u32_e64 v16, s[0:1], 2, v1
	v_subb_co_u32_e32 v11, vcc, v11, v13, vcc
	v_addc_co_u32_e64 v17, s[0:1], 0, v3, s[0:1]
	v_cmp_le_u32_e32 vcc, s37, v11
	v_add_co_u32_e64 v18, s[0:1], 1, v1
	v_cndmask_b32_e64 v13, 0, -1, vcc
	v_cmp_le_u32_e32 vcc, s36, v9
	v_addc_co_u32_e64 v19, s[0:1], 0, v3, s[0:1]
	v_cndmask_b32_e64 v9, 0, -1, vcc
	v_cmp_eq_u32_e32 vcc, s37, v11
	v_cmp_ne_u32_e64 s[0:1], 0, v15
	v_cndmask_b32_e32 v9, v13, v9, vcc
	v_cmp_ne_u32_e32 vcc, 0, v9
	v_cndmask_b32_e64 v9, v18, v16, s[0:1]
	v_cndmask_b32_e64 v15, v19, v17, s[0:1]
	v_cndmask_b32_e32 v1, v1, v9, vcc
	v_xor_b32_e32 v9, s35, v5
	v_xor_b32_e32 v5, s34, v5
	v_cndmask_b32_e32 v3, v3, v15, vcc
	v_xor_b32_e32 v1, v1, v5
	v_xor_b32_e32 v3, v3, v9
	v_sub_co_u32_e32 v16, vcc, v1, v5
	v_subb_co_u32_e32 v17, vcc, v3, v9, vcc
.LBB81_24:                              ;   in Loop: Header=BB81_18 Depth=2
	s_andn2_saveexec_b64 s[0:1], s[28:29]
	s_cbranch_execz .LBB81_26
; %bb.25:                               ;   in Loop: Header=BB81_18 Depth=2
	v_cvt_f32_u32_e32 v1, s49
	s_sub_i32 s28, 0, s49
	v_mov_b32_e32 v17, v4
	v_rcp_iflag_f32_e32 v1, v1
	v_mul_f32_e32 v1, 0x4f7ffffe, v1
	v_cvt_u32_f32_e32 v1, v1
	v_mul_lo_u32 v3, s28, v1
	v_mul_hi_u32 v3, v1, v3
	v_add_u32_e32 v1, v1, v3
	v_mul_hi_u32 v1, v14, v1
	v_mul_lo_u32 v3, v1, s49
	v_sub_u32_e32 v3, v14, v3
	v_add_u32_e32 v5, 1, v1
	v_subrev_u32_e32 v9, s49, v3
	v_cmp_le_u32_e32 vcc, s49, v3
	v_cndmask_b32_e32 v3, v3, v9, vcc
	v_cndmask_b32_e32 v1, v1, v5, vcc
	v_add_u32_e32 v5, 1, v1
	v_cmp_le_u32_e32 vcc, s49, v3
	v_cndmask_b32_e32 v16, v1, v5, vcc
.LBB81_26:                              ;   in Loop: Header=BB81_18 Depth=2
	s_or_b64 exec, exec, s[0:1]
	s_add_u32 s0, s42, s30
	s_addc_u32 s1, s43, s31
	s_add_i32 s28, s20, -2
	s_mov_b32 s29, s21
	s_lshl_b64 s[28:29], s[28:29], 2
	s_add_u32 s30, s33, s28
	s_addc_u32 s31, s38, s29
	s_load_dword s52, s[30:31], 0x8
	s_load_dword s54, s[2:3], 0x6c
	;; [unrolled: 1-line block ×3, first 2 shown]
                                        ; implicit-def: $vgpr18_vgpr19
	s_waitcnt lgkmcnt(0)
	s_ashr_i32 s0, s52, 31
	v_or_b32_e32 v5, s0, v17
	v_cmp_ne_u64_e32 vcc, 0, v[4:5]
	s_and_saveexec_b64 s[2:3], vcc
	s_xor_b64 s[2:3], exec, s[2:3]
	s_cbranch_execz .LBB81_28
; %bb.27:                               ;   in Loop: Header=BB81_18 Depth=2
	s_add_u32 s36, s52, s0
	s_mov_b32 s34, s0
	s_mov_b32 s35, s0
	s_addc_u32 s37, s0, s0
	s_xor_b64 s[36:37], s[36:37], s[34:35]
	v_cvt_f32_u32_e32 v1, s36
	v_cvt_f32_u32_e32 v3, s37
	s_sub_u32 s0, 0, s36
	s_subb_u32 s1, 0, s37
	v_mac_f32_e32 v1, 0x4f800000, v3
	v_rcp_f32_e32 v1, v1
	v_mul_f32_e32 v1, 0x5f7ffffc, v1
	v_mul_f32_e32 v3, 0x2f800000, v1
	v_trunc_f32_e32 v3, v3
	v_mac_f32_e32 v1, 0xcf800000, v3
	v_cvt_u32_f32_e32 v3, v3
	v_cvt_u32_f32_e32 v1, v1
	v_mul_lo_u32 v5, s0, v3
	v_mul_hi_u32 v11, s0, v1
	v_mul_lo_u32 v9, s1, v1
	v_add_u32_e32 v5, v11, v5
	v_mul_lo_u32 v13, s0, v1
	v_add_u32_e32 v5, v5, v9
	v_mul_lo_u32 v11, v1, v5
	v_mul_hi_u32 v15, v1, v13
	v_mul_hi_u32 v9, v1, v5
	v_add_co_u32_e32 v11, vcc, v15, v11
	v_addc_co_u32_e32 v9, vcc, 0, v9, vcc
	v_mul_hi_u32 v18, v3, v13
	v_mul_lo_u32 v13, v3, v13
	v_add_co_u32_e32 v11, vcc, v11, v13
	v_mul_hi_u32 v15, v3, v5
	v_addc_co_u32_e32 v9, vcc, v9, v18, vcc
	v_addc_co_u32_e32 v11, vcc, 0, v15, vcc
	v_mul_lo_u32 v5, v3, v5
	v_add_co_u32_e32 v5, vcc, v9, v5
	v_addc_co_u32_e32 v9, vcc, 0, v11, vcc
	v_add_co_u32_e32 v1, vcc, v1, v5
	v_addc_co_u32_e32 v3, vcc, v3, v9, vcc
	v_mul_lo_u32 v5, s0, v3
	v_mul_hi_u32 v9, s0, v1
	v_add_u32_e32 v5, v9, v5
	v_mul_lo_u32 v9, s1, v1
	v_add_u32_e32 v5, v5, v9
	v_mul_lo_u32 v11, s0, v1
	v_mul_hi_u32 v13, v3, v11
	v_mul_lo_u32 v15, v3, v11
	v_mul_lo_u32 v19, v1, v5
	v_mul_hi_u32 v11, v1, v11
	v_mul_hi_u32 v18, v1, v5
	v_add_co_u32_e32 v11, vcc, v11, v19
	v_addc_co_u32_e32 v18, vcc, 0, v18, vcc
	v_add_co_u32_e32 v11, vcc, v11, v15
	v_mul_hi_u32 v9, v3, v5
	v_addc_co_u32_e32 v11, vcc, v18, v13, vcc
	v_addc_co_u32_e32 v9, vcc, 0, v9, vcc
	v_mul_lo_u32 v5, v3, v5
	v_add_co_u32_e32 v5, vcc, v11, v5
	v_addc_co_u32_e32 v9, vcc, 0, v9, vcc
	v_add_co_u32_e32 v1, vcc, v1, v5
	v_addc_co_u32_e32 v3, vcc, v3, v9, vcc
	v_ashrrev_i32_e32 v5, 31, v17
	v_add_co_u32_e32 v9, vcc, v16, v5
	v_xor_b32_e32 v9, v9, v5
	v_addc_co_u32_e32 v11, vcc, v17, v5, vcc
	v_mad_u64_u32 v[18:19], s[0:1], v9, v3, 0
	v_mul_hi_u32 v13, v9, v1
	v_xor_b32_e32 v11, v11, v5
	v_add_co_u32_e32 v13, vcc, v13, v18
	v_addc_co_u32_e32 v15, vcc, 0, v19, vcc
	v_mad_u64_u32 v[20:21], s[0:1], v11, v1, 0
	v_add_co_u32_e32 v1, vcc, v13, v20
	v_mad_u64_u32 v[18:19], s[0:1], v11, v3, 0
	v_addc_co_u32_e32 v1, vcc, v15, v21, vcc
	v_addc_co_u32_e32 v3, vcc, 0, v19, vcc
	v_add_co_u32_e32 v1, vcc, v1, v18
	v_addc_co_u32_e32 v3, vcc, 0, v3, vcc
	v_mul_lo_u32 v13, s37, v1
	v_mul_lo_u32 v15, s36, v3
	v_mad_u64_u32 v[18:19], s[0:1], s36, v1, 0
	v_add3_u32 v13, v19, v15, v13
	v_sub_u32_e32 v15, v11, v13
	v_mov_b32_e32 v17, s37
	v_sub_co_u32_e32 v9, vcc, v9, v18
	v_subb_co_u32_e64 v15, s[0:1], v15, v17, vcc
	v_subrev_co_u32_e64 v17, s[0:1], s36, v9
	v_subbrev_co_u32_e64 v15, s[0:1], 0, v15, s[0:1]
	v_cmp_le_u32_e64 s[0:1], s37, v15
	v_cndmask_b32_e64 v18, 0, -1, s[0:1]
	v_cmp_le_u32_e64 s[0:1], s36, v17
	v_cndmask_b32_e64 v17, 0, -1, s[0:1]
	v_cmp_eq_u32_e64 s[0:1], s37, v15
	v_cndmask_b32_e64 v15, v18, v17, s[0:1]
	v_add_co_u32_e64 v17, s[0:1], 2, v1
	v_subb_co_u32_e32 v11, vcc, v11, v13, vcc
	v_addc_co_u32_e64 v18, s[0:1], 0, v3, s[0:1]
	v_cmp_le_u32_e32 vcc, s37, v11
	v_add_co_u32_e64 v19, s[0:1], 1, v1
	v_cndmask_b32_e64 v13, 0, -1, vcc
	v_cmp_le_u32_e32 vcc, s36, v9
	v_addc_co_u32_e64 v20, s[0:1], 0, v3, s[0:1]
	v_cndmask_b32_e64 v9, 0, -1, vcc
	v_cmp_eq_u32_e32 vcc, s37, v11
	v_cmp_ne_u32_e64 s[0:1], 0, v15
	v_cndmask_b32_e32 v9, v13, v9, vcc
	v_cmp_ne_u32_e32 vcc, 0, v9
	v_cndmask_b32_e64 v9, v19, v17, s[0:1]
	v_cndmask_b32_e64 v15, v20, v18, s[0:1]
	v_cndmask_b32_e32 v1, v1, v9, vcc
	v_xor_b32_e32 v9, s35, v5
	v_xor_b32_e32 v5, s34, v5
	v_cndmask_b32_e32 v3, v3, v15, vcc
	v_xor_b32_e32 v1, v1, v5
	v_xor_b32_e32 v3, v3, v9
	v_sub_co_u32_e32 v18, vcc, v1, v5
	v_subb_co_u32_e32 v19, vcc, v3, v9, vcc
.LBB81_28:                              ;   in Loop: Header=BB81_18 Depth=2
	s_andn2_saveexec_b64 s[0:1], s[2:3]
	s_cbranch_execz .LBB81_30
; %bb.29:                               ;   in Loop: Header=BB81_18 Depth=2
	v_cvt_f32_u32_e32 v1, s52
	s_sub_i32 s2, 0, s52
	v_mov_b32_e32 v19, v4
	v_rcp_iflag_f32_e32 v1, v1
	v_mul_f32_e32 v1, 0x4f7ffffe, v1
	v_cvt_u32_f32_e32 v1, v1
	v_mul_lo_u32 v3, s2, v1
	v_mul_hi_u32 v3, v1, v3
	v_add_u32_e32 v1, v1, v3
	v_mul_hi_u32 v1, v16, v1
	v_mul_lo_u32 v3, v1, s52
	v_sub_u32_e32 v3, v16, v3
	v_add_u32_e32 v5, 1, v1
	v_subrev_u32_e32 v9, s52, v3
	v_cmp_le_u32_e32 vcc, s52, v3
	v_cndmask_b32_e32 v3, v3, v9, vcc
	v_cndmask_b32_e32 v1, v1, v5, vcc
	v_add_u32_e32 v5, 1, v1
	v_cmp_le_u32_e32 vcc, s52, v3
	v_cndmask_b32_e32 v18, v1, v5, vcc
.LBB81_30:                              ;   in Loop: Header=BB81_18 Depth=2
	s_or_b64 exec, exec, s[0:1]
	s_add_u32 s0, s42, s28
	s_addc_u32 s1, s43, s29
	s_add_i32 s2, s20, -3
	s_mov_b32 s3, s21
	s_lshl_b64 s[2:3], s[2:3], 2
	s_add_u32 s28, s33, s2
	s_addc_u32 s29, s38, s3
	s_load_dword s55, s[28:29], 0x8
	s_load_dword s56, s[30:31], 0x6c
	;; [unrolled: 1-line block ×3, first 2 shown]
                                        ; implicit-def: $vgpr20_vgpr21
	s_waitcnt lgkmcnt(0)
	s_ashr_i32 s0, s55, 31
	v_or_b32_e32 v5, s0, v19
	v_cmp_ne_u64_e32 vcc, 0, v[4:5]
	s_and_saveexec_b64 s[30:31], vcc
	s_xor_b64 s[30:31], exec, s[30:31]
	s_cbranch_execz .LBB81_32
; %bb.31:                               ;   in Loop: Header=BB81_18 Depth=2
	s_add_u32 s36, s55, s0
	s_mov_b32 s34, s0
	s_mov_b32 s35, s0
	s_addc_u32 s37, s0, s0
	s_xor_b64 s[36:37], s[36:37], s[34:35]
	v_cvt_f32_u32_e32 v1, s36
	v_cvt_f32_u32_e32 v3, s37
	s_sub_u32 s0, 0, s36
	s_subb_u32 s1, 0, s37
	v_mac_f32_e32 v1, 0x4f800000, v3
	v_rcp_f32_e32 v1, v1
	v_mul_f32_e32 v1, 0x5f7ffffc, v1
	v_mul_f32_e32 v3, 0x2f800000, v1
	v_trunc_f32_e32 v3, v3
	v_mac_f32_e32 v1, 0xcf800000, v3
	v_cvt_u32_f32_e32 v3, v3
	v_cvt_u32_f32_e32 v1, v1
	v_mul_lo_u32 v5, s0, v3
	v_mul_hi_u32 v11, s0, v1
	v_mul_lo_u32 v9, s1, v1
	v_add_u32_e32 v5, v11, v5
	v_mul_lo_u32 v13, s0, v1
	v_add_u32_e32 v5, v5, v9
	v_mul_lo_u32 v11, v1, v5
	v_mul_hi_u32 v15, v1, v13
	v_mul_hi_u32 v9, v1, v5
	v_add_co_u32_e32 v11, vcc, v15, v11
	v_addc_co_u32_e32 v9, vcc, 0, v9, vcc
	v_mul_hi_u32 v17, v3, v13
	v_mul_lo_u32 v13, v3, v13
	v_add_co_u32_e32 v11, vcc, v11, v13
	v_mul_hi_u32 v15, v3, v5
	v_addc_co_u32_e32 v9, vcc, v9, v17, vcc
	v_addc_co_u32_e32 v11, vcc, 0, v15, vcc
	v_mul_lo_u32 v5, v3, v5
	v_add_co_u32_e32 v5, vcc, v9, v5
	v_addc_co_u32_e32 v9, vcc, 0, v11, vcc
	v_add_co_u32_e32 v1, vcc, v1, v5
	v_addc_co_u32_e32 v3, vcc, v3, v9, vcc
	v_mul_lo_u32 v5, s0, v3
	v_mul_hi_u32 v9, s0, v1
	v_add_u32_e32 v5, v9, v5
	v_mul_lo_u32 v9, s1, v1
	v_add_u32_e32 v5, v5, v9
	v_mul_lo_u32 v11, s0, v1
	v_mul_hi_u32 v13, v3, v11
	v_mul_lo_u32 v15, v3, v11
	v_mul_lo_u32 v20, v1, v5
	v_mul_hi_u32 v11, v1, v11
	v_mul_hi_u32 v17, v1, v5
	v_add_co_u32_e32 v11, vcc, v11, v20
	v_addc_co_u32_e32 v17, vcc, 0, v17, vcc
	v_add_co_u32_e32 v11, vcc, v11, v15
	v_mul_hi_u32 v9, v3, v5
	v_addc_co_u32_e32 v11, vcc, v17, v13, vcc
	v_addc_co_u32_e32 v9, vcc, 0, v9, vcc
	v_mul_lo_u32 v5, v3, v5
	v_add_co_u32_e32 v5, vcc, v11, v5
	v_addc_co_u32_e32 v9, vcc, 0, v9, vcc
	v_add_co_u32_e32 v1, vcc, v1, v5
	v_addc_co_u32_e32 v3, vcc, v3, v9, vcc
	v_ashrrev_i32_e32 v5, 31, v19
	v_add_co_u32_e32 v9, vcc, v18, v5
	v_xor_b32_e32 v9, v9, v5
	v_addc_co_u32_e32 v11, vcc, v19, v5, vcc
	v_mad_u64_u32 v[20:21], s[0:1], v9, v3, 0
	v_mul_hi_u32 v13, v9, v1
	v_xor_b32_e32 v11, v11, v5
	v_add_co_u32_e32 v13, vcc, v13, v20
	v_addc_co_u32_e32 v15, vcc, 0, v21, vcc
	v_mad_u64_u32 v[24:25], s[0:1], v11, v1, 0
	v_add_co_u32_e32 v1, vcc, v13, v24
	v_mad_u64_u32 v[20:21], s[0:1], v11, v3, 0
	v_addc_co_u32_e32 v1, vcc, v15, v25, vcc
	v_addc_co_u32_e32 v3, vcc, 0, v21, vcc
	v_add_co_u32_e32 v1, vcc, v1, v20
	v_addc_co_u32_e32 v3, vcc, 0, v3, vcc
	v_mul_lo_u32 v13, s37, v1
	v_mul_lo_u32 v15, s36, v3
	v_mad_u64_u32 v[20:21], s[0:1], s36, v1, 0
	v_add3_u32 v13, v21, v15, v13
	v_sub_u32_e32 v15, v11, v13
	v_mov_b32_e32 v17, s37
	v_sub_co_u32_e32 v9, vcc, v9, v20
	v_subb_co_u32_e64 v15, s[0:1], v15, v17, vcc
	v_subrev_co_u32_e64 v17, s[0:1], s36, v9
	v_subbrev_co_u32_e64 v15, s[0:1], 0, v15, s[0:1]
	v_cmp_le_u32_e64 s[0:1], s37, v15
	v_cndmask_b32_e64 v19, 0, -1, s[0:1]
	v_cmp_le_u32_e64 s[0:1], s36, v17
	v_cndmask_b32_e64 v17, 0, -1, s[0:1]
	v_cmp_eq_u32_e64 s[0:1], s37, v15
	v_cndmask_b32_e64 v15, v19, v17, s[0:1]
	v_add_co_u32_e64 v17, s[0:1], 2, v1
	v_subb_co_u32_e32 v11, vcc, v11, v13, vcc
	v_addc_co_u32_e64 v19, s[0:1], 0, v3, s[0:1]
	v_cmp_le_u32_e32 vcc, s37, v11
	v_add_co_u32_e64 v20, s[0:1], 1, v1
	v_cndmask_b32_e64 v13, 0, -1, vcc
	v_cmp_le_u32_e32 vcc, s36, v9
	v_addc_co_u32_e64 v21, s[0:1], 0, v3, s[0:1]
	v_cndmask_b32_e64 v9, 0, -1, vcc
	v_cmp_eq_u32_e32 vcc, s37, v11
	v_cmp_ne_u32_e64 s[0:1], 0, v15
	v_cndmask_b32_e32 v9, v13, v9, vcc
	v_cmp_ne_u32_e32 vcc, 0, v9
	v_cndmask_b32_e64 v9, v20, v17, s[0:1]
	v_cndmask_b32_e64 v15, v21, v19, s[0:1]
	v_cndmask_b32_e32 v1, v1, v9, vcc
	v_xor_b32_e32 v9, s35, v5
	v_xor_b32_e32 v5, s34, v5
	v_cndmask_b32_e32 v3, v3, v15, vcc
	v_xor_b32_e32 v1, v1, v5
	v_xor_b32_e32 v3, v3, v9
	v_sub_co_u32_e32 v20, vcc, v1, v5
	v_subb_co_u32_e32 v21, vcc, v3, v9, vcc
.LBB81_32:                              ;   in Loop: Header=BB81_18 Depth=2
	s_andn2_saveexec_b64 s[0:1], s[30:31]
	s_cbranch_execz .LBB81_34
; %bb.33:                               ;   in Loop: Header=BB81_18 Depth=2
	v_cvt_f32_u32_e32 v1, s55
	s_sub_i32 s30, 0, s55
	v_mov_b32_e32 v21, v4
	v_rcp_iflag_f32_e32 v1, v1
	v_mul_f32_e32 v1, 0x4f7ffffe, v1
	v_cvt_u32_f32_e32 v1, v1
	v_mul_lo_u32 v3, s30, v1
	v_mul_hi_u32 v3, v1, v3
	v_add_u32_e32 v1, v1, v3
	v_mul_hi_u32 v1, v18, v1
	v_mul_lo_u32 v3, v1, s55
	v_sub_u32_e32 v3, v18, v3
	v_add_u32_e32 v5, 1, v1
	v_subrev_u32_e32 v9, s55, v3
	v_cmp_le_u32_e32 vcc, s55, v3
	v_cndmask_b32_e32 v3, v3, v9, vcc
	v_cndmask_b32_e32 v1, v1, v5, vcc
	v_add_u32_e32 v5, 1, v1
	v_cmp_le_u32_e32 vcc, s55, v3
	v_cndmask_b32_e32 v20, v1, v5, vcc
.LBB81_34:                              ;   in Loop: Header=BB81_18 Depth=2
	s_or_b64 exec, exec, s[0:1]
	s_add_u32 s0, s42, s2
	v_mul_lo_u32 v1, v14, s48
	v_mul_lo_u32 v5, v16, s49
	s_load_dword s2, s[28:29], 0x6c
	s_addc_u32 s1, s43, s3
	s_load_dword s0, s[0:1], 0x0
	v_sub_u32_e32 v1, v12, v1
	v_sub_u32_e32 v5, v14, v5
	v_mul_lo_u32 v3, s50, v1
	v_mul_lo_u32 v1, s51, v1
	;; [unrolled: 1-line block ×4, first 2 shown]
	v_add3_u32 v3, v3, v10, v9
	v_add3_u32 v1, v1, v8, v5
	v_mul_lo_u32 v5, v18, s52
	v_mul_lo_u32 v9, v20, s55
	v_sub_u32_e32 v5, v16, v5
	v_sub_u32_e32 v9, v18, v9
	v_mul_lo_u32 v8, s56, v5
	s_waitcnt lgkmcnt(0)
	v_mul_lo_u32 v10, s2, v9
	v_mul_lo_u32 v5, s57, v5
	v_add3_u32 v10, v8, v3, v10
	v_mul_lo_u32 v3, s0, v9
	s_add_i32 s20, s20, -4
	s_cmp_eq_u32 s20, -1
	v_add3_u32 v8, v5, v1, v3
	s_cbranch_scc1 .LBB81_41
; %bb.35:                               ;   in Loop: Header=BB81_18 Depth=2
	v_pk_mov_b32 v[12:13], v[20:21], v[20:21] op_sel:[0,1]
	s_branch .LBB81_18
.LBB81_36:                              ;   in Loop: Header=BB81_37 Depth=2
	s_or_b64 exec, exec, s[0:1]
	s_load_dword s28, s[28:29], 0x6c
	s_add_u32 s0, s42, s2
	s_addc_u32 s1, s43, s3
	s_load_dword s2, s[0:1], 0x0
	v_mul_lo_u32 v1, v12, s49
	v_sub_u32_e32 v1, v14, v1
	s_waitcnt lgkmcnt(0)
	v_mad_u64_u32 v[10:11], s[0:1], s28, v1, v[10:11]
	s_add_i32 s20, s20, -1
	s_xor_b32 s0, s47, s48
	s_add_i32 s48, s48, 1
	s_cmp_lg_u32 s0, 2
	v_mad_u64_u32 v[8:9], s[0:1], s2, v1, v[8:9]
	s_cbranch_scc0 .LBB81_17
.LBB81_37:                              ;   Parent Loop BB81_3 Depth=1
                                        ; =>  This Inner Loop Header: Depth=2
	s_lshl_b64 s[2:3], s[20:21], 2
	s_add_u32 s28, s33, s2
	s_addc_u32 s29, s38, s3
	s_load_dword s49, s[28:29], 0x8
	v_pk_mov_b32 v[14:15], v[12:13], v[12:13] op_sel:[0,1]
                                        ; implicit-def: $vgpr12_vgpr13
	s_waitcnt lgkmcnt(0)
	s_ashr_i32 s0, s49, 31
	v_or_b32_e32 v5, s0, v15
	v_cmp_ne_u64_e32 vcc, 0, v[4:5]
	s_and_saveexec_b64 s[30:31], vcc
	s_xor_b64 s[30:31], exec, s[30:31]
	s_cbranch_execz .LBB81_39
; %bb.38:                               ;   in Loop: Header=BB81_37 Depth=2
	s_add_u32 s36, s49, s0
	s_mov_b32 s34, s0
	s_mov_b32 s35, s0
	s_addc_u32 s37, s0, s0
	s_xor_b64 s[36:37], s[36:37], s[34:35]
	v_cvt_f32_u32_e32 v1, s36
	v_cvt_f32_u32_e32 v3, s37
	s_sub_u32 s0, 0, s36
	s_subb_u32 s1, 0, s37
	v_mac_f32_e32 v1, 0x4f800000, v3
	v_rcp_f32_e32 v1, v1
	v_mul_f32_e32 v1, 0x5f7ffffc, v1
	v_mul_f32_e32 v3, 0x2f800000, v1
	v_trunc_f32_e32 v3, v3
	v_mac_f32_e32 v1, 0xcf800000, v3
	v_cvt_u32_f32_e32 v3, v3
	v_cvt_u32_f32_e32 v1, v1
	v_mul_lo_u32 v5, s0, v3
	v_mul_hi_u32 v11, s0, v1
	v_mul_lo_u32 v9, s1, v1
	v_add_u32_e32 v5, v11, v5
	v_mul_lo_u32 v12, s0, v1
	v_add_u32_e32 v5, v5, v9
	v_mul_lo_u32 v11, v1, v5
	v_mul_hi_u32 v13, v1, v12
	v_mul_hi_u32 v9, v1, v5
	v_add_co_u32_e32 v11, vcc, v13, v11
	v_addc_co_u32_e32 v9, vcc, 0, v9, vcc
	v_mul_hi_u32 v16, v3, v12
	v_mul_lo_u32 v12, v3, v12
	v_add_co_u32_e32 v11, vcc, v11, v12
	v_mul_hi_u32 v13, v3, v5
	v_addc_co_u32_e32 v9, vcc, v9, v16, vcc
	v_addc_co_u32_e32 v11, vcc, 0, v13, vcc
	v_mul_lo_u32 v5, v3, v5
	v_add_co_u32_e32 v5, vcc, v9, v5
	v_addc_co_u32_e32 v9, vcc, 0, v11, vcc
	v_add_co_u32_e32 v1, vcc, v1, v5
	v_addc_co_u32_e32 v3, vcc, v3, v9, vcc
	v_mul_lo_u32 v5, s0, v3
	v_mul_hi_u32 v9, s0, v1
	v_add_u32_e32 v5, v9, v5
	v_mul_lo_u32 v9, s1, v1
	v_add_u32_e32 v5, v5, v9
	v_mul_lo_u32 v11, s0, v1
	v_mul_hi_u32 v12, v3, v11
	v_mul_lo_u32 v13, v3, v11
	v_mul_lo_u32 v17, v1, v5
	v_mul_hi_u32 v11, v1, v11
	v_mul_hi_u32 v16, v1, v5
	v_add_co_u32_e32 v11, vcc, v11, v17
	v_addc_co_u32_e32 v16, vcc, 0, v16, vcc
	v_add_co_u32_e32 v11, vcc, v11, v13
	v_mul_hi_u32 v9, v3, v5
	v_addc_co_u32_e32 v11, vcc, v16, v12, vcc
	v_addc_co_u32_e32 v9, vcc, 0, v9, vcc
	v_mul_lo_u32 v5, v3, v5
	v_add_co_u32_e32 v5, vcc, v11, v5
	v_addc_co_u32_e32 v9, vcc, 0, v9, vcc
	v_add_co_u32_e32 v1, vcc, v1, v5
	v_addc_co_u32_e32 v3, vcc, v3, v9, vcc
	v_ashrrev_i32_e32 v5, 31, v15
	v_add_co_u32_e32 v9, vcc, v14, v5
	v_xor_b32_e32 v9, v9, v5
	v_addc_co_u32_e32 v11, vcc, v15, v5, vcc
	v_mad_u64_u32 v[12:13], s[0:1], v9, v3, 0
	v_mul_hi_u32 v15, v9, v1
	v_xor_b32_e32 v11, v11, v5
	v_add_co_u32_e32 v15, vcc, v15, v12
	v_addc_co_u32_e32 v18, vcc, 0, v13, vcc
	v_mad_u64_u32 v[16:17], s[0:1], v11, v1, 0
	v_add_co_u32_e32 v1, vcc, v15, v16
	v_mad_u64_u32 v[12:13], s[0:1], v11, v3, 0
	v_addc_co_u32_e32 v1, vcc, v18, v17, vcc
	v_addc_co_u32_e32 v3, vcc, 0, v13, vcc
	v_add_co_u32_e32 v1, vcc, v1, v12
	v_addc_co_u32_e32 v3, vcc, 0, v3, vcc
	v_mul_lo_u32 v15, s37, v1
	v_mul_lo_u32 v16, s36, v3
	v_mad_u64_u32 v[12:13], s[0:1], s36, v1, 0
	v_add3_u32 v13, v13, v16, v15
	v_sub_u32_e32 v15, v11, v13
	v_mov_b32_e32 v16, s37
	v_sub_co_u32_e32 v9, vcc, v9, v12
	v_subb_co_u32_e64 v12, s[0:1], v15, v16, vcc
	v_subrev_co_u32_e64 v15, s[0:1], s36, v9
	v_subbrev_co_u32_e64 v12, s[0:1], 0, v12, s[0:1]
	v_cmp_le_u32_e64 s[0:1], s37, v12
	v_cndmask_b32_e64 v16, 0, -1, s[0:1]
	v_cmp_le_u32_e64 s[0:1], s36, v15
	v_cndmask_b32_e64 v15, 0, -1, s[0:1]
	v_cmp_eq_u32_e64 s[0:1], s37, v12
	v_cndmask_b32_e64 v12, v16, v15, s[0:1]
	v_add_co_u32_e64 v15, s[0:1], 2, v1
	v_subb_co_u32_e32 v11, vcc, v11, v13, vcc
	v_addc_co_u32_e64 v16, s[0:1], 0, v3, s[0:1]
	v_cmp_le_u32_e32 vcc, s37, v11
	v_add_co_u32_e64 v17, s[0:1], 1, v1
	v_cndmask_b32_e64 v13, 0, -1, vcc
	v_cmp_le_u32_e32 vcc, s36, v9
	v_addc_co_u32_e64 v18, s[0:1], 0, v3, s[0:1]
	v_cndmask_b32_e64 v9, 0, -1, vcc
	v_cmp_eq_u32_e32 vcc, s37, v11
	v_cmp_ne_u32_e64 s[0:1], 0, v12
	v_cndmask_b32_e32 v9, v13, v9, vcc
	v_cmp_ne_u32_e32 vcc, 0, v9
	v_cndmask_b32_e64 v9, v17, v15, s[0:1]
	v_cndmask_b32_e64 v12, v18, v16, s[0:1]
	v_cndmask_b32_e32 v1, v1, v9, vcc
	v_xor_b32_e32 v9, s35, v5
	v_xor_b32_e32 v5, s34, v5
	v_cndmask_b32_e32 v3, v3, v12, vcc
	v_xor_b32_e32 v1, v1, v5
	v_xor_b32_e32 v3, v3, v9
	v_sub_co_u32_e32 v12, vcc, v1, v5
	v_subb_co_u32_e32 v13, vcc, v3, v9, vcc
.LBB81_39:                              ;   in Loop: Header=BB81_37 Depth=2
	s_andn2_saveexec_b64 s[0:1], s[30:31]
	s_cbranch_execz .LBB81_36
; %bb.40:                               ;   in Loop: Header=BB81_37 Depth=2
	v_cvt_f32_u32_e32 v1, s49
	s_sub_i32 s30, 0, s49
	v_mov_b32_e32 v13, v4
	v_rcp_iflag_f32_e32 v1, v1
	v_mul_f32_e32 v1, 0x4f7ffffe, v1
	v_cvt_u32_f32_e32 v1, v1
	v_mul_lo_u32 v3, s30, v1
	v_mul_hi_u32 v3, v1, v3
	v_add_u32_e32 v1, v1, v3
	v_mul_hi_u32 v1, v14, v1
	v_mul_lo_u32 v3, v1, s49
	v_sub_u32_e32 v3, v14, v3
	v_add_u32_e32 v5, 1, v1
	v_subrev_u32_e32 v9, s49, v3
	v_cmp_le_u32_e32 vcc, s49, v3
	v_cndmask_b32_e32 v3, v3, v9, vcc
	v_cndmask_b32_e32 v1, v1, v5, vcc
	v_add_u32_e32 v5, 1, v1
	v_cmp_le_u32_e32 vcc, s49, v3
	v_cndmask_b32_e32 v12, v1, v5, vcc
	s_branch .LBB81_36
.LBB81_41:                              ;   in Loop: Header=BB81_3 Depth=1
	v_sub_u32_e32 v12, v0, v2
	v_mov_b32_e32 v5, v0
	v_add_u32_e32 v0, 1, v12
	v_ashrrev_i32_e32 v1, 31, v0
	v_cmp_le_i64_e32 vcc, s[8:9], v[0:1]
                                        ; implicit-def: $vgpr2_vgpr3
	s_and_saveexec_b64 s[0:1], vcc
	s_xor_b64 s[0:1], exec, s[0:1]
	s_cbranch_execnz .LBB81_44
; %bb.42:                               ;   in Loop: Header=BB81_3 Depth=1
	s_andn2_saveexec_b64 s[0:1], s[0:1]
	s_cbranch_execnz .LBB81_47
.LBB81_43:                              ;   in Loop: Header=BB81_3 Depth=1
	s_or_b64 exec, exec, s[0:1]
	v_cmp_gt_i32_e32 vcc, s13, v5
	s_and_saveexec_b64 s[0:1], vcc
	s_cbranch_execz .LBB81_2
	s_branch .LBB81_48
.LBB81_44:                              ;   in Loop: Header=BB81_3 Depth=1
	v_pk_mov_b32 v[0:1], 0, 0
	v_cmp_gt_i32_e32 vcc, s13, v5
	v_pk_mov_b32 v[2:3], v[0:1], v[0:1] op_sel:[0,1]
	s_and_saveexec_b64 s[2:3], vcc
	s_cbranch_execz .LBB81_46
; %bb.45:                               ;   in Loop: Header=BB81_3 Depth=1
	v_ashrrev_i32_e32 v11, 31, v10
	v_lshlrev_b64 v[0:1], 4, v[10:11]
	v_mov_b32_e32 v2, s7
	v_add_co_u32_e32 v0, vcc, s6, v0
	v_addc_co_u32_e32 v1, vcc, v2, v1, vcc
	global_load_dwordx4 v[0:3], v[0:1], off
.LBB81_46:                              ;   in Loop: Header=BB81_3 Depth=1
	s_or_b64 exec, exec, s[2:3]
	v_ashrrev_i32_e32 v13, 31, v12
	v_cmp_gt_i64_e32 vcc, s[8:9], v[12:13]
	s_waitcnt vmcnt(0)
	v_cndmask_b32_e64 v1, v1, 0, vcc
	v_cndmask_b32_e64 v0, v0, 0, vcc
	;; [unrolled: 1-line block ×4, first 2 shown]
	s_andn2_saveexec_b64 s[0:1], s[0:1]
	s_cbranch_execz .LBB81_43
.LBB81_47:                              ;   in Loop: Header=BB81_3 Depth=1
	v_pk_mov_b32 v[0:1], 0, 0
	v_pk_mov_b32 v[2:3], v[0:1], v[0:1] op_sel:[0,1]
	s_or_b64 exec, exec, s[0:1]
	v_cmp_gt_i32_e32 vcc, s13, v5
	s_and_saveexec_b64 s[0:1], vcc
	s_cbranch_execz .LBB81_2
.LBB81_48:                              ;   in Loop: Header=BB81_3 Depth=1
	v_ashrrev_i32_e32 v9, 31, v8
	v_lshlrev_b64 v[8:9], 4, v[8:9]
	v_mov_b32_e32 v5, s5
	v_add_co_u32_e32 v8, vcc, s4, v8
	v_addc_co_u32_e32 v9, vcc, v5, v9, vcc
	global_store_dwordx4 v[8:9], v[0:3], off
	s_branch .LBB81_2
.LBB81_49:
	s_endpgm
	.section	.rodata,"a",@progbits
	.p2align	6, 0x0
	.amdhsa_kernel _ZN2at6native16triu_tril_kernelIN3c107complexIdEEiLb1ELi1ELb0EEEvNS_4cuda6detail10TensorInfoIT_T0_EENS7_IKS8_S9_EEllS9_
		.amdhsa_group_segment_fixed_size 0
		.amdhsa_private_segment_fixed_size 0
		.amdhsa_kernarg_size 712
		.amdhsa_user_sgpr_count 6
		.amdhsa_user_sgpr_private_segment_buffer 1
		.amdhsa_user_sgpr_dispatch_ptr 0
		.amdhsa_user_sgpr_queue_ptr 0
		.amdhsa_user_sgpr_kernarg_segment_ptr 1
		.amdhsa_user_sgpr_dispatch_id 0
		.amdhsa_user_sgpr_flat_scratch_init 0
		.amdhsa_user_sgpr_kernarg_preload_length 0
		.amdhsa_user_sgpr_kernarg_preload_offset 0
		.amdhsa_user_sgpr_private_segment_size 0
		.amdhsa_uses_dynamic_stack 0
		.amdhsa_system_sgpr_private_segment_wavefront_offset 0
		.amdhsa_system_sgpr_workgroup_id_x 1
		.amdhsa_system_sgpr_workgroup_id_y 0
		.amdhsa_system_sgpr_workgroup_id_z 0
		.amdhsa_system_sgpr_workgroup_info 0
		.amdhsa_system_vgpr_workitem_id 0
		.amdhsa_next_free_vgpr 26
		.amdhsa_next_free_sgpr 58
		.amdhsa_accum_offset 28
		.amdhsa_reserve_vcc 1
		.amdhsa_reserve_flat_scratch 0
		.amdhsa_float_round_mode_32 0
		.amdhsa_float_round_mode_16_64 0
		.amdhsa_float_denorm_mode_32 3
		.amdhsa_float_denorm_mode_16_64 3
		.amdhsa_dx10_clamp 1
		.amdhsa_ieee_mode 1
		.amdhsa_fp16_overflow 0
		.amdhsa_tg_split 0
		.amdhsa_exception_fp_ieee_invalid_op 0
		.amdhsa_exception_fp_denorm_src 0
		.amdhsa_exception_fp_ieee_div_zero 0
		.amdhsa_exception_fp_ieee_overflow 0
		.amdhsa_exception_fp_ieee_underflow 0
		.amdhsa_exception_fp_ieee_inexact 0
		.amdhsa_exception_int_div_zero 0
	.end_amdhsa_kernel
	.section	.text._ZN2at6native16triu_tril_kernelIN3c107complexIdEEiLb1ELi1ELb0EEEvNS_4cuda6detail10TensorInfoIT_T0_EENS7_IKS8_S9_EEllS9_,"axG",@progbits,_ZN2at6native16triu_tril_kernelIN3c107complexIdEEiLb1ELi1ELb0EEEvNS_4cuda6detail10TensorInfoIT_T0_EENS7_IKS8_S9_EEllS9_,comdat
.Lfunc_end81:
	.size	_ZN2at6native16triu_tril_kernelIN3c107complexIdEEiLb1ELi1ELb0EEEvNS_4cuda6detail10TensorInfoIT_T0_EENS7_IKS8_S9_EEllS9_, .Lfunc_end81-_ZN2at6native16triu_tril_kernelIN3c107complexIdEEiLb1ELi1ELb0EEEvNS_4cuda6detail10TensorInfoIT_T0_EENS7_IKS8_S9_EEllS9_
                                        ; -- End function
	.section	.AMDGPU.csdata,"",@progbits
; Kernel info:
; codeLenInByte = 7540
; NumSgprs: 62
; NumVgprs: 26
; NumAgprs: 0
; TotalNumVgprs: 26
; ScratchSize: 0
; MemoryBound: 1
; FloatMode: 240
; IeeeMode: 1
; LDSByteSize: 0 bytes/workgroup (compile time only)
; SGPRBlocks: 7
; VGPRBlocks: 3
; NumSGPRsForWavesPerEU: 62
; NumVGPRsForWavesPerEU: 26
; AccumOffset: 28
; Occupancy: 8
; WaveLimiterHint : 0
; COMPUTE_PGM_RSRC2:SCRATCH_EN: 0
; COMPUTE_PGM_RSRC2:USER_SGPR: 6
; COMPUTE_PGM_RSRC2:TRAP_HANDLER: 0
; COMPUTE_PGM_RSRC2:TGID_X_EN: 1
; COMPUTE_PGM_RSRC2:TGID_Y_EN: 0
; COMPUTE_PGM_RSRC2:TGID_Z_EN: 0
; COMPUTE_PGM_RSRC2:TIDIG_COMP_CNT: 0
; COMPUTE_PGM_RSRC3_GFX90A:ACCUM_OFFSET: 6
; COMPUTE_PGM_RSRC3_GFX90A:TG_SPLIT: 0
	.section	.text._ZN2at6native16triu_tril_kernelIN3c107complexIdEElLb1ELi1ELb1EEEvNS_4cuda6detail10TensorInfoIT_T0_EENS7_IKS8_S9_EEllS9_,"axG",@progbits,_ZN2at6native16triu_tril_kernelIN3c107complexIdEElLb1ELi1ELb1EEEvNS_4cuda6detail10TensorInfoIT_T0_EENS7_IKS8_S9_EEllS9_,comdat
	.protected	_ZN2at6native16triu_tril_kernelIN3c107complexIdEElLb1ELi1ELb1EEEvNS_4cuda6detail10TensorInfoIT_T0_EENS7_IKS8_S9_EEllS9_ ; -- Begin function _ZN2at6native16triu_tril_kernelIN3c107complexIdEElLb1ELi1ELb1EEEvNS_4cuda6detail10TensorInfoIT_T0_EENS7_IKS8_S9_EEllS9_
	.globl	_ZN2at6native16triu_tril_kernelIN3c107complexIdEElLb1ELi1ELb1EEEvNS_4cuda6detail10TensorInfoIT_T0_EENS7_IKS8_S9_EEllS9_
	.p2align	8
	.type	_ZN2at6native16triu_tril_kernelIN3c107complexIdEElLb1ELi1ELb1EEEvNS_4cuda6detail10TensorInfoIT_T0_EENS7_IKS8_S9_EEllS9_,@function
_ZN2at6native16triu_tril_kernelIN3c107complexIdEElLb1ELi1ELb1EEEvNS_4cuda6detail10TensorInfoIT_T0_EENS7_IKS8_S9_EEllS9_: ; @_ZN2at6native16triu_tril_kernelIN3c107complexIdEElLb1ELi1ELb1EEEvNS_4cuda6detail10TensorInfoIT_T0_EENS7_IKS8_S9_EEllS9_
; %bb.0:
	s_load_dword s2, s[4:5], 0x364
	s_load_dwordx4 s[8:11], s[4:5], 0x340
	s_add_u32 s0, s4, 0x358
	v_mov_b32_e32 v2, 0
	s_addc_u32 s1, s5, 0
	s_waitcnt lgkmcnt(0)
	s_and_b32 s20, s2, 0xffff
	v_mov_b32_e32 v1, v2
	v_mov_b32_e32 v3, s6
	v_mad_u64_u32 v[0:1], s[2:3], s20, v3, v[0:1]
	v_cmp_gt_i64_e32 vcc, s[10:11], v[0:1]
	s_and_saveexec_b64 s[2:3], vcc
	s_cbranch_execz .LBB82_20
; %bb.1:
	s_load_dword s18, s[4:5], 0x338
	s_load_dwordx2 s[2:3], s[4:5], 0x350
	s_load_dword s21, s[0:1], 0x0
	s_load_dwordx2 s[6:7], s[4:5], 0x0
	s_mov_b32 s46, 0
	s_waitcnt lgkmcnt(0)
	s_ashr_i32 s19, s18, 31
	s_add_u32 s24, s4, 0x1a8
	s_addc_u32 s25, s5, 0
	s_lshl_b64 s[0:1], s[18:19], 3
	s_add_u32 s16, s0, -16
	s_addc_u32 s17, s1, -1
	s_add_u32 s14, s24, s16
	s_addc_u32 s15, s25, s17
	v_cmp_gt_i64_e64 s[12:13], s[18:19], 2
	s_add_u32 s19, s0, -8
	s_addc_u32 s22, s1, -1
	s_add_u32 s26, s4, 0xd0
	s_addc_u32 s27, s5, 0
	s_add_u32 s4, s26, s19
	v_cvt_f32_u32_e32 v3, s2
	s_addc_u32 s5, s27, s22
	s_add_u32 s16, s26, s16
	s_addc_u32 s17, s27, s17
	s_add_i32 s0, s18, -3
	s_ashr_i32 s1, s0, 31
	v_rcp_iflag_f32_e32 v3, v3
	s_add_u32 s18, s24, s19
	s_addc_u32 s19, s25, s22
	s_lshl_b64 s[22:23], s[0:1], 3
	s_mul_i32 s33, s21, s20
	s_add_u32 s20, s26, s22
	s_load_dwordx2 s[14:15], s[14:15], 0x0
	s_addc_u32 s21, s27, s23
	v_mul_f32_e32 v3, 0x4f7ffffe, v3
	s_add_u32 s22, s24, s22
	v_cvt_u32_f32_e32 v12, v3
	s_addc_u32 s23, s25, s23
	s_add_u32 s24, s0, 1
	s_addc_u32 s25, s1, 0
	s_mov_b64 s[26:27], 0
	s_branch .LBB82_3
.LBB82_2:                               ;   in Loop: Header=BB82_3 Depth=1
	s_or_b64 exec, exec, s[28:29]
	v_mov_b32_e32 v3, s46
	v_add_co_u32_e32 v0, vcc, s33, v0
	v_addc_co_u32_e32 v1, vcc, v1, v3, vcc
	v_cmp_le_i64_e32 vcc, s[10:11], v[0:1]
	s_or_b64 s[26:27], vcc, s[26:27]
	s_andn2_b64 exec, exec, s[26:27]
	s_cbranch_execz .LBB82_20
.LBB82_3:                               ; =>This Loop Header: Depth=1
                                        ;     Child Loop BB82_16 Depth 2
	v_or_b32_e32 v3, s3, v1
	v_cmp_ne_u64_e32 vcc, 0, v[2:3]
                                        ; implicit-def: $vgpr8_vgpr9
	s_and_saveexec_b64 s[0:1], vcc
	s_xor_b64 s[28:29], exec, s[0:1]
	s_cbranch_execz .LBB82_5
; %bb.4:                                ;   in Loop: Header=BB82_3 Depth=1
	s_ashr_i32 s30, s3, 31
	s_add_u32 s0, s2, s30
	s_mov_b32 s31, s30
	s_addc_u32 s1, s3, s30
	s_xor_b64 s[34:35], s[0:1], s[30:31]
	v_cvt_f32_u32_e32 v3, s34
	v_cvt_f32_u32_e32 v4, s35
	s_sub_u32 s0, 0, s34
	s_subb_u32 s1, 0, s35
	v_mac_f32_e32 v3, 0x4f800000, v4
	v_rcp_f32_e32 v3, v3
	v_mul_f32_e32 v3, 0x5f7ffffc, v3
	v_mul_f32_e32 v4, 0x2f800000, v3
	v_trunc_f32_e32 v4, v4
	v_mac_f32_e32 v3, 0xcf800000, v4
	v_cvt_u32_f32_e32 v4, v4
	v_cvt_u32_f32_e32 v3, v3
	v_mul_lo_u32 v5, s0, v4
	v_mul_hi_u32 v7, s0, v3
	v_mul_lo_u32 v6, s1, v3
	v_add_u32_e32 v5, v7, v5
	v_mul_lo_u32 v8, s0, v3
	v_add_u32_e32 v5, v5, v6
	v_mul_lo_u32 v7, v3, v5
	v_mul_hi_u32 v9, v3, v8
	v_mul_hi_u32 v6, v3, v5
	v_add_co_u32_e32 v7, vcc, v9, v7
	v_addc_co_u32_e32 v6, vcc, 0, v6, vcc
	v_mul_hi_u32 v10, v4, v8
	v_mul_lo_u32 v8, v4, v8
	v_add_co_u32_e32 v7, vcc, v7, v8
	v_mul_hi_u32 v9, v4, v5
	v_addc_co_u32_e32 v6, vcc, v6, v10, vcc
	v_addc_co_u32_e32 v7, vcc, 0, v9, vcc
	v_mul_lo_u32 v5, v4, v5
	v_add_co_u32_e32 v5, vcc, v6, v5
	v_addc_co_u32_e32 v6, vcc, 0, v7, vcc
	v_add_co_u32_e32 v3, vcc, v3, v5
	v_addc_co_u32_e32 v4, vcc, v4, v6, vcc
	v_mul_lo_u32 v5, s0, v4
	v_mul_hi_u32 v6, s0, v3
	v_add_u32_e32 v5, v6, v5
	v_mul_lo_u32 v6, s1, v3
	v_add_u32_e32 v5, v5, v6
	v_mul_lo_u32 v7, s0, v3
	v_mul_hi_u32 v8, v4, v7
	v_mul_lo_u32 v9, v4, v7
	v_mul_lo_u32 v11, v3, v5
	v_mul_hi_u32 v7, v3, v7
	v_mul_hi_u32 v10, v3, v5
	v_add_co_u32_e32 v7, vcc, v7, v11
	v_addc_co_u32_e32 v10, vcc, 0, v10, vcc
	v_add_co_u32_e32 v7, vcc, v7, v9
	v_mul_hi_u32 v6, v4, v5
	v_addc_co_u32_e32 v7, vcc, v10, v8, vcc
	v_addc_co_u32_e32 v6, vcc, 0, v6, vcc
	v_mul_lo_u32 v5, v4, v5
	v_add_co_u32_e32 v5, vcc, v7, v5
	v_addc_co_u32_e32 v6, vcc, 0, v6, vcc
	v_add_co_u32_e32 v3, vcc, v3, v5
	v_addc_co_u32_e32 v6, vcc, v4, v6, vcc
	v_ashrrev_i32_e32 v8, 31, v1
	v_add_co_u32_e32 v4, vcc, v0, v8
	v_addc_co_u32_e32 v5, vcc, v1, v8, vcc
	v_xor_b32_e32 v10, v4, v8
	v_xor_b32_e32 v9, v5, v8
	v_mad_u64_u32 v[4:5], s[0:1], v10, v6, 0
	v_mul_hi_u32 v7, v10, v3
	v_add_co_u32_e32 v11, vcc, v7, v4
	v_addc_co_u32_e32 v13, vcc, 0, v5, vcc
	v_mad_u64_u32 v[4:5], s[0:1], v9, v6, 0
	v_mad_u64_u32 v[6:7], s[0:1], v9, v3, 0
	v_add_co_u32_e32 v3, vcc, v11, v6
	v_addc_co_u32_e32 v3, vcc, v13, v7, vcc
	v_addc_co_u32_e32 v5, vcc, 0, v5, vcc
	v_add_co_u32_e32 v3, vcc, v3, v4
	v_addc_co_u32_e32 v6, vcc, 0, v5, vcc
	v_mul_lo_u32 v7, s35, v3
	v_mul_lo_u32 v11, s34, v6
	v_mad_u64_u32 v[4:5], s[0:1], s34, v3, 0
	v_add3_u32 v5, v5, v11, v7
	v_sub_u32_e32 v7, v9, v5
	v_mov_b32_e32 v11, s35
	v_sub_co_u32_e32 v4, vcc, v10, v4
	v_subb_co_u32_e64 v7, s[0:1], v7, v11, vcc
	v_subrev_co_u32_e64 v10, s[0:1], s34, v4
	v_subbrev_co_u32_e64 v7, s[0:1], 0, v7, s[0:1]
	v_cmp_le_u32_e64 s[0:1], s35, v7
	v_cndmask_b32_e64 v11, 0, -1, s[0:1]
	v_cmp_le_u32_e64 s[0:1], s34, v10
	v_cndmask_b32_e64 v10, 0, -1, s[0:1]
	v_cmp_eq_u32_e64 s[0:1], s35, v7
	v_cndmask_b32_e64 v7, v11, v10, s[0:1]
	v_add_co_u32_e64 v10, s[0:1], 2, v3
	v_subb_co_u32_e32 v5, vcc, v9, v5, vcc
	v_addc_co_u32_e64 v11, s[0:1], 0, v6, s[0:1]
	v_cmp_le_u32_e32 vcc, s35, v5
	v_add_co_u32_e64 v13, s[0:1], 1, v3
	v_cndmask_b32_e64 v9, 0, -1, vcc
	v_cmp_le_u32_e32 vcc, s34, v4
	v_addc_co_u32_e64 v14, s[0:1], 0, v6, s[0:1]
	v_cndmask_b32_e64 v4, 0, -1, vcc
	v_cmp_eq_u32_e32 vcc, s35, v5
	v_cmp_ne_u32_e64 s[0:1], 0, v7
	v_cndmask_b32_e32 v4, v9, v4, vcc
	v_cmp_ne_u32_e32 vcc, 0, v4
	v_cndmask_b32_e64 v5, v13, v10, s[0:1]
	v_cndmask_b32_e64 v7, v14, v11, s[0:1]
	v_cndmask_b32_e32 v3, v3, v5, vcc
	v_xor_b32_e32 v5, s30, v8
	v_cndmask_b32_e32 v4, v6, v7, vcc
	v_xor_b32_e32 v3, v3, v5
	v_xor_b32_e32 v4, v4, v5
	v_sub_co_u32_e32 v8, vcc, v3, v5
	v_subb_co_u32_e32 v9, vcc, v4, v5, vcc
.LBB82_5:                               ;   in Loop: Header=BB82_3 Depth=1
	s_andn2_saveexec_b64 s[0:1], s[28:29]
	s_cbranch_execz .LBB82_7
; %bb.6:                                ;   in Loop: Header=BB82_3 Depth=1
	s_sub_i32 s28, 0, s2
	v_mul_lo_u32 v3, s28, v12
	v_mul_hi_u32 v3, v12, v3
	v_add_u32_e32 v3, v12, v3
	v_mul_hi_u32 v3, v0, v3
	v_mul_lo_u32 v4, v3, s2
	v_sub_u32_e32 v4, v0, v4
	v_subrev_u32_e32 v5, s2, v4
	v_cmp_le_u32_e32 vcc, s2, v4
	v_cndmask_b32_e32 v4, v4, v5, vcc
	v_add_u32_e32 v5, 1, v3
	v_cndmask_b32_e32 v3, v3, v5, vcc
	v_add_u32_e32 v5, 1, v3
	v_cmp_le_u32_e32 vcc, s2, v4
	v_cndmask_b32_e32 v8, v3, v5, vcc
	v_mov_b32_e32 v9, v2
.LBB82_7:                               ;   in Loop: Header=BB82_3 Depth=1
	s_or_b64 exec, exec, s[0:1]
	s_waitcnt lgkmcnt(0)
	v_or_b32_e32 v3, s15, v9
	v_cmp_ne_u64_e32 vcc, 0, v[2:3]
                                        ; implicit-def: $vgpr4_vgpr5
	s_and_saveexec_b64 s[0:1], vcc
	s_xor_b64 s[28:29], exec, s[0:1]
	s_cbranch_execz .LBB82_9
; %bb.8:                                ;   in Loop: Header=BB82_3 Depth=1
	s_ashr_i32 s30, s15, 31
	s_add_u32 s0, s14, s30
	s_mov_b32 s31, s30
	s_addc_u32 s1, s15, s30
	s_xor_b64 s[34:35], s[0:1], s[30:31]
	v_cvt_f32_u32_e32 v3, s34
	v_cvt_f32_u32_e32 v4, s35
	s_sub_u32 s0, 0, s34
	s_subb_u32 s1, 0, s35
	v_mac_f32_e32 v3, 0x4f800000, v4
	v_rcp_f32_e32 v3, v3
	v_mul_f32_e32 v3, 0x5f7ffffc, v3
	v_mul_f32_e32 v4, 0x2f800000, v3
	v_trunc_f32_e32 v4, v4
	v_mac_f32_e32 v3, 0xcf800000, v4
	v_cvt_u32_f32_e32 v4, v4
	v_cvt_u32_f32_e32 v3, v3
	v_mul_lo_u32 v5, s0, v4
	v_mul_hi_u32 v7, s0, v3
	v_mul_lo_u32 v6, s1, v3
	v_add_u32_e32 v5, v7, v5
	v_mul_lo_u32 v10, s0, v3
	v_add_u32_e32 v5, v5, v6
	v_mul_lo_u32 v7, v3, v5
	v_mul_hi_u32 v11, v3, v10
	v_mul_hi_u32 v6, v3, v5
	v_add_co_u32_e32 v7, vcc, v11, v7
	v_addc_co_u32_e32 v6, vcc, 0, v6, vcc
	v_mul_hi_u32 v13, v4, v10
	v_mul_lo_u32 v10, v4, v10
	v_add_co_u32_e32 v7, vcc, v7, v10
	v_mul_hi_u32 v11, v4, v5
	v_addc_co_u32_e32 v6, vcc, v6, v13, vcc
	v_addc_co_u32_e32 v7, vcc, 0, v11, vcc
	v_mul_lo_u32 v5, v4, v5
	v_add_co_u32_e32 v5, vcc, v6, v5
	v_addc_co_u32_e32 v6, vcc, 0, v7, vcc
	v_add_co_u32_e32 v3, vcc, v3, v5
	v_addc_co_u32_e32 v4, vcc, v4, v6, vcc
	v_mul_lo_u32 v5, s0, v4
	v_mul_hi_u32 v6, s0, v3
	v_add_u32_e32 v5, v6, v5
	v_mul_lo_u32 v6, s1, v3
	v_add_u32_e32 v5, v5, v6
	v_mul_lo_u32 v7, s0, v3
	v_mul_hi_u32 v10, v4, v7
	v_mul_lo_u32 v11, v4, v7
	v_mul_lo_u32 v14, v3, v5
	v_mul_hi_u32 v7, v3, v7
	v_mul_hi_u32 v13, v3, v5
	v_add_co_u32_e32 v7, vcc, v7, v14
	v_addc_co_u32_e32 v13, vcc, 0, v13, vcc
	v_add_co_u32_e32 v7, vcc, v7, v11
	v_mul_hi_u32 v6, v4, v5
	v_addc_co_u32_e32 v7, vcc, v13, v10, vcc
	v_addc_co_u32_e32 v6, vcc, 0, v6, vcc
	v_mul_lo_u32 v5, v4, v5
	v_add_co_u32_e32 v5, vcc, v7, v5
	v_addc_co_u32_e32 v6, vcc, 0, v6, vcc
	v_add_co_u32_e32 v3, vcc, v3, v5
	v_addc_co_u32_e32 v6, vcc, v4, v6, vcc
	v_ashrrev_i32_e32 v10, 31, v9
	v_add_co_u32_e32 v4, vcc, v8, v10
	v_addc_co_u32_e32 v5, vcc, v9, v10, vcc
	v_xor_b32_e32 v13, v4, v10
	v_xor_b32_e32 v11, v5, v10
	v_mad_u64_u32 v[4:5], s[0:1], v13, v6, 0
	v_mul_hi_u32 v7, v13, v3
	v_add_co_u32_e32 v14, vcc, v7, v4
	v_addc_co_u32_e32 v15, vcc, 0, v5, vcc
	v_mad_u64_u32 v[4:5], s[0:1], v11, v6, 0
	v_mad_u64_u32 v[6:7], s[0:1], v11, v3, 0
	v_add_co_u32_e32 v3, vcc, v14, v6
	v_addc_co_u32_e32 v3, vcc, v15, v7, vcc
	v_addc_co_u32_e32 v5, vcc, 0, v5, vcc
	v_add_co_u32_e32 v3, vcc, v3, v4
	v_addc_co_u32_e32 v6, vcc, 0, v5, vcc
	v_mul_lo_u32 v7, s35, v3
	v_mul_lo_u32 v14, s34, v6
	v_mad_u64_u32 v[4:5], s[0:1], s34, v3, 0
	v_add3_u32 v5, v5, v14, v7
	v_sub_u32_e32 v7, v11, v5
	v_mov_b32_e32 v14, s35
	v_sub_co_u32_e32 v4, vcc, v13, v4
	v_subb_co_u32_e64 v7, s[0:1], v7, v14, vcc
	v_subrev_co_u32_e64 v13, s[0:1], s34, v4
	v_subbrev_co_u32_e64 v7, s[0:1], 0, v7, s[0:1]
	v_cmp_le_u32_e64 s[0:1], s35, v7
	v_cndmask_b32_e64 v14, 0, -1, s[0:1]
	v_cmp_le_u32_e64 s[0:1], s34, v13
	v_cndmask_b32_e64 v13, 0, -1, s[0:1]
	v_cmp_eq_u32_e64 s[0:1], s35, v7
	v_cndmask_b32_e64 v7, v14, v13, s[0:1]
	v_add_co_u32_e64 v13, s[0:1], 2, v3
	v_subb_co_u32_e32 v5, vcc, v11, v5, vcc
	v_addc_co_u32_e64 v14, s[0:1], 0, v6, s[0:1]
	v_cmp_le_u32_e32 vcc, s35, v5
	v_add_co_u32_e64 v15, s[0:1], 1, v3
	v_cndmask_b32_e64 v11, 0, -1, vcc
	v_cmp_le_u32_e32 vcc, s34, v4
	v_addc_co_u32_e64 v16, s[0:1], 0, v6, s[0:1]
	v_cndmask_b32_e64 v4, 0, -1, vcc
	v_cmp_eq_u32_e32 vcc, s35, v5
	v_cmp_ne_u32_e64 s[0:1], 0, v7
	v_cndmask_b32_e32 v4, v11, v4, vcc
	v_cmp_ne_u32_e32 vcc, 0, v4
	v_cndmask_b32_e64 v5, v15, v13, s[0:1]
	v_cndmask_b32_e64 v7, v16, v14, s[0:1]
	v_cndmask_b32_e32 v3, v3, v5, vcc
	v_xor_b32_e32 v5, s30, v10
	v_cndmask_b32_e32 v4, v6, v7, vcc
	v_xor_b32_e32 v3, v3, v5
	v_xor_b32_e32 v6, v4, v5
	v_sub_co_u32_e32 v4, vcc, v3, v5
	v_subb_co_u32_e32 v5, vcc, v6, v5, vcc
.LBB82_9:                               ;   in Loop: Header=BB82_3 Depth=1
	s_andn2_saveexec_b64 s[0:1], s[28:29]
	s_cbranch_execz .LBB82_11
; %bb.10:                               ;   in Loop: Header=BB82_3 Depth=1
	v_cvt_f32_u32_e32 v3, s14
	s_sub_i32 s28, 0, s14
	v_rcp_iflag_f32_e32 v3, v3
	v_mul_f32_e32 v3, 0x4f7ffffe, v3
	v_cvt_u32_f32_e32 v3, v3
	v_mul_lo_u32 v4, s28, v3
	v_mul_hi_u32 v4, v3, v4
	v_add_u32_e32 v3, v3, v4
	v_mul_hi_u32 v3, v8, v3
	v_mul_lo_u32 v4, v3, s14
	v_sub_u32_e32 v4, v8, v4
	v_add_u32_e32 v5, 1, v3
	v_subrev_u32_e32 v6, s14, v4
	v_cmp_le_u32_e32 vcc, s14, v4
	v_cndmask_b32_e32 v4, v4, v6, vcc
	v_cndmask_b32_e32 v3, v3, v5, vcc
	v_add_u32_e32 v5, 1, v3
	v_cmp_le_u32_e32 vcc, s14, v4
	v_cndmask_b32_e32 v4, v3, v5, vcc
	v_mov_b32_e32 v5, v2
.LBB82_11:                              ;   in Loop: Header=BB82_3 Depth=1
	s_or_b64 exec, exec, s[0:1]
	v_mul_lo_u32 v3, v9, s2
	v_mul_lo_u32 v10, v8, s3
	v_mad_u64_u32 v[6:7], s[0:1], v8, s2, 0
	v_add3_u32 v3, v7, v10, v3
	v_sub_co_u32_e32 v6, vcc, v0, v6
	v_subb_co_u32_e32 v7, vcc, v1, v3, vcc
	v_mul_lo_u32 v3, v5, s14
	v_mul_lo_u32 v13, v4, s15
	v_mad_u64_u32 v[10:11], s[0:1], v4, s14, 0
	v_add3_u32 v11, v11, v13, v3
	v_sub_co_u32_e32 v3, vcc, v8, v10
	v_subb_co_u32_e32 v10, vcc, v9, v11, vcc
	v_sub_co_u32_e32 v8, vcc, v6, v3
	v_subb_co_u32_e32 v9, vcc, v7, v10, vcc
	v_cmp_gt_i64_e32 vcc, s[8:9], v[8:9]
	s_and_saveexec_b64 s[28:29], vcc
	s_cbranch_execz .LBB82_2
; %bb.12:                               ;   in Loop: Header=BB82_3 Depth=1
	s_load_dwordx2 s[0:1], s[4:5], 0x0
	s_load_dwordx2 s[30:31], s[16:17], 0x0
	s_andn2_b64 vcc, exec, s[12:13]
	s_mov_b64 s[34:35], s[22:23]
	s_mov_b64 s[36:37], s[20:21]
	s_waitcnt lgkmcnt(0)
	v_mul_lo_u32 v11, s1, v6
	v_mul_lo_u32 v13, s0, v7
	v_mad_u64_u32 v[8:9], s[0:1], s0, v6, 0
	v_add3_u32 v9, v9, v13, v11
	v_mad_u64_u32 v[8:9], s[0:1], s30, v3, v[8:9]
	v_mul_lo_u32 v10, s30, v10
	v_mul_lo_u32 v3, s31, v3
	v_add3_u32 v9, v3, v9, v10
	s_mov_b64 s[30:31], s[24:25]
	s_cbranch_vccz .LBB82_16
.LBB82_13:                              ;   in Loop: Header=BB82_3 Depth=1
	s_load_dwordx2 s[0:1], s[18:19], 0x0
	s_waitcnt lgkmcnt(0)
	v_cmp_gt_i64_e32 vcc, s[0:1], v[6:7]
	s_and_b64 exec, exec, vcc
	s_cbranch_execz .LBB82_2
; %bb.14:                               ;   in Loop: Header=BB82_3 Depth=1
	v_lshlrev_b64 v[4:5], 4, v[8:9]
	v_mov_b32_e32 v3, s7
	v_add_co_u32_e32 v6, vcc, s6, v4
	v_addc_co_u32_e32 v7, vcc, v3, v5, vcc
	v_mov_b32_e32 v3, v2
	v_mov_b32_e32 v4, v2
	;; [unrolled: 1-line block ×3, first 2 shown]
	global_store_dwordx4 v[6:7], v[2:5], off
	s_branch .LBB82_2
.LBB82_15:                              ;   in Loop: Header=BB82_16 Depth=2
	s_or_b64 exec, exec, s[0:1]
	v_mad_u64_u32 v[14:15], s[0:1], v10, s38, 0
	s_load_dwordx2 s[0:1], s[36:37], 0x0
	s_add_u32 s36, s36, -8
	s_addc_u32 s37, s37, -1
	v_mul_lo_u32 v3, v11, s38
	v_mul_lo_u32 v13, v10, s39
	s_add_u32 s34, s34, -8
	v_add3_u32 v3, v15, v13, v3
	v_sub_co_u32_e32 v4, vcc, v4, v14
	s_addc_u32 s35, s35, -1
	v_subb_co_u32_e32 v3, vcc, v5, v3, vcc
	s_add_u32 s30, s30, -1
	s_waitcnt lgkmcnt(0)
	v_mul_lo_u32 v3, s0, v3
	v_mul_lo_u32 v5, s1, v4
	v_mad_u64_u32 v[8:9], s[0:1], s0, v4, v[8:9]
	s_addc_u32 s31, s31, -1
	v_cmp_gt_i64_e64 s[0:1], s[30:31], 0
	v_add3_u32 v9, v5, v9, v3
	s_and_b64 vcc, exec, s[0:1]
	v_pk_mov_b32 v[4:5], v[10:11], v[10:11] op_sel:[0,1]
	s_cbranch_vccz .LBB82_13
.LBB82_16:                              ;   Parent Loop BB82_3 Depth=1
                                        ; =>  This Inner Loop Header: Depth=2
	s_load_dwordx2 s[38:39], s[34:35], 0x0
                                        ; implicit-def: $vgpr10_vgpr11
	s_waitcnt lgkmcnt(0)
	v_or_b32_e32 v3, s39, v5
	v_cmp_ne_u64_e32 vcc, 0, v[2:3]
	s_and_saveexec_b64 s[0:1], vcc
	s_xor_b64 s[40:41], exec, s[0:1]
	s_cbranch_execz .LBB82_18
; %bb.17:                               ;   in Loop: Header=BB82_16 Depth=2
	s_ashr_i32 s42, s39, 31
	s_add_u32 s0, s38, s42
	s_mov_b32 s43, s42
	s_addc_u32 s1, s39, s42
	s_xor_b64 s[44:45], s[0:1], s[42:43]
	v_cvt_f32_u32_e32 v3, s44
	v_cvt_f32_u32_e32 v10, s45
	s_sub_u32 s0, 0, s44
	s_subb_u32 s1, 0, s45
	v_mac_f32_e32 v3, 0x4f800000, v10
	v_rcp_f32_e32 v3, v3
	v_mul_f32_e32 v3, 0x5f7ffffc, v3
	v_mul_f32_e32 v10, 0x2f800000, v3
	v_trunc_f32_e32 v10, v10
	v_mac_f32_e32 v3, 0xcf800000, v10
	v_cvt_u32_f32_e32 v10, v10
	v_cvt_u32_f32_e32 v3, v3
	v_mul_lo_u32 v11, s0, v10
	v_mul_hi_u32 v14, s0, v3
	v_mul_lo_u32 v13, s1, v3
	v_add_u32_e32 v11, v14, v11
	v_mul_lo_u32 v15, s0, v3
	v_add_u32_e32 v11, v11, v13
	v_mul_lo_u32 v14, v3, v11
	v_mul_hi_u32 v16, v3, v15
	v_mul_hi_u32 v13, v3, v11
	v_add_co_u32_e32 v14, vcc, v16, v14
	v_addc_co_u32_e32 v13, vcc, 0, v13, vcc
	v_mul_hi_u32 v17, v10, v15
	v_mul_lo_u32 v15, v10, v15
	v_add_co_u32_e32 v14, vcc, v14, v15
	v_mul_hi_u32 v16, v10, v11
	v_addc_co_u32_e32 v13, vcc, v13, v17, vcc
	v_addc_co_u32_e32 v14, vcc, 0, v16, vcc
	v_mul_lo_u32 v11, v10, v11
	v_add_co_u32_e32 v11, vcc, v13, v11
	v_addc_co_u32_e32 v13, vcc, 0, v14, vcc
	v_add_co_u32_e32 v3, vcc, v3, v11
	v_addc_co_u32_e32 v10, vcc, v10, v13, vcc
	v_mul_lo_u32 v11, s0, v10
	v_mul_hi_u32 v13, s0, v3
	v_add_u32_e32 v11, v13, v11
	v_mul_lo_u32 v13, s1, v3
	v_add_u32_e32 v11, v11, v13
	v_mul_lo_u32 v14, s0, v3
	v_mul_hi_u32 v15, v10, v14
	v_mul_lo_u32 v16, v10, v14
	v_mul_lo_u32 v18, v3, v11
	v_mul_hi_u32 v14, v3, v14
	v_mul_hi_u32 v17, v3, v11
	v_add_co_u32_e32 v14, vcc, v14, v18
	v_addc_co_u32_e32 v17, vcc, 0, v17, vcc
	v_add_co_u32_e32 v14, vcc, v14, v16
	v_mul_hi_u32 v13, v10, v11
	v_addc_co_u32_e32 v14, vcc, v17, v15, vcc
	v_addc_co_u32_e32 v13, vcc, 0, v13, vcc
	v_mul_lo_u32 v11, v10, v11
	v_add_co_u32_e32 v11, vcc, v14, v11
	v_addc_co_u32_e32 v13, vcc, 0, v13, vcc
	v_add_co_u32_e32 v3, vcc, v3, v11
	v_addc_co_u32_e32 v13, vcc, v10, v13, vcc
	v_ashrrev_i32_e32 v16, 31, v5
	v_add_co_u32_e32 v10, vcc, v4, v16
	v_addc_co_u32_e32 v11, vcc, v5, v16, vcc
	v_xor_b32_e32 v18, v10, v16
	v_xor_b32_e32 v17, v11, v16
	v_mad_u64_u32 v[10:11], s[0:1], v18, v13, 0
	v_mul_hi_u32 v14, v18, v3
	v_add_co_u32_e32 v19, vcc, v14, v10
	v_addc_co_u32_e32 v20, vcc, 0, v11, vcc
	v_mad_u64_u32 v[14:15], s[0:1], v17, v3, 0
	v_add_co_u32_e32 v3, vcc, v19, v14
	v_mad_u64_u32 v[10:11], s[0:1], v17, v13, 0
	v_addc_co_u32_e32 v3, vcc, v20, v15, vcc
	v_addc_co_u32_e32 v11, vcc, 0, v11, vcc
	v_add_co_u32_e32 v3, vcc, v3, v10
	v_addc_co_u32_e32 v13, vcc, 0, v11, vcc
	v_mul_lo_u32 v14, s45, v3
	v_mul_lo_u32 v15, s44, v13
	v_mad_u64_u32 v[10:11], s[0:1], s44, v3, 0
	v_add3_u32 v11, v11, v15, v14
	v_sub_u32_e32 v14, v17, v11
	v_mov_b32_e32 v15, s45
	v_sub_co_u32_e32 v10, vcc, v18, v10
	v_subb_co_u32_e64 v14, s[0:1], v14, v15, vcc
	v_subrev_co_u32_e64 v15, s[0:1], s44, v10
	v_subbrev_co_u32_e64 v14, s[0:1], 0, v14, s[0:1]
	v_cmp_le_u32_e64 s[0:1], s45, v14
	v_cndmask_b32_e64 v18, 0, -1, s[0:1]
	v_cmp_le_u32_e64 s[0:1], s44, v15
	v_cndmask_b32_e64 v15, 0, -1, s[0:1]
	v_cmp_eq_u32_e64 s[0:1], s45, v14
	v_cndmask_b32_e64 v14, v18, v15, s[0:1]
	v_add_co_u32_e64 v15, s[0:1], 2, v3
	v_subb_co_u32_e32 v11, vcc, v17, v11, vcc
	v_addc_co_u32_e64 v18, s[0:1], 0, v13, s[0:1]
	v_cmp_le_u32_e32 vcc, s45, v11
	v_add_co_u32_e64 v19, s[0:1], 1, v3
	v_cndmask_b32_e64 v17, 0, -1, vcc
	v_cmp_le_u32_e32 vcc, s44, v10
	v_addc_co_u32_e64 v20, s[0:1], 0, v13, s[0:1]
	v_cndmask_b32_e64 v10, 0, -1, vcc
	v_cmp_eq_u32_e32 vcc, s45, v11
	v_cmp_ne_u32_e64 s[0:1], 0, v14
	v_cndmask_b32_e32 v10, v17, v10, vcc
	v_cmp_ne_u32_e32 vcc, 0, v10
	v_cndmask_b32_e64 v11, v19, v15, s[0:1]
	v_cndmask_b32_e64 v14, v20, v18, s[0:1]
	v_cndmask_b32_e32 v3, v3, v11, vcc
	v_xor_b32_e32 v11, s42, v16
	v_cndmask_b32_e32 v10, v13, v14, vcc
	v_xor_b32_e32 v3, v3, v11
	v_xor_b32_e32 v13, v10, v11
	v_sub_co_u32_e32 v10, vcc, v3, v11
	v_subb_co_u32_e32 v11, vcc, v13, v11, vcc
.LBB82_18:                              ;   in Loop: Header=BB82_16 Depth=2
	s_andn2_saveexec_b64 s[0:1], s[40:41]
	s_cbranch_execz .LBB82_15
; %bb.19:                               ;   in Loop: Header=BB82_16 Depth=2
	v_cvt_f32_u32_e32 v3, s38
	s_sub_i32 s40, 0, s38
	v_rcp_iflag_f32_e32 v3, v3
	v_mul_f32_e32 v3, 0x4f7ffffe, v3
	v_cvt_u32_f32_e32 v3, v3
	v_mul_lo_u32 v10, s40, v3
	v_mul_hi_u32 v10, v3, v10
	v_add_u32_e32 v3, v3, v10
	v_mul_hi_u32 v3, v4, v3
	v_mul_lo_u32 v10, v3, s38
	v_sub_u32_e32 v10, v4, v10
	v_add_u32_e32 v11, 1, v3
	v_subrev_u32_e32 v13, s38, v10
	v_cmp_le_u32_e32 vcc, s38, v10
	v_cndmask_b32_e32 v10, v10, v13, vcc
	v_cndmask_b32_e32 v3, v3, v11, vcc
	v_add_u32_e32 v11, 1, v3
	v_cmp_le_u32_e32 vcc, s38, v10
	v_cndmask_b32_e32 v10, v3, v11, vcc
	v_mov_b32_e32 v11, v2
	s_branch .LBB82_15
.LBB82_20:
	s_endpgm
	.section	.rodata,"a",@progbits
	.p2align	6, 0x0
	.amdhsa_kernel _ZN2at6native16triu_tril_kernelIN3c107complexIdEElLb1ELi1ELb1EEEvNS_4cuda6detail10TensorInfoIT_T0_EENS7_IKS8_S9_EEllS9_
		.amdhsa_group_segment_fixed_size 0
		.amdhsa_private_segment_fixed_size 0
		.amdhsa_kernarg_size 1112
		.amdhsa_user_sgpr_count 6
		.amdhsa_user_sgpr_private_segment_buffer 1
		.amdhsa_user_sgpr_dispatch_ptr 0
		.amdhsa_user_sgpr_queue_ptr 0
		.amdhsa_user_sgpr_kernarg_segment_ptr 1
		.amdhsa_user_sgpr_dispatch_id 0
		.amdhsa_user_sgpr_flat_scratch_init 0
		.amdhsa_user_sgpr_kernarg_preload_length 0
		.amdhsa_user_sgpr_kernarg_preload_offset 0
		.amdhsa_user_sgpr_private_segment_size 0
		.amdhsa_uses_dynamic_stack 0
		.amdhsa_system_sgpr_private_segment_wavefront_offset 0
		.amdhsa_system_sgpr_workgroup_id_x 1
		.amdhsa_system_sgpr_workgroup_id_y 0
		.amdhsa_system_sgpr_workgroup_id_z 0
		.amdhsa_system_sgpr_workgroup_info 0
		.amdhsa_system_vgpr_workitem_id 0
		.amdhsa_next_free_vgpr 21
		.amdhsa_next_free_sgpr 47
		.amdhsa_accum_offset 24
		.amdhsa_reserve_vcc 1
		.amdhsa_reserve_flat_scratch 0
		.amdhsa_float_round_mode_32 0
		.amdhsa_float_round_mode_16_64 0
		.amdhsa_float_denorm_mode_32 3
		.amdhsa_float_denorm_mode_16_64 3
		.amdhsa_dx10_clamp 1
		.amdhsa_ieee_mode 1
		.amdhsa_fp16_overflow 0
		.amdhsa_tg_split 0
		.amdhsa_exception_fp_ieee_invalid_op 0
		.amdhsa_exception_fp_denorm_src 0
		.amdhsa_exception_fp_ieee_div_zero 0
		.amdhsa_exception_fp_ieee_overflow 0
		.amdhsa_exception_fp_ieee_underflow 0
		.amdhsa_exception_fp_ieee_inexact 0
		.amdhsa_exception_int_div_zero 0
	.end_amdhsa_kernel
	.section	.text._ZN2at6native16triu_tril_kernelIN3c107complexIdEElLb1ELi1ELb1EEEvNS_4cuda6detail10TensorInfoIT_T0_EENS7_IKS8_S9_EEllS9_,"axG",@progbits,_ZN2at6native16triu_tril_kernelIN3c107complexIdEElLb1ELi1ELb1EEEvNS_4cuda6detail10TensorInfoIT_T0_EENS7_IKS8_S9_EEllS9_,comdat
.Lfunc_end82:
	.size	_ZN2at6native16triu_tril_kernelIN3c107complexIdEElLb1ELi1ELb1EEEvNS_4cuda6detail10TensorInfoIT_T0_EENS7_IKS8_S9_EEllS9_, .Lfunc_end82-_ZN2at6native16triu_tril_kernelIN3c107complexIdEElLb1ELi1ELb1EEEvNS_4cuda6detail10TensorInfoIT_T0_EENS7_IKS8_S9_EEllS9_
                                        ; -- End function
	.section	.AMDGPU.csdata,"",@progbits
; Kernel info:
; codeLenInByte = 3116
; NumSgprs: 51
; NumVgprs: 21
; NumAgprs: 0
; TotalNumVgprs: 21
; ScratchSize: 0
; MemoryBound: 0
; FloatMode: 240
; IeeeMode: 1
; LDSByteSize: 0 bytes/workgroup (compile time only)
; SGPRBlocks: 6
; VGPRBlocks: 2
; NumSGPRsForWavesPerEU: 51
; NumVGPRsForWavesPerEU: 21
; AccumOffset: 24
; Occupancy: 8
; WaveLimiterHint : 0
; COMPUTE_PGM_RSRC2:SCRATCH_EN: 0
; COMPUTE_PGM_RSRC2:USER_SGPR: 6
; COMPUTE_PGM_RSRC2:TRAP_HANDLER: 0
; COMPUTE_PGM_RSRC2:TGID_X_EN: 1
; COMPUTE_PGM_RSRC2:TGID_Y_EN: 0
; COMPUTE_PGM_RSRC2:TGID_Z_EN: 0
; COMPUTE_PGM_RSRC2:TIDIG_COMP_CNT: 0
; COMPUTE_PGM_RSRC3_GFX90A:ACCUM_OFFSET: 5
; COMPUTE_PGM_RSRC3_GFX90A:TG_SPLIT: 0
	.section	.text._ZN2at6native16triu_tril_kernelIN3c107complexIdEElLb1ELi1ELb0EEEvNS_4cuda6detail10TensorInfoIT_T0_EENS7_IKS8_S9_EEllS9_,"axG",@progbits,_ZN2at6native16triu_tril_kernelIN3c107complexIdEElLb1ELi1ELb0EEEvNS_4cuda6detail10TensorInfoIT_T0_EENS7_IKS8_S9_EEllS9_,comdat
	.protected	_ZN2at6native16triu_tril_kernelIN3c107complexIdEElLb1ELi1ELb0EEEvNS_4cuda6detail10TensorInfoIT_T0_EENS7_IKS8_S9_EEllS9_ ; -- Begin function _ZN2at6native16triu_tril_kernelIN3c107complexIdEElLb1ELi1ELb0EEEvNS_4cuda6detail10TensorInfoIT_T0_EENS7_IKS8_S9_EEllS9_
	.globl	_ZN2at6native16triu_tril_kernelIN3c107complexIdEElLb1ELi1ELb0EEEvNS_4cuda6detail10TensorInfoIT_T0_EENS7_IKS8_S9_EEllS9_
	.p2align	8
	.type	_ZN2at6native16triu_tril_kernelIN3c107complexIdEElLb1ELi1ELb0EEEvNS_4cuda6detail10TensorInfoIT_T0_EENS7_IKS8_S9_EEllS9_,@function
_ZN2at6native16triu_tril_kernelIN3c107complexIdEElLb1ELi1ELb0EEEvNS_4cuda6detail10TensorInfoIT_T0_EENS7_IKS8_S9_EEllS9_: ; @_ZN2at6native16triu_tril_kernelIN3c107complexIdEElLb1ELi1ELb0EEEvNS_4cuda6detail10TensorInfoIT_T0_EENS7_IKS8_S9_EEllS9_
; %bb.0:
	s_load_dword s2, s[4:5], 0x364
	s_load_dwordx4 s[8:11], s[4:5], 0x340
	s_add_u32 s0, s4, 0x358
	v_mov_b32_e32 v4, 0
	s_addc_u32 s1, s5, 0
	s_waitcnt lgkmcnt(0)
	s_and_b32 s26, s2, 0xffff
	v_mov_b32_e32 v1, v4
	v_mov_b32_e32 v2, s6
	v_mad_u64_u32 v[6:7], s[2:3], s26, v2, v[0:1]
	v_cmp_gt_i64_e32 vcc, s[10:11], v[6:7]
	s_and_saveexec_b64 s[2:3], vcc
	s_cbranch_execz .LBB83_23
; %bb.1:
	s_load_dwordx2 s[2:3], s[4:5], 0x350
	s_load_dword s28, s[4:5], 0x338
	s_add_u32 s12, s4, 0x1a0
	s_addc_u32 s13, s5, 0
	s_load_dword s27, s[0:1], 0x0
	s_load_dwordx2 s[6:7], s[4:5], 0x1a0
	s_waitcnt lgkmcnt(0)
	v_cvt_f32_u32_e32 v0, s2
	s_ashr_i32 s29, s28, 31
	s_add_u32 s30, s4, 0x1a8
	s_addc_u32 s31, s5, 0
	s_lshl_b64 s[0:1], s[28:29], 3
	s_add_u32 s22, s0, -16
	s_addc_u32 s23, s1, -1
	s_add_u32 s0, s30, s22
	s_addc_u32 s1, s31, s23
	s_add_u32 s20, s12, s22
	s_addc_u32 s21, s13, s23
	;; [unrolled: 2-line block ×3, first 2 shown]
	s_load_dwordx4 s[12:15], s[0:1], 0x0
	s_load_dwordx4 s[16:19], s[20:21], 0xd0
	s_add_u32 s0, s34, s22
	s_addc_u32 s1, s35, s23
	s_load_dwordx4 s[20:23], s[0:1], 0x0
	v_rcp_iflag_f32_e32 v0, v0
	s_load_dwordx2 s[4:5], s[4:5], 0x0
	s_add_i32 s0, s28, -3
	s_ashr_i32 s1, s0, 31
	v_cmp_gt_i64_e64 s[24:25], s[28:29], 2
	s_lshl_b64 s[28:29], s[0:1], 3
	s_mul_i32 s33, s27, s26
	s_add_u32 s26, s34, s28
	s_addc_u32 s27, s35, s29
	v_mul_f32_e32 v0, 0x4f7ffffe, v0
	s_add_u32 s28, s30, s28
	v_cvt_u32_f32_e32 v16, v0
	s_addc_u32 s29, s31, s29
	s_add_u32 s30, s0, 1
	s_mov_b32 s50, 0
	s_addc_u32 s31, s1, 0
	s_mov_b64 s[34:35], 0
	s_branch .LBB83_3
.LBB83_2:                               ;   in Loop: Header=BB83_3 Depth=1
	s_or_b64 exec, exec, s[0:1]
	v_mov_b32_e32 v0, s50
	v_add_co_u32_e32 v6, vcc, s33, v6
	v_addc_co_u32_e32 v7, vcc, v7, v0, vcc
	v_cmp_le_i64_e32 vcc, s[10:11], v[6:7]
	s_or_b64 s[34:35], vcc, s[34:35]
	s_andn2_b64 exec, exec, s[34:35]
	s_cbranch_execz .LBB83_23
.LBB83_3:                               ; =>This Loop Header: Depth=1
                                        ;     Child Loop BB83_19 Depth 2
	v_or_b32_e32 v5, s3, v7
	v_cmp_ne_u64_e32 vcc, 0, v[4:5]
                                        ; implicit-def: $vgpr2_vgpr3
	s_and_saveexec_b64 s[0:1], vcc
	s_xor_b64 s[36:37], exec, s[0:1]
	s_cbranch_execz .LBB83_5
; %bb.4:                                ;   in Loop: Header=BB83_3 Depth=1
	s_ashr_i32 s38, s3, 31
	s_add_u32 s0, s2, s38
	s_mov_b32 s39, s38
	s_addc_u32 s1, s3, s38
	s_xor_b64 s[40:41], s[0:1], s[38:39]
	v_cvt_f32_u32_e32 v0, s40
	v_cvt_f32_u32_e32 v1, s41
	s_sub_u32 s0, 0, s40
	s_subb_u32 s1, 0, s41
	v_mac_f32_e32 v0, 0x4f800000, v1
	v_rcp_f32_e32 v0, v0
	v_mul_f32_e32 v0, 0x5f7ffffc, v0
	v_mul_f32_e32 v1, 0x2f800000, v0
	v_trunc_f32_e32 v1, v1
	v_mac_f32_e32 v0, 0xcf800000, v1
	v_cvt_u32_f32_e32 v1, v1
	v_cvt_u32_f32_e32 v0, v0
	v_mul_lo_u32 v2, s0, v1
	v_mul_hi_u32 v5, s0, v0
	v_mul_lo_u32 v3, s1, v0
	v_add_u32_e32 v2, v5, v2
	v_mul_lo_u32 v8, s0, v0
	v_add_u32_e32 v2, v2, v3
	v_mul_lo_u32 v5, v0, v2
	v_mul_hi_u32 v9, v0, v8
	v_mul_hi_u32 v3, v0, v2
	v_add_co_u32_e32 v5, vcc, v9, v5
	v_addc_co_u32_e32 v3, vcc, 0, v3, vcc
	v_mul_hi_u32 v10, v1, v8
	v_mul_lo_u32 v8, v1, v8
	v_add_co_u32_e32 v5, vcc, v5, v8
	v_mul_hi_u32 v9, v1, v2
	v_addc_co_u32_e32 v3, vcc, v3, v10, vcc
	v_addc_co_u32_e32 v5, vcc, 0, v9, vcc
	v_mul_lo_u32 v2, v1, v2
	v_add_co_u32_e32 v2, vcc, v3, v2
	v_addc_co_u32_e32 v3, vcc, 0, v5, vcc
	v_add_co_u32_e32 v0, vcc, v0, v2
	v_addc_co_u32_e32 v1, vcc, v1, v3, vcc
	v_mul_lo_u32 v2, s0, v1
	v_mul_hi_u32 v3, s0, v0
	v_add_u32_e32 v2, v3, v2
	v_mul_lo_u32 v3, s1, v0
	v_add_u32_e32 v2, v2, v3
	v_mul_lo_u32 v5, s0, v0
	v_mul_hi_u32 v8, v1, v5
	v_mul_lo_u32 v9, v1, v5
	v_mul_lo_u32 v11, v0, v2
	v_mul_hi_u32 v5, v0, v5
	v_mul_hi_u32 v10, v0, v2
	v_add_co_u32_e32 v5, vcc, v5, v11
	v_addc_co_u32_e32 v10, vcc, 0, v10, vcc
	v_add_co_u32_e32 v5, vcc, v5, v9
	v_mul_hi_u32 v3, v1, v2
	v_addc_co_u32_e32 v5, vcc, v10, v8, vcc
	v_addc_co_u32_e32 v3, vcc, 0, v3, vcc
	v_mul_lo_u32 v2, v1, v2
	v_add_co_u32_e32 v2, vcc, v5, v2
	v_addc_co_u32_e32 v3, vcc, 0, v3, vcc
	v_add_co_u32_e32 v2, vcc, v0, v2
	v_addc_co_u32_e32 v3, vcc, v1, v3, vcc
	v_ashrrev_i32_e32 v5, 31, v7
	v_add_co_u32_e32 v0, vcc, v6, v5
	v_addc_co_u32_e32 v1, vcc, v7, v5, vcc
	v_xor_b32_e32 v9, v0, v5
	v_xor_b32_e32 v8, v1, v5
	v_mad_u64_u32 v[0:1], s[0:1], v9, v3, 0
	v_mul_hi_u32 v10, v9, v2
	v_add_co_u32_e32 v10, vcc, v10, v0
	v_addc_co_u32_e32 v11, vcc, 0, v1, vcc
	v_mad_u64_u32 v[0:1], s[0:1], v8, v3, 0
	v_mad_u64_u32 v[2:3], s[0:1], v8, v2, 0
	v_add_co_u32_e32 v2, vcc, v10, v2
	v_addc_co_u32_e32 v2, vcc, v11, v3, vcc
	v_addc_co_u32_e32 v1, vcc, 0, v1, vcc
	v_add_co_u32_e32 v2, vcc, v2, v0
	v_addc_co_u32_e32 v3, vcc, 0, v1, vcc
	v_mul_lo_u32 v10, s41, v2
	v_mul_lo_u32 v11, s40, v3
	v_mad_u64_u32 v[0:1], s[0:1], s40, v2, 0
	v_add3_u32 v1, v1, v11, v10
	v_sub_u32_e32 v10, v8, v1
	v_mov_b32_e32 v11, s41
	v_sub_co_u32_e32 v0, vcc, v9, v0
	v_subb_co_u32_e64 v9, s[0:1], v10, v11, vcc
	v_subrev_co_u32_e64 v10, s[0:1], s40, v0
	v_subbrev_co_u32_e64 v9, s[0:1], 0, v9, s[0:1]
	v_cmp_le_u32_e64 s[0:1], s41, v9
	v_cndmask_b32_e64 v11, 0, -1, s[0:1]
	v_cmp_le_u32_e64 s[0:1], s40, v10
	v_cndmask_b32_e64 v10, 0, -1, s[0:1]
	v_cmp_eq_u32_e64 s[0:1], s41, v9
	v_cndmask_b32_e64 v9, v11, v10, s[0:1]
	v_add_co_u32_e64 v10, s[0:1], 2, v2
	v_subb_co_u32_e32 v1, vcc, v8, v1, vcc
	v_addc_co_u32_e64 v11, s[0:1], 0, v3, s[0:1]
	v_cmp_le_u32_e32 vcc, s41, v1
	v_add_co_u32_e64 v12, s[0:1], 1, v2
	v_cndmask_b32_e64 v8, 0, -1, vcc
	v_cmp_le_u32_e32 vcc, s40, v0
	v_addc_co_u32_e64 v13, s[0:1], 0, v3, s[0:1]
	v_cndmask_b32_e64 v0, 0, -1, vcc
	v_cmp_eq_u32_e32 vcc, s41, v1
	v_cmp_ne_u32_e64 s[0:1], 0, v9
	v_cndmask_b32_e32 v0, v8, v0, vcc
	v_cndmask_b32_e64 v9, v13, v11, s[0:1]
	v_cmp_ne_u32_e32 vcc, 0, v0
	v_cndmask_b32_e64 v1, v12, v10, s[0:1]
	v_cndmask_b32_e32 v0, v3, v9, vcc
	v_cndmask_b32_e32 v1, v2, v1, vcc
	v_xor_b32_e32 v3, s38, v5
	v_xor_b32_e32 v1, v1, v3
	;; [unrolled: 1-line block ×3, first 2 shown]
	v_sub_co_u32_e32 v2, vcc, v1, v3
	v_subb_co_u32_e32 v3, vcc, v0, v3, vcc
.LBB83_5:                               ;   in Loop: Header=BB83_3 Depth=1
	s_andn2_saveexec_b64 s[0:1], s[36:37]
	s_cbranch_execz .LBB83_7
; %bb.6:                                ;   in Loop: Header=BB83_3 Depth=1
	s_sub_i32 s36, 0, s2
	v_mul_lo_u32 v0, s36, v16
	v_mul_hi_u32 v0, v16, v0
	v_add_u32_e32 v0, v16, v0
	v_mul_hi_u32 v0, v6, v0
	v_mul_lo_u32 v1, v0, s2
	v_sub_u32_e32 v1, v6, v1
	v_subrev_u32_e32 v2, s2, v1
	v_cmp_le_u32_e32 vcc, s2, v1
	v_cndmask_b32_e32 v1, v1, v2, vcc
	v_add_u32_e32 v2, 1, v0
	v_cndmask_b32_e32 v0, v0, v2, vcc
	v_add_u32_e32 v2, 1, v0
	v_cmp_le_u32_e32 vcc, s2, v1
	v_cndmask_b32_e32 v2, v0, v2, vcc
	v_mov_b32_e32 v3, v4
.LBB83_7:                               ;   in Loop: Header=BB83_3 Depth=1
	s_or_b64 exec, exec, s[0:1]
	s_waitcnt lgkmcnt(0)
	v_or_b32_e32 v5, s13, v3
	v_cmp_ne_u64_e32 vcc, 0, v[4:5]
                                        ; implicit-def: $vgpr0_vgpr1
	s_and_saveexec_b64 s[0:1], vcc
	s_xor_b64 s[36:37], exec, s[0:1]
	s_cbranch_execz .LBB83_9
; %bb.8:                                ;   in Loop: Header=BB83_3 Depth=1
	s_ashr_i32 s38, s13, 31
	s_add_u32 s0, s12, s38
	s_mov_b32 s39, s38
	s_addc_u32 s1, s13, s38
	s_xor_b64 s[40:41], s[0:1], s[38:39]
	v_cvt_f32_u32_e32 v0, s40
	v_cvt_f32_u32_e32 v1, s41
	s_sub_u32 s0, 0, s40
	s_subb_u32 s1, 0, s41
	v_mac_f32_e32 v0, 0x4f800000, v1
	v_rcp_f32_e32 v0, v0
	v_mul_f32_e32 v0, 0x5f7ffffc, v0
	v_mul_f32_e32 v1, 0x2f800000, v0
	v_trunc_f32_e32 v1, v1
	v_mac_f32_e32 v0, 0xcf800000, v1
	v_cvt_u32_f32_e32 v1, v1
	v_cvt_u32_f32_e32 v0, v0
	v_mul_lo_u32 v5, s0, v1
	v_mul_hi_u32 v9, s0, v0
	v_mul_lo_u32 v8, s1, v0
	v_add_u32_e32 v5, v9, v5
	v_mul_lo_u32 v10, s0, v0
	v_add_u32_e32 v5, v5, v8
	v_mul_lo_u32 v9, v0, v5
	v_mul_hi_u32 v11, v0, v10
	v_mul_hi_u32 v8, v0, v5
	v_add_co_u32_e32 v9, vcc, v11, v9
	v_addc_co_u32_e32 v8, vcc, 0, v8, vcc
	v_mul_hi_u32 v12, v1, v10
	v_mul_lo_u32 v10, v1, v10
	v_add_co_u32_e32 v9, vcc, v9, v10
	v_mul_hi_u32 v11, v1, v5
	v_addc_co_u32_e32 v8, vcc, v8, v12, vcc
	v_addc_co_u32_e32 v9, vcc, 0, v11, vcc
	v_mul_lo_u32 v5, v1, v5
	v_add_co_u32_e32 v5, vcc, v8, v5
	v_addc_co_u32_e32 v8, vcc, 0, v9, vcc
	v_add_co_u32_e32 v0, vcc, v0, v5
	v_addc_co_u32_e32 v1, vcc, v1, v8, vcc
	v_mul_lo_u32 v5, s0, v1
	v_mul_hi_u32 v8, s0, v0
	v_add_u32_e32 v5, v8, v5
	v_mul_lo_u32 v8, s1, v0
	v_add_u32_e32 v5, v5, v8
	v_mul_lo_u32 v9, s0, v0
	v_mul_hi_u32 v10, v1, v9
	v_mul_lo_u32 v11, v1, v9
	v_mul_lo_u32 v13, v0, v5
	v_mul_hi_u32 v9, v0, v9
	v_mul_hi_u32 v12, v0, v5
	v_add_co_u32_e32 v9, vcc, v9, v13
	v_addc_co_u32_e32 v12, vcc, 0, v12, vcc
	v_add_co_u32_e32 v9, vcc, v9, v11
	v_mul_hi_u32 v8, v1, v5
	v_addc_co_u32_e32 v9, vcc, v12, v10, vcc
	v_addc_co_u32_e32 v8, vcc, 0, v8, vcc
	v_mul_lo_u32 v5, v1, v5
	v_add_co_u32_e32 v5, vcc, v9, v5
	v_addc_co_u32_e32 v8, vcc, 0, v8, vcc
	v_add_co_u32_e32 v5, vcc, v0, v5
	v_addc_co_u32_e32 v8, vcc, v1, v8, vcc
	v_ashrrev_i32_e32 v10, 31, v3
	v_add_co_u32_e32 v0, vcc, v2, v10
	v_addc_co_u32_e32 v1, vcc, v3, v10, vcc
	v_xor_b32_e32 v12, v0, v10
	v_xor_b32_e32 v11, v1, v10
	v_mad_u64_u32 v[0:1], s[0:1], v12, v8, 0
	v_mul_hi_u32 v9, v12, v5
	v_add_co_u32_e32 v13, vcc, v9, v0
	v_addc_co_u32_e32 v14, vcc, 0, v1, vcc
	v_mad_u64_u32 v[0:1], s[0:1], v11, v8, 0
	v_mad_u64_u32 v[8:9], s[0:1], v11, v5, 0
	v_add_co_u32_e32 v5, vcc, v13, v8
	v_addc_co_u32_e32 v5, vcc, v14, v9, vcc
	v_addc_co_u32_e32 v1, vcc, 0, v1, vcc
	v_add_co_u32_e32 v5, vcc, v5, v0
	v_addc_co_u32_e32 v8, vcc, 0, v1, vcc
	v_mul_lo_u32 v9, s41, v5
	v_mul_lo_u32 v13, s40, v8
	v_mad_u64_u32 v[0:1], s[0:1], s40, v5, 0
	v_add3_u32 v1, v1, v13, v9
	v_sub_u32_e32 v9, v11, v1
	v_mov_b32_e32 v13, s41
	v_sub_co_u32_e32 v0, vcc, v12, v0
	v_subb_co_u32_e64 v9, s[0:1], v9, v13, vcc
	v_subrev_co_u32_e64 v12, s[0:1], s40, v0
	v_subbrev_co_u32_e64 v9, s[0:1], 0, v9, s[0:1]
	v_cmp_le_u32_e64 s[0:1], s41, v9
	v_cndmask_b32_e64 v13, 0, -1, s[0:1]
	v_cmp_le_u32_e64 s[0:1], s40, v12
	v_cndmask_b32_e64 v12, 0, -1, s[0:1]
	v_cmp_eq_u32_e64 s[0:1], s41, v9
	v_cndmask_b32_e64 v9, v13, v12, s[0:1]
	v_add_co_u32_e64 v12, s[0:1], 2, v5
	v_subb_co_u32_e32 v1, vcc, v11, v1, vcc
	v_addc_co_u32_e64 v13, s[0:1], 0, v8, s[0:1]
	v_cmp_le_u32_e32 vcc, s41, v1
	v_add_co_u32_e64 v14, s[0:1], 1, v5
	v_cndmask_b32_e64 v11, 0, -1, vcc
	v_cmp_le_u32_e32 vcc, s40, v0
	v_addc_co_u32_e64 v15, s[0:1], 0, v8, s[0:1]
	v_cndmask_b32_e64 v0, 0, -1, vcc
	v_cmp_eq_u32_e32 vcc, s41, v1
	v_cmp_ne_u32_e64 s[0:1], 0, v9
	v_cndmask_b32_e32 v0, v11, v0, vcc
	v_cndmask_b32_e64 v9, v15, v13, s[0:1]
	v_cmp_ne_u32_e32 vcc, 0, v0
	v_cndmask_b32_e64 v1, v14, v12, s[0:1]
	v_cndmask_b32_e32 v0, v8, v9, vcc
	v_cndmask_b32_e32 v1, v5, v1, vcc
	v_xor_b32_e32 v5, s38, v10
	v_xor_b32_e32 v8, v0, v5
	;; [unrolled: 1-line block ×3, first 2 shown]
	v_sub_co_u32_e32 v0, vcc, v0, v5
	v_subb_co_u32_e32 v1, vcc, v8, v5, vcc
.LBB83_9:                               ;   in Loop: Header=BB83_3 Depth=1
	s_andn2_saveexec_b64 s[0:1], s[36:37]
	s_cbranch_execz .LBB83_11
; %bb.10:                               ;   in Loop: Header=BB83_3 Depth=1
	v_cvt_f32_u32_e32 v0, s12
	s_sub_i32 s36, 0, s12
	v_rcp_iflag_f32_e32 v0, v0
	v_mul_f32_e32 v0, 0x4f7ffffe, v0
	v_cvt_u32_f32_e32 v0, v0
	v_mul_lo_u32 v1, s36, v0
	v_mul_hi_u32 v1, v0, v1
	v_add_u32_e32 v0, v0, v1
	v_mul_hi_u32 v0, v2, v0
	v_mul_lo_u32 v1, v0, s12
	v_sub_u32_e32 v1, v2, v1
	v_add_u32_e32 v5, 1, v0
	v_subrev_u32_e32 v8, s12, v1
	v_cmp_le_u32_e32 vcc, s12, v1
	v_cndmask_b32_e32 v1, v1, v8, vcc
	v_cndmask_b32_e32 v0, v0, v5, vcc
	v_add_u32_e32 v5, 1, v0
	v_cmp_le_u32_e32 vcc, s12, v1
	v_cndmask_b32_e32 v0, v0, v5, vcc
	v_mov_b32_e32 v1, v4
.LBB83_11:                              ;   in Loop: Header=BB83_3 Depth=1
	s_or_b64 exec, exec, s[0:1]
	v_mul_lo_u32 v5, v3, s2
	v_mul_lo_u32 v10, v2, s3
	v_mad_u64_u32 v[8:9], s[0:1], v2, s2, 0
	v_add3_u32 v5, v9, v10, v5
	v_sub_co_u32_e32 v8, vcc, v6, v8
	v_subb_co_u32_e32 v9, vcc, v7, v5, vcc
	v_mul_lo_u32 v5, v1, s12
	v_mul_lo_u32 v12, v0, s13
	v_mad_u64_u32 v[10:11], s[0:1], v0, s12, 0
	v_add3_u32 v5, v11, v12, v5
	v_sub_co_u32_e32 v14, vcc, v2, v10
	v_subb_co_u32_e32 v15, vcc, v3, v5, vcc
	v_mul_lo_u32 v5, s19, v8
	v_mul_lo_u32 v10, s18, v9
	v_mad_u64_u32 v[2:3], s[0:1], s18, v8, 0
	v_add3_u32 v3, v3, v10, v5
	v_mul_lo_u32 v5, s23, v8
	v_mul_lo_u32 v12, s22, v9
	v_mad_u64_u32 v[10:11], s[0:1], s22, v8, 0
	v_add3_u32 v11, v11, v12, v5
	v_mad_u64_u32 v[12:13], s[0:1], s16, v14, v[2:3]
	v_mul_lo_u32 v2, s16, v15
	v_mul_lo_u32 v3, s17, v14
	v_add3_u32 v13, v3, v13, v2
	v_mad_u64_u32 v[10:11], s[0:1], s20, v14, v[10:11]
	v_mul_lo_u32 v2, s20, v15
	v_mul_lo_u32 v3, s21, v14
	v_add3_u32 v11, v3, v11, v2
	s_and_b64 vcc, exec, s[24:25]
	s_mov_b64 s[36:37], s[30:31]
	s_mov_b64 s[38:39], s[28:29]
	;; [unrolled: 1-line block ×3, first 2 shown]
	s_cbranch_vccnz .LBB83_19
.LBB83_12:                              ;   in Loop: Header=BB83_3 Depth=1
	v_sub_co_u32_e32 v14, vcc, v8, v14
	v_subb_co_u32_e32 v15, vcc, v9, v15, vcc
	v_add_co_u32_e32 v0, vcc, 1, v14
	v_addc_co_u32_e32 v1, vcc, 0, v15, vcc
	v_pk_mov_b32 v[2:3], 0, 0
	v_cmp_le_i64_e32 vcc, s[8:9], v[0:1]
	v_pk_mov_b32 v[0:1], v[2:3], v[2:3] op_sel:[0,1]
	s_and_saveexec_b64 s[0:1], vcc
	s_cbranch_execz .LBB83_16
; %bb.13:                               ;   in Loop: Header=BB83_3 Depth=1
	v_pk_mov_b32 v[0:1], 0, 0
	v_cmp_gt_i64_e32 vcc, s[14:15], v[8:9]
	v_pk_mov_b32 v[2:3], v[0:1], v[0:1] op_sel:[0,1]
	s_and_saveexec_b64 s[36:37], vcc
	s_cbranch_execz .LBB83_15
; %bb.14:                               ;   in Loop: Header=BB83_3 Depth=1
	v_lshlrev_b64 v[0:1], 4, v[12:13]
	v_mov_b32_e32 v2, s7
	v_add_co_u32_e32 v0, vcc, s6, v0
	v_addc_co_u32_e32 v1, vcc, v2, v1, vcc
	global_load_dwordx4 v[0:3], v[0:1], off
.LBB83_15:                              ;   in Loop: Header=BB83_3 Depth=1
	s_or_b64 exec, exec, s[36:37]
	v_cmp_gt_i64_e32 vcc, s[8:9], v[14:15]
	s_waitcnt vmcnt(0)
	v_cndmask_b32_e64 v1, v1, 0, vcc
	v_cndmask_b32_e64 v0, v0, 0, vcc
	;; [unrolled: 1-line block ×4, first 2 shown]
.LBB83_16:                              ;   in Loop: Header=BB83_3 Depth=1
	s_or_b64 exec, exec, s[0:1]
	v_cmp_gt_i64_e32 vcc, s[14:15], v[8:9]
	s_and_saveexec_b64 s[0:1], vcc
	s_cbranch_execz .LBB83_2
; %bb.17:                               ;   in Loop: Header=BB83_3 Depth=1
	v_lshlrev_b64 v[8:9], 4, v[10:11]
	v_mov_b32_e32 v5, s5
	v_add_co_u32_e32 v8, vcc, s4, v8
	v_addc_co_u32_e32 v9, vcc, v5, v9, vcc
	global_store_dwordx4 v[8:9], v[0:3], off
	s_branch .LBB83_2
.LBB83_18:                              ;   in Loop: Header=BB83_19 Depth=2
	s_or_b64 exec, exec, s[0:1]
	v_mad_u64_u32 v[18:19], s[0:1], v2, s42, 0
	v_mul_lo_u32 v5, v3, s42
	v_mul_lo_u32 v17, v2, s43
	s_load_dwordx2 s[0:1], s[38:39], 0xc8
	s_load_dwordx2 s[42:43], s[40:41], 0x0
	s_add_u32 s40, s40, -8
	s_addc_u32 s41, s41, -1
	s_add_u32 s38, s38, -8
	v_add3_u32 v5, v19, v17, v5
	v_sub_co_u32_e32 v0, vcc, v0, v18
	s_addc_u32 s39, s39, -1
	v_subb_co_u32_e32 v1, vcc, v1, v5, vcc
	s_add_u32 s36, s36, -1
	s_waitcnt lgkmcnt(0)
	v_mul_lo_u32 v5, s0, v1
	v_mul_lo_u32 v17, s1, v0
	v_mad_u64_u32 v[12:13], s[0:1], s0, v0, v[12:13]
	v_mad_u64_u32 v[10:11], s[0:1], s42, v0, v[10:11]
	s_addc_u32 s37, s37, -1
	v_add3_u32 v13, v17, v13, v5
	v_mul_lo_u32 v1, s42, v1
	v_mul_lo_u32 v5, s43, v0
	v_cmp_lt_i64_e64 s[0:1], s[36:37], 1
	v_add3_u32 v11, v5, v11, v1
	s_and_b64 vcc, exec, s[0:1]
	v_pk_mov_b32 v[0:1], v[2:3], v[2:3] op_sel:[0,1]
	s_cbranch_vccnz .LBB83_12
.LBB83_19:                              ;   Parent Loop BB83_3 Depth=1
                                        ; =>  This Inner Loop Header: Depth=2
	s_load_dwordx2 s[42:43], s[38:39], 0x0
                                        ; implicit-def: $vgpr2_vgpr3
	s_waitcnt lgkmcnt(0)
	v_or_b32_e32 v5, s43, v1
	v_cmp_ne_u64_e32 vcc, 0, v[4:5]
	s_and_saveexec_b64 s[0:1], vcc
	s_xor_b64 s[44:45], exec, s[0:1]
	s_cbranch_execz .LBB83_21
; %bb.20:                               ;   in Loop: Header=BB83_19 Depth=2
	s_ashr_i32 s46, s43, 31
	s_add_u32 s0, s42, s46
	s_mov_b32 s47, s46
	s_addc_u32 s1, s43, s46
	s_xor_b64 s[48:49], s[0:1], s[46:47]
	v_cvt_f32_u32_e32 v2, s48
	v_cvt_f32_u32_e32 v3, s49
	s_sub_u32 s0, 0, s48
	s_subb_u32 s1, 0, s49
	v_mac_f32_e32 v2, 0x4f800000, v3
	v_rcp_f32_e32 v2, v2
	v_mul_f32_e32 v2, 0x5f7ffffc, v2
	v_mul_f32_e32 v3, 0x2f800000, v2
	v_trunc_f32_e32 v3, v3
	v_mac_f32_e32 v2, 0xcf800000, v3
	v_cvt_u32_f32_e32 v3, v3
	v_cvt_u32_f32_e32 v2, v2
	v_mul_lo_u32 v5, s0, v3
	v_mul_hi_u32 v18, s0, v2
	v_mul_lo_u32 v17, s1, v2
	v_add_u32_e32 v5, v18, v5
	v_mul_lo_u32 v19, s0, v2
	v_add_u32_e32 v5, v5, v17
	v_mul_lo_u32 v18, v2, v5
	v_mul_hi_u32 v20, v2, v19
	v_mul_hi_u32 v17, v2, v5
	v_add_co_u32_e32 v18, vcc, v20, v18
	v_addc_co_u32_e32 v17, vcc, 0, v17, vcc
	v_mul_hi_u32 v21, v3, v19
	v_mul_lo_u32 v19, v3, v19
	v_add_co_u32_e32 v18, vcc, v18, v19
	v_mul_hi_u32 v20, v3, v5
	v_addc_co_u32_e32 v17, vcc, v17, v21, vcc
	v_addc_co_u32_e32 v18, vcc, 0, v20, vcc
	v_mul_lo_u32 v5, v3, v5
	v_add_co_u32_e32 v5, vcc, v17, v5
	v_addc_co_u32_e32 v17, vcc, 0, v18, vcc
	v_add_co_u32_e32 v2, vcc, v2, v5
	v_addc_co_u32_e32 v3, vcc, v3, v17, vcc
	v_mul_lo_u32 v5, s0, v3
	v_mul_hi_u32 v17, s0, v2
	v_add_u32_e32 v5, v17, v5
	v_mul_lo_u32 v17, s1, v2
	v_add_u32_e32 v5, v5, v17
	v_mul_lo_u32 v18, s0, v2
	v_mul_hi_u32 v19, v3, v18
	v_mul_lo_u32 v20, v3, v18
	v_mul_lo_u32 v22, v2, v5
	v_mul_hi_u32 v18, v2, v18
	v_mul_hi_u32 v21, v2, v5
	v_add_co_u32_e32 v18, vcc, v18, v22
	v_addc_co_u32_e32 v21, vcc, 0, v21, vcc
	v_add_co_u32_e32 v18, vcc, v18, v20
	v_mul_hi_u32 v17, v3, v5
	v_addc_co_u32_e32 v18, vcc, v21, v19, vcc
	v_addc_co_u32_e32 v17, vcc, 0, v17, vcc
	v_mul_lo_u32 v5, v3, v5
	v_add_co_u32_e32 v5, vcc, v18, v5
	v_addc_co_u32_e32 v17, vcc, 0, v17, vcc
	v_add_co_u32_e32 v5, vcc, v2, v5
	v_addc_co_u32_e32 v17, vcc, v3, v17, vcc
	v_ashrrev_i32_e32 v20, 31, v1
	v_add_co_u32_e32 v2, vcc, v0, v20
	v_addc_co_u32_e32 v3, vcc, v1, v20, vcc
	v_xor_b32_e32 v22, v2, v20
	v_xor_b32_e32 v21, v3, v20
	v_mad_u64_u32 v[2:3], s[0:1], v22, v17, 0
	v_mul_hi_u32 v18, v22, v5
	v_add_co_u32_e32 v23, vcc, v18, v2
	v_addc_co_u32_e32 v24, vcc, 0, v3, vcc
	v_mad_u64_u32 v[18:19], s[0:1], v21, v5, 0
	v_add_co_u32_e32 v5, vcc, v23, v18
	v_mad_u64_u32 v[2:3], s[0:1], v21, v17, 0
	v_addc_co_u32_e32 v5, vcc, v24, v19, vcc
	v_addc_co_u32_e32 v3, vcc, 0, v3, vcc
	v_add_co_u32_e32 v5, vcc, v5, v2
	v_addc_co_u32_e32 v17, vcc, 0, v3, vcc
	v_mul_lo_u32 v18, s49, v5
	v_mul_lo_u32 v19, s48, v17
	v_mad_u64_u32 v[2:3], s[0:1], s48, v5, 0
	v_add3_u32 v3, v3, v19, v18
	v_sub_u32_e32 v18, v21, v3
	v_mov_b32_e32 v19, s49
	v_sub_co_u32_e32 v2, vcc, v22, v2
	v_subb_co_u32_e64 v18, s[0:1], v18, v19, vcc
	v_subrev_co_u32_e64 v19, s[0:1], s48, v2
	v_subbrev_co_u32_e64 v18, s[0:1], 0, v18, s[0:1]
	v_cmp_le_u32_e64 s[0:1], s49, v18
	v_cndmask_b32_e64 v22, 0, -1, s[0:1]
	v_cmp_le_u32_e64 s[0:1], s48, v19
	v_cndmask_b32_e64 v19, 0, -1, s[0:1]
	v_cmp_eq_u32_e64 s[0:1], s49, v18
	v_cndmask_b32_e64 v18, v22, v19, s[0:1]
	v_add_co_u32_e64 v19, s[0:1], 2, v5
	v_subb_co_u32_e32 v3, vcc, v21, v3, vcc
	v_addc_co_u32_e64 v22, s[0:1], 0, v17, s[0:1]
	v_cmp_le_u32_e32 vcc, s49, v3
	v_add_co_u32_e64 v23, s[0:1], 1, v5
	v_cndmask_b32_e64 v21, 0, -1, vcc
	v_cmp_le_u32_e32 vcc, s48, v2
	v_addc_co_u32_e64 v24, s[0:1], 0, v17, s[0:1]
	v_cndmask_b32_e64 v2, 0, -1, vcc
	v_cmp_eq_u32_e32 vcc, s49, v3
	v_cmp_ne_u32_e64 s[0:1], 0, v18
	v_cndmask_b32_e32 v2, v21, v2, vcc
	v_cndmask_b32_e64 v18, v24, v22, s[0:1]
	v_cmp_ne_u32_e32 vcc, 0, v2
	v_cndmask_b32_e64 v3, v23, v19, s[0:1]
	v_cndmask_b32_e32 v2, v17, v18, vcc
	v_cndmask_b32_e32 v3, v5, v3, vcc
	v_xor_b32_e32 v5, s46, v20
	v_xor_b32_e32 v17, v2, v5
	;; [unrolled: 1-line block ×3, first 2 shown]
	v_sub_co_u32_e32 v2, vcc, v2, v5
	v_subb_co_u32_e32 v3, vcc, v17, v5, vcc
.LBB83_21:                              ;   in Loop: Header=BB83_19 Depth=2
	s_andn2_saveexec_b64 s[0:1], s[44:45]
	s_cbranch_execz .LBB83_18
; %bb.22:                               ;   in Loop: Header=BB83_19 Depth=2
	v_cvt_f32_u32_e32 v2, s42
	s_sub_i32 s44, 0, s42
	v_rcp_iflag_f32_e32 v2, v2
	v_mul_f32_e32 v2, 0x4f7ffffe, v2
	v_cvt_u32_f32_e32 v2, v2
	v_mul_lo_u32 v3, s44, v2
	v_mul_hi_u32 v3, v2, v3
	v_add_u32_e32 v2, v2, v3
	v_mul_hi_u32 v2, v0, v2
	v_mul_lo_u32 v3, v2, s42
	v_sub_u32_e32 v3, v0, v3
	v_add_u32_e32 v5, 1, v2
	v_subrev_u32_e32 v17, s42, v3
	v_cmp_le_u32_e32 vcc, s42, v3
	v_cndmask_b32_e32 v3, v3, v17, vcc
	v_cndmask_b32_e32 v2, v2, v5, vcc
	v_add_u32_e32 v5, 1, v2
	v_cmp_le_u32_e32 vcc, s42, v3
	v_cndmask_b32_e32 v2, v2, v5, vcc
	v_mov_b32_e32 v3, v4
	s_branch .LBB83_18
.LBB83_23:
	s_endpgm
	.section	.rodata,"a",@progbits
	.p2align	6, 0x0
	.amdhsa_kernel _ZN2at6native16triu_tril_kernelIN3c107complexIdEElLb1ELi1ELb0EEEvNS_4cuda6detail10TensorInfoIT_T0_EENS7_IKS8_S9_EEllS9_
		.amdhsa_group_segment_fixed_size 0
		.amdhsa_private_segment_fixed_size 0
		.amdhsa_kernarg_size 1112
		.amdhsa_user_sgpr_count 6
		.amdhsa_user_sgpr_private_segment_buffer 1
		.amdhsa_user_sgpr_dispatch_ptr 0
		.amdhsa_user_sgpr_queue_ptr 0
		.amdhsa_user_sgpr_kernarg_segment_ptr 1
		.amdhsa_user_sgpr_dispatch_id 0
		.amdhsa_user_sgpr_flat_scratch_init 0
		.amdhsa_user_sgpr_kernarg_preload_length 0
		.amdhsa_user_sgpr_kernarg_preload_offset 0
		.amdhsa_user_sgpr_private_segment_size 0
		.amdhsa_uses_dynamic_stack 0
		.amdhsa_system_sgpr_private_segment_wavefront_offset 0
		.amdhsa_system_sgpr_workgroup_id_x 1
		.amdhsa_system_sgpr_workgroup_id_y 0
		.amdhsa_system_sgpr_workgroup_id_z 0
		.amdhsa_system_sgpr_workgroup_info 0
		.amdhsa_system_vgpr_workitem_id 0
		.amdhsa_next_free_vgpr 25
		.amdhsa_next_free_sgpr 51
		.amdhsa_accum_offset 28
		.amdhsa_reserve_vcc 1
		.amdhsa_reserve_flat_scratch 0
		.amdhsa_float_round_mode_32 0
		.amdhsa_float_round_mode_16_64 0
		.amdhsa_float_denorm_mode_32 3
		.amdhsa_float_denorm_mode_16_64 3
		.amdhsa_dx10_clamp 1
		.amdhsa_ieee_mode 1
		.amdhsa_fp16_overflow 0
		.amdhsa_tg_split 0
		.amdhsa_exception_fp_ieee_invalid_op 0
		.amdhsa_exception_fp_denorm_src 0
		.amdhsa_exception_fp_ieee_div_zero 0
		.amdhsa_exception_fp_ieee_overflow 0
		.amdhsa_exception_fp_ieee_underflow 0
		.amdhsa_exception_fp_ieee_inexact 0
		.amdhsa_exception_int_div_zero 0
	.end_amdhsa_kernel
	.section	.text._ZN2at6native16triu_tril_kernelIN3c107complexIdEElLb1ELi1ELb0EEEvNS_4cuda6detail10TensorInfoIT_T0_EENS7_IKS8_S9_EEllS9_,"axG",@progbits,_ZN2at6native16triu_tril_kernelIN3c107complexIdEElLb1ELi1ELb0EEEvNS_4cuda6detail10TensorInfoIT_T0_EENS7_IKS8_S9_EEllS9_,comdat
.Lfunc_end83:
	.size	_ZN2at6native16triu_tril_kernelIN3c107complexIdEElLb1ELi1ELb0EEEvNS_4cuda6detail10TensorInfoIT_T0_EENS7_IKS8_S9_EEllS9_, .Lfunc_end83-_ZN2at6native16triu_tril_kernelIN3c107complexIdEElLb1ELi1ELb0EEEvNS_4cuda6detail10TensorInfoIT_T0_EENS7_IKS8_S9_EEllS9_
                                        ; -- End function
	.section	.AMDGPU.csdata,"",@progbits
; Kernel info:
; codeLenInByte = 3324
; NumSgprs: 55
; NumVgprs: 25
; NumAgprs: 0
; TotalNumVgprs: 25
; ScratchSize: 0
; MemoryBound: 1
; FloatMode: 240
; IeeeMode: 1
; LDSByteSize: 0 bytes/workgroup (compile time only)
; SGPRBlocks: 6
; VGPRBlocks: 3
; NumSGPRsForWavesPerEU: 55
; NumVGPRsForWavesPerEU: 25
; AccumOffset: 28
; Occupancy: 8
; WaveLimiterHint : 0
; COMPUTE_PGM_RSRC2:SCRATCH_EN: 0
; COMPUTE_PGM_RSRC2:USER_SGPR: 6
; COMPUTE_PGM_RSRC2:TRAP_HANDLER: 0
; COMPUTE_PGM_RSRC2:TGID_X_EN: 1
; COMPUTE_PGM_RSRC2:TGID_Y_EN: 0
; COMPUTE_PGM_RSRC2:TGID_Z_EN: 0
; COMPUTE_PGM_RSRC2:TIDIG_COMP_CNT: 0
; COMPUTE_PGM_RSRC3_GFX90A:ACCUM_OFFSET: 6
; COMPUTE_PGM_RSRC3_GFX90A:TG_SPLIT: 0
	.section	.text._ZN2at6native16triu_tril_kernelIN3c107complexIfEEiLb1ELi2ELb1EEEvNS_4cuda6detail10TensorInfoIT_T0_EENS7_IKS8_S9_EEllS9_,"axG",@progbits,_ZN2at6native16triu_tril_kernelIN3c107complexIfEEiLb1ELi2ELb1EEEvNS_4cuda6detail10TensorInfoIT_T0_EENS7_IKS8_S9_EEllS9_,comdat
	.protected	_ZN2at6native16triu_tril_kernelIN3c107complexIfEEiLb1ELi2ELb1EEEvNS_4cuda6detail10TensorInfoIT_T0_EENS7_IKS8_S9_EEllS9_ ; -- Begin function _ZN2at6native16triu_tril_kernelIN3c107complexIfEEiLb1ELi2ELb1EEEvNS_4cuda6detail10TensorInfoIT_T0_EENS7_IKS8_S9_EEllS9_
	.globl	_ZN2at6native16triu_tril_kernelIN3c107complexIfEEiLb1ELi2ELb1EEEvNS_4cuda6detail10TensorInfoIT_T0_EENS7_IKS8_S9_EEllS9_
	.p2align	8
	.type	_ZN2at6native16triu_tril_kernelIN3c107complexIfEEiLb1ELi2ELb1EEEvNS_4cuda6detail10TensorInfoIT_T0_EENS7_IKS8_S9_EEllS9_,@function
_ZN2at6native16triu_tril_kernelIN3c107complexIfEEiLb1ELi2ELb1EEEvNS_4cuda6detail10TensorInfoIT_T0_EENS7_IKS8_S9_EEllS9_: ; @_ZN2at6native16triu_tril_kernelIN3c107complexIfEEiLb1ELi2ELb1EEEvNS_4cuda6detail10TensorInfoIT_T0_EENS7_IKS8_S9_EEllS9_
; %bb.0:
	s_load_dword s2, s[4:5], 0x1d4
	s_load_dwordx4 s[8:11], s[4:5], 0x1b0
	s_add_u32 s0, s4, 0x1c8
	v_mov_b32_e32 v2, 0
	s_addc_u32 s1, s5, 0
	s_waitcnt lgkmcnt(0)
	s_and_b32 s7, s2, 0xffff
	v_mov_b32_e32 v1, v2
	v_mov_b32_e32 v3, s6
	v_mad_u64_u32 v[0:1], s[2:3], s7, v3, v[0:1]
	v_lshlrev_b64 v[0:1], 1, v[0:1]
	v_cmp_gt_i64_e32 vcc, s[10:11], v[0:1]
	s_and_saveexec_b64 s[2:3], vcc
	s_cbranch_execz .LBB84_61
; %bb.1:
	s_load_dword s33, s[4:5], 0x1c0
	s_load_dword s16, s[4:5], 0x1a8
	;; [unrolled: 1-line block ×3, first 2 shown]
	s_load_dwordx2 s[2:3], s[4:5], 0x0
	s_mov_b64 s[22:23], 0
	s_waitcnt lgkmcnt(0)
	s_ashr_i32 s38, s33, 31
	s_ashr_i32 s17, s16, 31
	s_add_u32 s39, s4, 0xe0
	s_addc_u32 s40, s5, 0
	s_lshl_b64 s[0:1], s[16:17], 2
	s_add_u32 s14, s0, -8
	s_addc_u32 s15, s1, -1
	s_add_u32 s12, s39, s14
	s_addc_u32 s13, s40, s15
	s_load_dword s41, s[12:13], 0x0
	v_cvt_f32_u32_e32 v3, s33
	s_mul_i32 s18, s6, s7
	v_cmp_gt_i64_e64 s[6:7], s[16:17], 2
	s_mov_b32 s17, 0
	s_waitcnt lgkmcnt(0)
	s_ashr_i32 s42, s41, 31
	s_add_u32 s0, s0, -4
	s_addc_u32 s1, s1, -1
	s_add_u32 s43, s4, 0x6c
	s_addc_u32 s44, s5, 0
	s_add_u32 s4, s43, s0
	s_addc_u32 s5, s44, s1
	v_rcp_iflag_f32_e32 v3, v3
	s_add_u32 s12, s43, s14
	s_addc_u32 s13, s44, s15
	s_add_i32 s45, s16, -3
	s_add_u32 s14, s39, s0
	s_addc_u32 s15, s40, s1
	s_add_i32 s0, s16, 6
	v_mul_f32_e32 v3, 0x4f7ffffe, v3
	s_lshl_b32 s46, s18, 1
	s_and_b32 s48, s0, 7
	v_cvt_u32_f32_e32 v24, v3
	s_cmp_lg_u32 s48, 0
	s_cselect_b64 s[18:19], -1, 0
	s_cmp_gt_u32 s45, 6
	s_mov_b32 s47, s17
	s_cselect_b64 s[20:21], -1, 0
	s_branch .LBB84_3
.LBB84_2:                               ;   in Loop: Header=BB84_3 Depth=1
	s_or_b64 exec, exec, s[24:25]
	v_mov_b32_e32 v3, s47
	v_add_co_u32_e32 v0, vcc, s46, v0
	v_addc_co_u32_e32 v1, vcc, v1, v3, vcc
	v_cmp_le_i64_e32 vcc, s[10:11], v[0:1]
	s_or_b64 s[22:23], vcc, s[22:23]
	s_andn2_b64 exec, exec, s[22:23]
	s_cbranch_execz .LBB84_61
.LBB84_3:                               ; =>This Loop Header: Depth=1
                                        ;     Child Loop BB84_16 Depth 2
                                        ;     Child Loop BB84_23 Depth 2
	v_or_b32_e32 v3, s38, v1
	v_cmp_ne_u64_e32 vcc, 0, v[2:3]
                                        ; implicit-def: $vgpr4_vgpr5
	s_and_saveexec_b64 s[0:1], vcc
	s_xor_b64 s[24:25], exec, s[0:1]
	s_cbranch_execz .LBB84_5
; %bb.4:                                ;   in Loop: Header=BB84_3 Depth=1
	s_add_u32 s0, s33, s38
	s_mov_b32 s26, s38
	s_mov_b32 s27, s38
	s_addc_u32 s1, s38, s38
	s_xor_b64 s[28:29], s[0:1], s[26:27]
	v_cvt_f32_u32_e32 v3, s28
	v_cvt_f32_u32_e32 v4, s29
	s_sub_u32 s0, 0, s28
	s_subb_u32 s1, 0, s29
	v_mac_f32_e32 v3, 0x4f800000, v4
	v_rcp_f32_e32 v3, v3
	v_mul_f32_e32 v3, 0x5f7ffffc, v3
	v_mul_f32_e32 v4, 0x2f800000, v3
	v_trunc_f32_e32 v4, v4
	v_mac_f32_e32 v3, 0xcf800000, v4
	v_cvt_u32_f32_e32 v4, v4
	v_cvt_u32_f32_e32 v3, v3
	v_mul_lo_u32 v5, s0, v4
	v_mul_hi_u32 v7, s0, v3
	v_mul_lo_u32 v6, s1, v3
	v_add_u32_e32 v5, v7, v5
	v_mul_lo_u32 v8, s0, v3
	v_add_u32_e32 v5, v5, v6
	v_mul_lo_u32 v7, v3, v5
	v_mul_hi_u32 v9, v3, v8
	v_mul_hi_u32 v6, v3, v5
	v_add_co_u32_e32 v7, vcc, v9, v7
	v_addc_co_u32_e32 v6, vcc, 0, v6, vcc
	v_mul_hi_u32 v10, v4, v8
	v_mul_lo_u32 v8, v4, v8
	v_add_co_u32_e32 v7, vcc, v7, v8
	v_mul_hi_u32 v9, v4, v5
	v_addc_co_u32_e32 v6, vcc, v6, v10, vcc
	v_addc_co_u32_e32 v7, vcc, 0, v9, vcc
	v_mul_lo_u32 v5, v4, v5
	v_add_co_u32_e32 v5, vcc, v6, v5
	v_addc_co_u32_e32 v6, vcc, 0, v7, vcc
	v_add_co_u32_e32 v3, vcc, v3, v5
	v_addc_co_u32_e32 v4, vcc, v4, v6, vcc
	v_mul_lo_u32 v5, s0, v4
	v_mul_hi_u32 v6, s0, v3
	v_add_u32_e32 v5, v6, v5
	v_mul_lo_u32 v6, s1, v3
	v_add_u32_e32 v5, v5, v6
	v_mul_lo_u32 v7, s0, v3
	v_mul_hi_u32 v8, v4, v7
	v_mul_lo_u32 v9, v4, v7
	v_mul_lo_u32 v11, v3, v5
	v_mul_hi_u32 v7, v3, v7
	v_mul_hi_u32 v10, v3, v5
	v_add_co_u32_e32 v7, vcc, v7, v11
	v_addc_co_u32_e32 v10, vcc, 0, v10, vcc
	v_add_co_u32_e32 v7, vcc, v7, v9
	v_mul_hi_u32 v6, v4, v5
	v_addc_co_u32_e32 v7, vcc, v10, v8, vcc
	v_addc_co_u32_e32 v6, vcc, 0, v6, vcc
	v_mul_lo_u32 v5, v4, v5
	v_add_co_u32_e32 v5, vcc, v7, v5
	v_addc_co_u32_e32 v6, vcc, 0, v6, vcc
	v_add_co_u32_e32 v3, vcc, v3, v5
	v_addc_co_u32_e32 v6, vcc, v4, v6, vcc
	v_ashrrev_i32_e32 v8, 31, v1
	v_add_co_u32_e32 v4, vcc, v0, v8
	v_addc_co_u32_e32 v5, vcc, v1, v8, vcc
	v_xor_b32_e32 v10, v4, v8
	v_xor_b32_e32 v9, v5, v8
	v_mad_u64_u32 v[4:5], s[0:1], v10, v6, 0
	v_mul_hi_u32 v7, v10, v3
	v_add_co_u32_e32 v11, vcc, v7, v4
	v_addc_co_u32_e32 v12, vcc, 0, v5, vcc
	v_mad_u64_u32 v[4:5], s[0:1], v9, v6, 0
	v_mad_u64_u32 v[6:7], s[0:1], v9, v3, 0
	v_add_co_u32_e32 v3, vcc, v11, v6
	v_addc_co_u32_e32 v3, vcc, v12, v7, vcc
	v_addc_co_u32_e32 v5, vcc, 0, v5, vcc
	v_add_co_u32_e32 v3, vcc, v3, v4
	v_addc_co_u32_e32 v6, vcc, 0, v5, vcc
	v_mul_lo_u32 v7, s29, v3
	v_mul_lo_u32 v11, s28, v6
	v_mad_u64_u32 v[4:5], s[0:1], s28, v3, 0
	v_add3_u32 v5, v5, v11, v7
	v_sub_u32_e32 v7, v9, v5
	v_mov_b32_e32 v11, s29
	v_sub_co_u32_e32 v4, vcc, v10, v4
	v_subb_co_u32_e64 v7, s[0:1], v7, v11, vcc
	v_subrev_co_u32_e64 v10, s[0:1], s28, v4
	v_subbrev_co_u32_e64 v7, s[0:1], 0, v7, s[0:1]
	v_cmp_le_u32_e64 s[0:1], s29, v7
	v_cndmask_b32_e64 v11, 0, -1, s[0:1]
	v_cmp_le_u32_e64 s[0:1], s28, v10
	v_cndmask_b32_e64 v10, 0, -1, s[0:1]
	v_cmp_eq_u32_e64 s[0:1], s29, v7
	v_cndmask_b32_e64 v7, v11, v10, s[0:1]
	v_add_co_u32_e64 v10, s[0:1], 2, v3
	v_subb_co_u32_e32 v5, vcc, v9, v5, vcc
	v_addc_co_u32_e64 v11, s[0:1], 0, v6, s[0:1]
	v_cmp_le_u32_e32 vcc, s29, v5
	v_add_co_u32_e64 v12, s[0:1], 1, v3
	v_cndmask_b32_e64 v9, 0, -1, vcc
	v_cmp_le_u32_e32 vcc, s28, v4
	v_addc_co_u32_e64 v13, s[0:1], 0, v6, s[0:1]
	v_cndmask_b32_e64 v4, 0, -1, vcc
	v_cmp_eq_u32_e32 vcc, s29, v5
	v_cmp_ne_u32_e64 s[0:1], 0, v7
	v_cndmask_b32_e32 v4, v9, v4, vcc
	v_cndmask_b32_e64 v7, v13, v11, s[0:1]
	v_cmp_ne_u32_e32 vcc, 0, v4
	v_cndmask_b32_e64 v5, v12, v10, s[0:1]
	v_cndmask_b32_e32 v4, v6, v7, vcc
	v_cndmask_b32_e32 v3, v3, v5, vcc
	v_xor_b32_e32 v6, s26, v8
	v_xor_b32_e32 v5, s27, v8
	;; [unrolled: 1-line block ×4, first 2 shown]
	v_sub_co_u32_e32 v4, vcc, v3, v6
	v_subb_co_u32_e32 v5, vcc, v7, v5, vcc
.LBB84_5:                               ;   in Loop: Header=BB84_3 Depth=1
	s_andn2_saveexec_b64 s[0:1], s[24:25]
	s_cbranch_execz .LBB84_7
; %bb.6:                                ;   in Loop: Header=BB84_3 Depth=1
	s_sub_i32 s16, 0, s33
	v_mul_lo_u32 v3, s16, v24
	v_mul_hi_u32 v3, v24, v3
	v_add_u32_e32 v3, v24, v3
	v_mul_hi_u32 v3, v0, v3
	v_mul_lo_u32 v4, v3, s33
	v_sub_u32_e32 v4, v0, v4
	v_subrev_u32_e32 v5, s33, v4
	v_cmp_le_u32_e32 vcc, s33, v4
	v_cndmask_b32_e32 v4, v4, v5, vcc
	v_add_u32_e32 v5, 1, v3
	v_cndmask_b32_e32 v3, v3, v5, vcc
	v_add_u32_e32 v5, 1, v3
	v_cmp_le_u32_e32 vcc, s33, v4
	v_cndmask_b32_e32 v4, v3, v5, vcc
	v_mov_b32_e32 v5, v2
.LBB84_7:                               ;   in Loop: Header=BB84_3 Depth=1
	s_or_b64 exec, exec, s[0:1]
	v_or_b32_e32 v3, s42, v5
	v_cmp_ne_u64_e32 vcc, 0, v[2:3]
                                        ; implicit-def: $vgpr6_vgpr7
	s_and_saveexec_b64 s[0:1], vcc
	s_xor_b64 s[24:25], exec, s[0:1]
	s_cbranch_execz .LBB84_9
; %bb.8:                                ;   in Loop: Header=BB84_3 Depth=1
	s_add_u32 s0, s41, s42
	s_mov_b32 s26, s42
	s_mov_b32 s27, s42
	s_addc_u32 s1, s42, s42
	s_xor_b64 s[28:29], s[0:1], s[26:27]
	v_cvt_f32_u32_e32 v3, s28
	v_cvt_f32_u32_e32 v6, s29
	s_sub_u32 s0, 0, s28
	s_subb_u32 s1, 0, s29
	v_mac_f32_e32 v3, 0x4f800000, v6
	v_rcp_f32_e32 v3, v3
	v_mul_f32_e32 v3, 0x5f7ffffc, v3
	v_mul_f32_e32 v6, 0x2f800000, v3
	v_trunc_f32_e32 v6, v6
	v_mac_f32_e32 v3, 0xcf800000, v6
	v_cvt_u32_f32_e32 v6, v6
	v_cvt_u32_f32_e32 v3, v3
	v_mul_lo_u32 v7, s0, v6
	v_mul_hi_u32 v9, s0, v3
	v_mul_lo_u32 v8, s1, v3
	v_add_u32_e32 v7, v9, v7
	v_mul_lo_u32 v10, s0, v3
	v_add_u32_e32 v7, v7, v8
	v_mul_lo_u32 v9, v3, v7
	v_mul_hi_u32 v11, v3, v10
	v_mul_hi_u32 v8, v3, v7
	v_add_co_u32_e32 v9, vcc, v11, v9
	v_addc_co_u32_e32 v8, vcc, 0, v8, vcc
	v_mul_hi_u32 v12, v6, v10
	v_mul_lo_u32 v10, v6, v10
	v_add_co_u32_e32 v9, vcc, v9, v10
	v_mul_hi_u32 v11, v6, v7
	v_addc_co_u32_e32 v8, vcc, v8, v12, vcc
	v_addc_co_u32_e32 v9, vcc, 0, v11, vcc
	v_mul_lo_u32 v7, v6, v7
	v_add_co_u32_e32 v7, vcc, v8, v7
	v_addc_co_u32_e32 v8, vcc, 0, v9, vcc
	v_add_co_u32_e32 v3, vcc, v3, v7
	v_addc_co_u32_e32 v6, vcc, v6, v8, vcc
	v_mul_lo_u32 v7, s0, v6
	v_mul_hi_u32 v8, s0, v3
	v_add_u32_e32 v7, v8, v7
	v_mul_lo_u32 v8, s1, v3
	v_add_u32_e32 v7, v7, v8
	v_mul_lo_u32 v9, s0, v3
	v_mul_hi_u32 v10, v6, v9
	v_mul_lo_u32 v11, v6, v9
	v_mul_lo_u32 v13, v3, v7
	v_mul_hi_u32 v9, v3, v9
	v_mul_hi_u32 v12, v3, v7
	v_add_co_u32_e32 v9, vcc, v9, v13
	v_addc_co_u32_e32 v12, vcc, 0, v12, vcc
	v_add_co_u32_e32 v9, vcc, v9, v11
	v_mul_hi_u32 v8, v6, v7
	v_addc_co_u32_e32 v9, vcc, v12, v10, vcc
	v_addc_co_u32_e32 v8, vcc, 0, v8, vcc
	v_mul_lo_u32 v7, v6, v7
	v_add_co_u32_e32 v7, vcc, v9, v7
	v_addc_co_u32_e32 v8, vcc, 0, v8, vcc
	v_add_co_u32_e32 v3, vcc, v3, v7
	v_addc_co_u32_e32 v8, vcc, v6, v8, vcc
	v_ashrrev_i32_e32 v10, 31, v5
	v_add_co_u32_e32 v6, vcc, v4, v10
	v_xor_b32_e32 v11, v6, v10
	v_addc_co_u32_e32 v5, vcc, v5, v10, vcc
	v_mad_u64_u32 v[6:7], s[0:1], v11, v8, 0
	v_mul_hi_u32 v9, v11, v3
	v_xor_b32_e32 v5, v5, v10
	v_add_co_u32_e32 v12, vcc, v9, v6
	v_addc_co_u32_e32 v13, vcc, 0, v7, vcc
	v_mad_u64_u32 v[6:7], s[0:1], v5, v8, 0
	v_mad_u64_u32 v[8:9], s[0:1], v5, v3, 0
	v_add_co_u32_e32 v3, vcc, v12, v8
	v_addc_co_u32_e32 v3, vcc, v13, v9, vcc
	v_addc_co_u32_e32 v7, vcc, 0, v7, vcc
	v_add_co_u32_e32 v3, vcc, v3, v6
	v_addc_co_u32_e32 v8, vcc, 0, v7, vcc
	v_mul_lo_u32 v9, s29, v3
	v_mul_lo_u32 v12, s28, v8
	v_mad_u64_u32 v[6:7], s[0:1], s28, v3, 0
	v_add3_u32 v7, v7, v12, v9
	v_sub_u32_e32 v9, v5, v7
	v_mov_b32_e32 v12, s29
	v_sub_co_u32_e32 v6, vcc, v11, v6
	v_subb_co_u32_e64 v9, s[0:1], v9, v12, vcc
	v_subrev_co_u32_e64 v11, s[0:1], s28, v6
	v_subbrev_co_u32_e64 v9, s[0:1], 0, v9, s[0:1]
	v_cmp_le_u32_e64 s[0:1], s29, v9
	v_cndmask_b32_e64 v12, 0, -1, s[0:1]
	v_cmp_le_u32_e64 s[0:1], s28, v11
	v_cndmask_b32_e64 v11, 0, -1, s[0:1]
	v_cmp_eq_u32_e64 s[0:1], s29, v9
	v_cndmask_b32_e64 v9, v12, v11, s[0:1]
	v_add_co_u32_e64 v11, s[0:1], 2, v3
	v_subb_co_u32_e32 v5, vcc, v5, v7, vcc
	v_addc_co_u32_e64 v12, s[0:1], 0, v8, s[0:1]
	v_cmp_le_u32_e32 vcc, s29, v5
	v_add_co_u32_e64 v13, s[0:1], 1, v3
	v_cndmask_b32_e64 v7, 0, -1, vcc
	v_cmp_le_u32_e32 vcc, s28, v6
	v_addc_co_u32_e64 v14, s[0:1], 0, v8, s[0:1]
	v_cndmask_b32_e64 v6, 0, -1, vcc
	v_cmp_eq_u32_e32 vcc, s29, v5
	v_cmp_ne_u32_e64 s[0:1], 0, v9
	v_cndmask_b32_e32 v5, v7, v6, vcc
	v_cmp_ne_u32_e32 vcc, 0, v5
	v_cndmask_b32_e64 v6, v13, v11, s[0:1]
	v_cndmask_b32_e64 v9, v14, v12, s[0:1]
	v_cndmask_b32_e32 v3, v3, v6, vcc
	v_xor_b32_e32 v6, s26, v10
	v_cndmask_b32_e32 v5, v8, v9, vcc
	v_xor_b32_e32 v7, s27, v10
	v_xor_b32_e32 v3, v3, v6
	;; [unrolled: 1-line block ×3, first 2 shown]
	v_sub_co_u32_e32 v6, vcc, v3, v6
	v_subb_co_u32_e32 v7, vcc, v5, v7, vcc
.LBB84_9:                               ;   in Loop: Header=BB84_3 Depth=1
	s_andn2_saveexec_b64 s[0:1], s[24:25]
	s_cbranch_execz .LBB84_11
; %bb.10:                               ;   in Loop: Header=BB84_3 Depth=1
	v_cvt_f32_u32_e32 v3, s41
	s_sub_i32 s16, 0, s41
	v_rcp_iflag_f32_e32 v3, v3
	v_mul_f32_e32 v3, 0x4f7ffffe, v3
	v_cvt_u32_f32_e32 v3, v3
	v_mul_lo_u32 v5, s16, v3
	v_mul_hi_u32 v5, v3, v5
	v_add_u32_e32 v3, v3, v5
	v_mul_hi_u32 v3, v4, v3
	v_mul_lo_u32 v5, v3, s41
	v_sub_u32_e32 v5, v4, v5
	v_add_u32_e32 v6, 1, v3
	v_subrev_u32_e32 v7, s41, v5
	v_cmp_le_u32_e32 vcc, s41, v5
	v_cndmask_b32_e32 v5, v5, v7, vcc
	v_cndmask_b32_e32 v3, v3, v6, vcc
	v_add_u32_e32 v6, 1, v3
	v_cmp_le_u32_e32 vcc, s41, v5
	v_cndmask_b32_e32 v6, v3, v6, vcc
	v_mov_b32_e32 v7, v2
.LBB84_11:                              ;   in Loop: Header=BB84_3 Depth=1
	s_or_b64 exec, exec, s[0:1]
	v_mad_u64_u32 v[8:9], s[0:1], v4, s33, 0
	v_sub_co_u32_e32 v26, vcc, v0, v8
	v_mad_u64_u32 v[8:9], s[0:1], v6, s41, 0
	v_sub_co_u32_e32 v25, vcc, v4, v8
	v_sub_u32_e32 v4, v26, v25
	v_ashrrev_i32_e32 v5, 31, v4
	v_cmp_gt_i64_e32 vcc, s[8:9], v[4:5]
	s_and_saveexec_b64 s[24:25], vcc
	s_cbranch_execz .LBB84_2
; %bb.12:                               ;   in Loop: Header=BB84_3 Depth=1
	s_load_dword s49, s[4:5], 0x0
	s_load_dword s0, s[12:13], 0x0
	s_andn2_b64 vcc, exec, s[6:7]
	s_waitcnt lgkmcnt(0)
	v_mul_lo_u32 v4, s49, v26
	v_mad_u64_u32 v[4:5], s[0:1], s0, v25, v[4:5]
	s_cbranch_vccnz .LBB84_57
; %bb.13:                               ;   in Loop: Header=BB84_3 Depth=1
	s_andn2_b64 vcc, exec, s[18:19]
	s_cbranch_vccnz .LBB84_20
; %bb.14:                               ;   in Loop: Header=BB84_3 Depth=1
	s_mov_b32 s36, s48
	s_mov_b32 s16, s45
	s_branch .LBB84_16
.LBB84_15:                              ;   in Loop: Header=BB84_16 Depth=2
	s_or_b64 exec, exec, s[0:1]
	s_add_u32 s0, s43, s26
	s_addc_u32 s1, s44, s27
	s_load_dword s0, s[0:1], 0x0
	v_mul_lo_u32 v3, v6, s37
	v_sub_u32_e32 v3, v8, v3
	s_add_i32 s16, s16, -1
	s_add_i32 s36, s36, -1
	s_cmp_lg_u32 s36, 0
	s_waitcnt lgkmcnt(0)
	v_mad_u64_u32 v[4:5], s[0:1], s0, v3, v[4:5]
	s_cbranch_scc0 .LBB84_21
.LBB84_16:                              ;   Parent Loop BB84_3 Depth=1
                                        ; =>  This Inner Loop Header: Depth=2
	s_lshl_b64 s[26:27], s[16:17], 2
	s_add_u32 s0, s39, s26
	s_addc_u32 s1, s40, s27
	s_load_dword s37, s[0:1], 0x0
	v_pk_mov_b32 v[8:9], v[6:7], v[6:7] op_sel:[0,1]
                                        ; implicit-def: $vgpr6_vgpr7
	s_waitcnt lgkmcnt(0)
	s_ashr_i32 s0, s37, 31
	v_or_b32_e32 v3, s0, v9
	v_cmp_ne_u64_e32 vcc, 0, v[2:3]
	s_and_saveexec_b64 s[28:29], vcc
	s_xor_b64 s[28:29], exec, s[28:29]
	s_cbranch_execz .LBB84_18
; %bb.17:                               ;   in Loop: Header=BB84_16 Depth=2
	s_add_u32 s34, s37, s0
	s_mov_b32 s30, s0
	s_mov_b32 s31, s0
	s_addc_u32 s35, s0, s0
	s_xor_b64 s[34:35], s[34:35], s[30:31]
	v_cvt_f32_u32_e32 v3, s34
	v_cvt_f32_u32_e32 v5, s35
	s_sub_u32 s0, 0, s34
	s_subb_u32 s1, 0, s35
	v_mac_f32_e32 v3, 0x4f800000, v5
	v_rcp_f32_e32 v3, v3
	v_mul_f32_e32 v3, 0x5f7ffffc, v3
	v_mul_f32_e32 v5, 0x2f800000, v3
	v_trunc_f32_e32 v5, v5
	v_mac_f32_e32 v3, 0xcf800000, v5
	v_cvt_u32_f32_e32 v5, v5
	v_cvt_u32_f32_e32 v3, v3
	v_mul_lo_u32 v6, s0, v5
	v_mul_hi_u32 v10, s0, v3
	v_mul_lo_u32 v7, s1, v3
	v_add_u32_e32 v6, v10, v6
	v_mul_lo_u32 v11, s0, v3
	v_add_u32_e32 v6, v6, v7
	v_mul_lo_u32 v10, v3, v6
	v_mul_hi_u32 v12, v3, v11
	v_mul_hi_u32 v7, v3, v6
	v_add_co_u32_e32 v10, vcc, v12, v10
	v_addc_co_u32_e32 v7, vcc, 0, v7, vcc
	v_mul_hi_u32 v13, v5, v11
	v_mul_lo_u32 v11, v5, v11
	v_add_co_u32_e32 v10, vcc, v10, v11
	v_mul_hi_u32 v12, v5, v6
	v_addc_co_u32_e32 v7, vcc, v7, v13, vcc
	v_addc_co_u32_e32 v10, vcc, 0, v12, vcc
	v_mul_lo_u32 v6, v5, v6
	v_add_co_u32_e32 v6, vcc, v7, v6
	v_addc_co_u32_e32 v7, vcc, 0, v10, vcc
	v_add_co_u32_e32 v3, vcc, v3, v6
	v_addc_co_u32_e32 v5, vcc, v5, v7, vcc
	v_mul_lo_u32 v6, s0, v5
	v_mul_hi_u32 v7, s0, v3
	v_add_u32_e32 v6, v7, v6
	v_mul_lo_u32 v7, s1, v3
	v_add_u32_e32 v6, v6, v7
	v_mul_lo_u32 v10, s0, v3
	v_mul_hi_u32 v11, v5, v10
	v_mul_lo_u32 v12, v5, v10
	v_mul_lo_u32 v14, v3, v6
	v_mul_hi_u32 v10, v3, v10
	v_mul_hi_u32 v13, v3, v6
	v_add_co_u32_e32 v10, vcc, v10, v14
	v_addc_co_u32_e32 v13, vcc, 0, v13, vcc
	v_add_co_u32_e32 v10, vcc, v10, v12
	v_mul_hi_u32 v7, v5, v6
	v_addc_co_u32_e32 v10, vcc, v13, v11, vcc
	v_addc_co_u32_e32 v7, vcc, 0, v7, vcc
	v_mul_lo_u32 v6, v5, v6
	v_add_co_u32_e32 v6, vcc, v10, v6
	v_addc_co_u32_e32 v7, vcc, 0, v7, vcc
	v_add_co_u32_e32 v3, vcc, v3, v6
	v_addc_co_u32_e32 v5, vcc, v5, v7, vcc
	v_ashrrev_i32_e32 v12, 31, v9
	v_add_co_u32_e32 v6, vcc, v8, v12
	v_addc_co_u32_e32 v7, vcc, v9, v12, vcc
	v_xor_b32_e32 v13, v6, v12
	v_xor_b32_e32 v9, v7, v12
	v_mad_u64_u32 v[6:7], s[0:1], v13, v5, 0
	v_mul_hi_u32 v10, v13, v3
	v_add_co_u32_e32 v14, vcc, v10, v6
	v_addc_co_u32_e32 v15, vcc, 0, v7, vcc
	v_mad_u64_u32 v[10:11], s[0:1], v9, v3, 0
	v_add_co_u32_e32 v3, vcc, v14, v10
	v_mad_u64_u32 v[6:7], s[0:1], v9, v5, 0
	v_addc_co_u32_e32 v3, vcc, v15, v11, vcc
	v_addc_co_u32_e32 v5, vcc, 0, v7, vcc
	v_add_co_u32_e32 v3, vcc, v3, v6
	v_addc_co_u32_e32 v5, vcc, 0, v5, vcc
	v_mul_lo_u32 v10, s35, v3
	v_mul_lo_u32 v11, s34, v5
	v_mad_u64_u32 v[6:7], s[0:1], s34, v3, 0
	v_add3_u32 v7, v7, v11, v10
	v_sub_u32_e32 v10, v9, v7
	v_mov_b32_e32 v11, s35
	v_sub_co_u32_e32 v6, vcc, v13, v6
	v_subb_co_u32_e64 v10, s[0:1], v10, v11, vcc
	v_subrev_co_u32_e64 v11, s[0:1], s34, v6
	v_subbrev_co_u32_e64 v10, s[0:1], 0, v10, s[0:1]
	v_cmp_le_u32_e64 s[0:1], s35, v10
	v_cndmask_b32_e64 v13, 0, -1, s[0:1]
	v_cmp_le_u32_e64 s[0:1], s34, v11
	v_cndmask_b32_e64 v11, 0, -1, s[0:1]
	v_cmp_eq_u32_e64 s[0:1], s35, v10
	v_cndmask_b32_e64 v10, v13, v11, s[0:1]
	v_add_co_u32_e64 v11, s[0:1], 2, v3
	v_subb_co_u32_e32 v7, vcc, v9, v7, vcc
	v_addc_co_u32_e64 v13, s[0:1], 0, v5, s[0:1]
	v_cmp_le_u32_e32 vcc, s35, v7
	v_add_co_u32_e64 v14, s[0:1], 1, v3
	v_cndmask_b32_e64 v9, 0, -1, vcc
	v_cmp_le_u32_e32 vcc, s34, v6
	v_addc_co_u32_e64 v15, s[0:1], 0, v5, s[0:1]
	v_cndmask_b32_e64 v6, 0, -1, vcc
	v_cmp_eq_u32_e32 vcc, s35, v7
	v_cmp_ne_u32_e64 s[0:1], 0, v10
	v_cndmask_b32_e32 v6, v9, v6, vcc
	v_cmp_ne_u32_e32 vcc, 0, v6
	v_cndmask_b32_e64 v6, v14, v11, s[0:1]
	v_cndmask_b32_e64 v10, v15, v13, s[0:1]
	v_cndmask_b32_e32 v3, v3, v6, vcc
	v_xor_b32_e32 v6, s30, v12
	v_cndmask_b32_e32 v5, v5, v10, vcc
	v_xor_b32_e32 v7, s31, v12
	v_xor_b32_e32 v3, v3, v6
	;; [unrolled: 1-line block ×3, first 2 shown]
	v_sub_co_u32_e32 v6, vcc, v3, v6
	v_subb_co_u32_e32 v7, vcc, v5, v7, vcc
.LBB84_18:                              ;   in Loop: Header=BB84_16 Depth=2
	s_andn2_saveexec_b64 s[0:1], s[28:29]
	s_cbranch_execz .LBB84_15
; %bb.19:                               ;   in Loop: Header=BB84_16 Depth=2
	v_cvt_f32_u32_e32 v3, s37
	s_sub_i32 s28, 0, s37
	v_rcp_iflag_f32_e32 v3, v3
	v_mul_f32_e32 v3, 0x4f7ffffe, v3
	v_cvt_u32_f32_e32 v3, v3
	v_mul_lo_u32 v5, s28, v3
	v_mul_hi_u32 v5, v3, v5
	v_add_u32_e32 v3, v3, v5
	v_mul_hi_u32 v3, v8, v3
	v_mul_lo_u32 v5, v3, s37
	v_sub_u32_e32 v5, v8, v5
	v_add_u32_e32 v6, 1, v3
	v_subrev_u32_e32 v7, s37, v5
	v_cmp_le_u32_e32 vcc, s37, v5
	v_cndmask_b32_e32 v5, v5, v7, vcc
	v_cndmask_b32_e32 v3, v3, v6, vcc
	v_add_u32_e32 v6, 1, v3
	v_cmp_le_u32_e32 vcc, s37, v5
	v_cndmask_b32_e32 v6, v3, v6, vcc
	v_mov_b32_e32 v7, v2
	s_branch .LBB84_15
.LBB84_20:                              ;   in Loop: Header=BB84_3 Depth=1
	s_mov_b32 s16, s45
.LBB84_21:                              ;   in Loop: Header=BB84_3 Depth=1
	s_andn2_b64 vcc, exec, s[20:21]
	s_cbranch_vccnz .LBB84_57
; %bb.22:                               ;   in Loop: Header=BB84_3 Depth=1
	s_add_i32 s26, s16, -7
.LBB84_23:                              ;   Parent Loop BB84_3 Depth=1
                                        ; =>  This Inner Loop Header: Depth=2
	s_add_i32 s16, s26, 7
	s_lshl_b64 s[28:29], s[16:17], 2
	s_add_u32 s0, s39, s28
	s_addc_u32 s1, s40, s29
	s_load_dword s50, s[0:1], 0x0
                                        ; implicit-def: $vgpr8_vgpr9
	s_waitcnt lgkmcnt(0)
	s_ashr_i32 s0, s50, 31
	v_or_b32_e32 v3, s0, v7
	v_cmp_ne_u64_e32 vcc, 0, v[2:3]
	s_and_saveexec_b64 s[30:31], vcc
	s_xor_b64 s[30:31], exec, s[30:31]
	s_cbranch_execz .LBB84_25
; %bb.24:                               ;   in Loop: Header=BB84_23 Depth=2
	s_add_u32 s36, s50, s0
	s_mov_b32 s34, s0
	s_mov_b32 s35, s0
	s_addc_u32 s37, s0, s0
	s_xor_b64 s[36:37], s[36:37], s[34:35]
	v_cvt_f32_u32_e32 v3, s36
	v_cvt_f32_u32_e32 v5, s37
	s_sub_u32 s0, 0, s36
	s_subb_u32 s1, 0, s37
	v_mac_f32_e32 v3, 0x4f800000, v5
	v_rcp_f32_e32 v3, v3
	v_mul_f32_e32 v3, 0x5f7ffffc, v3
	v_mul_f32_e32 v5, 0x2f800000, v3
	v_trunc_f32_e32 v5, v5
	v_mac_f32_e32 v3, 0xcf800000, v5
	v_cvt_u32_f32_e32 v5, v5
	v_cvt_u32_f32_e32 v3, v3
	v_mul_lo_u32 v8, s0, v5
	v_mul_hi_u32 v10, s0, v3
	v_mul_lo_u32 v9, s1, v3
	v_add_u32_e32 v8, v10, v8
	v_mul_lo_u32 v11, s0, v3
	v_add_u32_e32 v8, v8, v9
	v_mul_lo_u32 v10, v3, v8
	v_mul_hi_u32 v12, v3, v11
	v_mul_hi_u32 v9, v3, v8
	v_add_co_u32_e32 v10, vcc, v12, v10
	v_addc_co_u32_e32 v9, vcc, 0, v9, vcc
	v_mul_hi_u32 v13, v5, v11
	v_mul_lo_u32 v11, v5, v11
	v_add_co_u32_e32 v10, vcc, v10, v11
	v_mul_hi_u32 v12, v5, v8
	v_addc_co_u32_e32 v9, vcc, v9, v13, vcc
	v_addc_co_u32_e32 v10, vcc, 0, v12, vcc
	v_mul_lo_u32 v8, v5, v8
	v_add_co_u32_e32 v8, vcc, v9, v8
	v_addc_co_u32_e32 v9, vcc, 0, v10, vcc
	v_add_co_u32_e32 v3, vcc, v3, v8
	v_addc_co_u32_e32 v5, vcc, v5, v9, vcc
	v_mul_lo_u32 v8, s0, v5
	v_mul_hi_u32 v9, s0, v3
	v_add_u32_e32 v8, v9, v8
	v_mul_lo_u32 v9, s1, v3
	v_add_u32_e32 v8, v8, v9
	v_mul_lo_u32 v10, s0, v3
	v_mul_hi_u32 v11, v5, v10
	v_mul_lo_u32 v12, v5, v10
	v_mul_lo_u32 v14, v3, v8
	v_mul_hi_u32 v10, v3, v10
	v_mul_hi_u32 v13, v3, v8
	v_add_co_u32_e32 v10, vcc, v10, v14
	v_addc_co_u32_e32 v13, vcc, 0, v13, vcc
	v_add_co_u32_e32 v10, vcc, v10, v12
	v_mul_hi_u32 v9, v5, v8
	v_addc_co_u32_e32 v10, vcc, v13, v11, vcc
	v_addc_co_u32_e32 v9, vcc, 0, v9, vcc
	v_mul_lo_u32 v8, v5, v8
	v_add_co_u32_e32 v8, vcc, v10, v8
	v_addc_co_u32_e32 v9, vcc, 0, v9, vcc
	v_add_co_u32_e32 v3, vcc, v3, v8
	v_addc_co_u32_e32 v5, vcc, v5, v9, vcc
	v_ashrrev_i32_e32 v12, 31, v7
	v_add_co_u32_e32 v8, vcc, v6, v12
	v_xor_b32_e32 v13, v8, v12
	v_addc_co_u32_e32 v7, vcc, v7, v12, vcc
	v_mad_u64_u32 v[8:9], s[0:1], v13, v5, 0
	v_mul_hi_u32 v10, v13, v3
	v_xor_b32_e32 v7, v7, v12
	v_add_co_u32_e32 v14, vcc, v10, v8
	v_addc_co_u32_e32 v15, vcc, 0, v9, vcc
	v_mad_u64_u32 v[10:11], s[0:1], v7, v3, 0
	v_add_co_u32_e32 v3, vcc, v14, v10
	v_mad_u64_u32 v[8:9], s[0:1], v7, v5, 0
	v_addc_co_u32_e32 v3, vcc, v15, v11, vcc
	v_addc_co_u32_e32 v5, vcc, 0, v9, vcc
	v_add_co_u32_e32 v3, vcc, v3, v8
	v_addc_co_u32_e32 v5, vcc, 0, v5, vcc
	v_mul_lo_u32 v10, s37, v3
	v_mul_lo_u32 v11, s36, v5
	v_mad_u64_u32 v[8:9], s[0:1], s36, v3, 0
	v_add3_u32 v9, v9, v11, v10
	v_sub_u32_e32 v10, v7, v9
	v_mov_b32_e32 v11, s37
	v_sub_co_u32_e32 v8, vcc, v13, v8
	v_subb_co_u32_e64 v10, s[0:1], v10, v11, vcc
	v_subrev_co_u32_e64 v11, s[0:1], s36, v8
	v_subbrev_co_u32_e64 v10, s[0:1], 0, v10, s[0:1]
	v_cmp_le_u32_e64 s[0:1], s37, v10
	v_cndmask_b32_e64 v13, 0, -1, s[0:1]
	v_cmp_le_u32_e64 s[0:1], s36, v11
	v_cndmask_b32_e64 v11, 0, -1, s[0:1]
	v_cmp_eq_u32_e64 s[0:1], s37, v10
	v_cndmask_b32_e64 v10, v13, v11, s[0:1]
	v_add_co_u32_e64 v11, s[0:1], 2, v3
	v_subb_co_u32_e32 v7, vcc, v7, v9, vcc
	v_addc_co_u32_e64 v13, s[0:1], 0, v5, s[0:1]
	v_cmp_le_u32_e32 vcc, s37, v7
	v_add_co_u32_e64 v14, s[0:1], 1, v3
	v_cndmask_b32_e64 v9, 0, -1, vcc
	v_cmp_le_u32_e32 vcc, s36, v8
	v_addc_co_u32_e64 v15, s[0:1], 0, v5, s[0:1]
	v_cndmask_b32_e64 v8, 0, -1, vcc
	v_cmp_eq_u32_e32 vcc, s37, v7
	v_cmp_ne_u32_e64 s[0:1], 0, v10
	v_cndmask_b32_e32 v7, v9, v8, vcc
	v_cmp_ne_u32_e32 vcc, 0, v7
	v_cndmask_b32_e64 v7, v14, v11, s[0:1]
	v_cndmask_b32_e64 v10, v15, v13, s[0:1]
	v_cndmask_b32_e32 v3, v3, v7, vcc
	v_xor_b32_e32 v8, s34, v12
	v_cndmask_b32_e32 v5, v5, v10, vcc
	v_xor_b32_e32 v7, s35, v12
	v_xor_b32_e32 v3, v3, v8
	;; [unrolled: 1-line block ×3, first 2 shown]
	v_sub_co_u32_e32 v8, vcc, v3, v8
	v_subb_co_u32_e32 v9, vcc, v5, v7, vcc
.LBB84_25:                              ;   in Loop: Header=BB84_23 Depth=2
	s_andn2_saveexec_b64 s[0:1], s[30:31]
	s_cbranch_execz .LBB84_27
; %bb.26:                               ;   in Loop: Header=BB84_23 Depth=2
	v_cvt_f32_u32_e32 v3, s50
	s_sub_i32 s16, 0, s50
	v_mov_b32_e32 v9, v2
	v_rcp_iflag_f32_e32 v3, v3
	v_mul_f32_e32 v3, 0x4f7ffffe, v3
	v_cvt_u32_f32_e32 v3, v3
	v_mul_lo_u32 v5, s16, v3
	v_mul_hi_u32 v5, v3, v5
	v_add_u32_e32 v3, v3, v5
	v_mul_hi_u32 v3, v6, v3
	v_mul_lo_u32 v5, v3, s50
	v_sub_u32_e32 v5, v6, v5
	v_add_u32_e32 v7, 1, v3
	v_subrev_u32_e32 v8, s50, v5
	v_cmp_le_u32_e32 vcc, s50, v5
	v_cndmask_b32_e32 v5, v5, v8, vcc
	v_cndmask_b32_e32 v3, v3, v7, vcc
	v_add_u32_e32 v7, 1, v3
	v_cmp_le_u32_e32 vcc, s50, v5
	v_cndmask_b32_e32 v8, v3, v7, vcc
.LBB84_27:                              ;   in Loop: Header=BB84_23 Depth=2
	s_or_b64 exec, exec, s[0:1]
	s_add_u32 s0, s43, s28
	s_addc_u32 s1, s44, s29
	s_add_i32 s16, s26, 6
	s_lshl_b64 s[28:29], s[16:17], 2
	s_add_u32 s30, s39, s28
	s_addc_u32 s31, s40, s29
	s_load_dword s51, s[30:31], 0x0
	s_load_dword s52, s[0:1], 0x0
                                        ; implicit-def: $vgpr10_vgpr11
	s_waitcnt lgkmcnt(0)
	s_ashr_i32 s0, s51, 31
	v_or_b32_e32 v3, s0, v9
	v_cmp_ne_u64_e32 vcc, 0, v[2:3]
	s_and_saveexec_b64 s[30:31], vcc
	s_xor_b64 s[30:31], exec, s[30:31]
	s_cbranch_execz .LBB84_29
; %bb.28:                               ;   in Loop: Header=BB84_23 Depth=2
	s_add_u32 s36, s51, s0
	s_mov_b32 s34, s0
	s_mov_b32 s35, s0
	s_addc_u32 s37, s0, s0
	s_xor_b64 s[36:37], s[36:37], s[34:35]
	v_cvt_f32_u32_e32 v3, s36
	v_cvt_f32_u32_e32 v5, s37
	s_sub_u32 s0, 0, s36
	s_subb_u32 s1, 0, s37
	v_mac_f32_e32 v3, 0x4f800000, v5
	v_rcp_f32_e32 v3, v3
	v_mul_f32_e32 v3, 0x5f7ffffc, v3
	v_mul_f32_e32 v5, 0x2f800000, v3
	v_trunc_f32_e32 v5, v5
	v_mac_f32_e32 v3, 0xcf800000, v5
	v_cvt_u32_f32_e32 v5, v5
	v_cvt_u32_f32_e32 v3, v3
	v_mul_lo_u32 v7, s0, v5
	v_mul_hi_u32 v11, s0, v3
	v_mul_lo_u32 v10, s1, v3
	v_add_u32_e32 v7, v11, v7
	v_mul_lo_u32 v12, s0, v3
	v_add_u32_e32 v7, v7, v10
	v_mul_lo_u32 v11, v3, v7
	v_mul_hi_u32 v13, v3, v12
	v_mul_hi_u32 v10, v3, v7
	v_add_co_u32_e32 v11, vcc, v13, v11
	v_addc_co_u32_e32 v10, vcc, 0, v10, vcc
	v_mul_hi_u32 v14, v5, v12
	v_mul_lo_u32 v12, v5, v12
	v_add_co_u32_e32 v11, vcc, v11, v12
	v_mul_hi_u32 v13, v5, v7
	v_addc_co_u32_e32 v10, vcc, v10, v14, vcc
	v_addc_co_u32_e32 v11, vcc, 0, v13, vcc
	v_mul_lo_u32 v7, v5, v7
	v_add_co_u32_e32 v7, vcc, v10, v7
	v_addc_co_u32_e32 v10, vcc, 0, v11, vcc
	v_add_co_u32_e32 v3, vcc, v3, v7
	v_addc_co_u32_e32 v5, vcc, v5, v10, vcc
	v_mul_lo_u32 v7, s0, v5
	v_mul_hi_u32 v10, s0, v3
	v_add_u32_e32 v7, v10, v7
	v_mul_lo_u32 v10, s1, v3
	v_add_u32_e32 v7, v7, v10
	v_mul_lo_u32 v11, s0, v3
	v_mul_hi_u32 v12, v5, v11
	v_mul_lo_u32 v13, v5, v11
	v_mul_lo_u32 v15, v3, v7
	v_mul_hi_u32 v11, v3, v11
	v_mul_hi_u32 v14, v3, v7
	v_add_co_u32_e32 v11, vcc, v11, v15
	v_addc_co_u32_e32 v14, vcc, 0, v14, vcc
	v_add_co_u32_e32 v11, vcc, v11, v13
	v_mul_hi_u32 v10, v5, v7
	v_addc_co_u32_e32 v11, vcc, v14, v12, vcc
	v_addc_co_u32_e32 v10, vcc, 0, v10, vcc
	v_mul_lo_u32 v7, v5, v7
	v_add_co_u32_e32 v7, vcc, v11, v7
	v_addc_co_u32_e32 v10, vcc, 0, v10, vcc
	v_add_co_u32_e32 v3, vcc, v3, v7
	v_addc_co_u32_e32 v5, vcc, v5, v10, vcc
	v_ashrrev_i32_e32 v7, 31, v9
	v_add_co_u32_e32 v10, vcc, v8, v7
	v_xor_b32_e32 v14, v10, v7
	v_addc_co_u32_e32 v9, vcc, v9, v7, vcc
	v_mad_u64_u32 v[10:11], s[0:1], v14, v5, 0
	v_mul_hi_u32 v12, v14, v3
	v_xor_b32_e32 v9, v9, v7
	v_add_co_u32_e32 v15, vcc, v12, v10
	v_addc_co_u32_e32 v16, vcc, 0, v11, vcc
	v_mad_u64_u32 v[12:13], s[0:1], v9, v3, 0
	v_add_co_u32_e32 v3, vcc, v15, v12
	v_mad_u64_u32 v[10:11], s[0:1], v9, v5, 0
	v_addc_co_u32_e32 v3, vcc, v16, v13, vcc
	v_addc_co_u32_e32 v5, vcc, 0, v11, vcc
	v_add_co_u32_e32 v3, vcc, v3, v10
	v_addc_co_u32_e32 v5, vcc, 0, v5, vcc
	v_mul_lo_u32 v12, s37, v3
	v_mul_lo_u32 v13, s36, v5
	v_mad_u64_u32 v[10:11], s[0:1], s36, v3, 0
	v_add3_u32 v11, v11, v13, v12
	v_sub_u32_e32 v12, v9, v11
	v_mov_b32_e32 v13, s37
	v_sub_co_u32_e32 v10, vcc, v14, v10
	v_subb_co_u32_e64 v12, s[0:1], v12, v13, vcc
	v_subrev_co_u32_e64 v13, s[0:1], s36, v10
	v_subbrev_co_u32_e64 v12, s[0:1], 0, v12, s[0:1]
	v_cmp_le_u32_e64 s[0:1], s37, v12
	v_cndmask_b32_e64 v14, 0, -1, s[0:1]
	v_cmp_le_u32_e64 s[0:1], s36, v13
	v_cndmask_b32_e64 v13, 0, -1, s[0:1]
	v_cmp_eq_u32_e64 s[0:1], s37, v12
	v_cndmask_b32_e64 v12, v14, v13, s[0:1]
	v_add_co_u32_e64 v13, s[0:1], 2, v3
	v_subb_co_u32_e32 v9, vcc, v9, v11, vcc
	v_addc_co_u32_e64 v14, s[0:1], 0, v5, s[0:1]
	v_cmp_le_u32_e32 vcc, s37, v9
	v_add_co_u32_e64 v15, s[0:1], 1, v3
	v_cndmask_b32_e64 v11, 0, -1, vcc
	v_cmp_le_u32_e32 vcc, s36, v10
	v_addc_co_u32_e64 v16, s[0:1], 0, v5, s[0:1]
	v_cndmask_b32_e64 v10, 0, -1, vcc
	v_cmp_eq_u32_e32 vcc, s37, v9
	v_cmp_ne_u32_e64 s[0:1], 0, v12
	v_cndmask_b32_e32 v9, v11, v10, vcc
	v_cmp_ne_u32_e32 vcc, 0, v9
	v_cndmask_b32_e64 v9, v15, v13, s[0:1]
	v_cndmask_b32_e64 v12, v16, v14, s[0:1]
	v_cndmask_b32_e32 v3, v3, v9, vcc
	v_xor_b32_e32 v9, s35, v7
	v_xor_b32_e32 v7, s34, v7
	v_cndmask_b32_e32 v5, v5, v12, vcc
	v_xor_b32_e32 v3, v3, v7
	v_xor_b32_e32 v5, v5, v9
	v_sub_co_u32_e32 v10, vcc, v3, v7
	v_subb_co_u32_e32 v11, vcc, v5, v9, vcc
.LBB84_29:                              ;   in Loop: Header=BB84_23 Depth=2
	s_andn2_saveexec_b64 s[0:1], s[30:31]
	s_cbranch_execz .LBB84_31
; %bb.30:                               ;   in Loop: Header=BB84_23 Depth=2
	v_cvt_f32_u32_e32 v3, s51
	s_sub_i32 s16, 0, s51
	v_mov_b32_e32 v11, v2
	v_rcp_iflag_f32_e32 v3, v3
	v_mul_f32_e32 v3, 0x4f7ffffe, v3
	v_cvt_u32_f32_e32 v3, v3
	v_mul_lo_u32 v5, s16, v3
	v_mul_hi_u32 v5, v3, v5
	v_add_u32_e32 v3, v3, v5
	v_mul_hi_u32 v3, v8, v3
	v_mul_lo_u32 v5, v3, s51
	v_sub_u32_e32 v5, v8, v5
	v_add_u32_e32 v7, 1, v3
	v_subrev_u32_e32 v9, s51, v5
	v_cmp_le_u32_e32 vcc, s51, v5
	v_cndmask_b32_e32 v5, v5, v9, vcc
	v_cndmask_b32_e32 v3, v3, v7, vcc
	v_add_u32_e32 v7, 1, v3
	v_cmp_le_u32_e32 vcc, s51, v5
	v_cndmask_b32_e32 v10, v3, v7, vcc
.LBB84_31:                              ;   in Loop: Header=BB84_23 Depth=2
	s_or_b64 exec, exec, s[0:1]
	s_add_u32 s0, s43, s28
	s_addc_u32 s1, s44, s29
	s_add_i32 s16, s26, 5
	s_lshl_b64 s[28:29], s[16:17], 2
	s_add_u32 s30, s39, s28
	s_addc_u32 s31, s40, s29
	s_load_dword s53, s[30:31], 0x0
	s_load_dword s54, s[0:1], 0x0
                                        ; implicit-def: $vgpr12_vgpr13
	s_waitcnt lgkmcnt(0)
	s_ashr_i32 s0, s53, 31
	v_or_b32_e32 v3, s0, v11
	v_cmp_ne_u64_e32 vcc, 0, v[2:3]
	s_and_saveexec_b64 s[30:31], vcc
	s_xor_b64 s[30:31], exec, s[30:31]
	s_cbranch_execz .LBB84_33
; %bb.32:                               ;   in Loop: Header=BB84_23 Depth=2
	s_add_u32 s36, s53, s0
	s_mov_b32 s34, s0
	s_mov_b32 s35, s0
	s_addc_u32 s37, s0, s0
	s_xor_b64 s[36:37], s[36:37], s[34:35]
	v_cvt_f32_u32_e32 v3, s36
	v_cvt_f32_u32_e32 v5, s37
	s_sub_u32 s0, 0, s36
	s_subb_u32 s1, 0, s37
	v_mac_f32_e32 v3, 0x4f800000, v5
	v_rcp_f32_e32 v3, v3
	v_mul_f32_e32 v3, 0x5f7ffffc, v3
	v_mul_f32_e32 v5, 0x2f800000, v3
	v_trunc_f32_e32 v5, v5
	v_mac_f32_e32 v3, 0xcf800000, v5
	v_cvt_u32_f32_e32 v5, v5
	v_cvt_u32_f32_e32 v3, v3
	v_mul_lo_u32 v7, s0, v5
	v_mul_hi_u32 v12, s0, v3
	v_mul_lo_u32 v9, s1, v3
	v_add_u32_e32 v7, v12, v7
	v_mul_lo_u32 v13, s0, v3
	v_add_u32_e32 v7, v7, v9
	v_mul_lo_u32 v12, v3, v7
	v_mul_hi_u32 v14, v3, v13
	v_mul_hi_u32 v9, v3, v7
	v_add_co_u32_e32 v12, vcc, v14, v12
	v_addc_co_u32_e32 v9, vcc, 0, v9, vcc
	v_mul_hi_u32 v15, v5, v13
	v_mul_lo_u32 v13, v5, v13
	v_add_co_u32_e32 v12, vcc, v12, v13
	v_mul_hi_u32 v14, v5, v7
	v_addc_co_u32_e32 v9, vcc, v9, v15, vcc
	v_addc_co_u32_e32 v12, vcc, 0, v14, vcc
	v_mul_lo_u32 v7, v5, v7
	v_add_co_u32_e32 v7, vcc, v9, v7
	v_addc_co_u32_e32 v9, vcc, 0, v12, vcc
	v_add_co_u32_e32 v3, vcc, v3, v7
	v_addc_co_u32_e32 v5, vcc, v5, v9, vcc
	v_mul_lo_u32 v7, s0, v5
	v_mul_hi_u32 v9, s0, v3
	v_add_u32_e32 v7, v9, v7
	v_mul_lo_u32 v9, s1, v3
	v_add_u32_e32 v7, v7, v9
	v_mul_lo_u32 v12, s0, v3
	v_mul_hi_u32 v13, v5, v12
	v_mul_lo_u32 v14, v5, v12
	v_mul_lo_u32 v16, v3, v7
	v_mul_hi_u32 v12, v3, v12
	v_mul_hi_u32 v15, v3, v7
	v_add_co_u32_e32 v12, vcc, v12, v16
	v_addc_co_u32_e32 v15, vcc, 0, v15, vcc
	v_add_co_u32_e32 v12, vcc, v12, v14
	v_mul_hi_u32 v9, v5, v7
	v_addc_co_u32_e32 v12, vcc, v15, v13, vcc
	v_addc_co_u32_e32 v9, vcc, 0, v9, vcc
	v_mul_lo_u32 v7, v5, v7
	v_add_co_u32_e32 v7, vcc, v12, v7
	v_addc_co_u32_e32 v9, vcc, 0, v9, vcc
	v_add_co_u32_e32 v3, vcc, v3, v7
	v_addc_co_u32_e32 v5, vcc, v5, v9, vcc
	v_ashrrev_i32_e32 v7, 31, v11
	v_add_co_u32_e32 v9, vcc, v10, v7
	v_xor_b32_e32 v9, v9, v7
	v_addc_co_u32_e32 v11, vcc, v11, v7, vcc
	v_mad_u64_u32 v[12:13], s[0:1], v9, v5, 0
	v_mul_hi_u32 v14, v9, v3
	v_xor_b32_e32 v11, v11, v7
	v_add_co_u32_e32 v16, vcc, v14, v12
	v_addc_co_u32_e32 v17, vcc, 0, v13, vcc
	v_mad_u64_u32 v[14:15], s[0:1], v11, v3, 0
	v_add_co_u32_e32 v3, vcc, v16, v14
	v_mad_u64_u32 v[12:13], s[0:1], v11, v5, 0
	v_addc_co_u32_e32 v3, vcc, v17, v15, vcc
	v_addc_co_u32_e32 v5, vcc, 0, v13, vcc
	v_add_co_u32_e32 v3, vcc, v3, v12
	v_addc_co_u32_e32 v5, vcc, 0, v5, vcc
	v_mul_lo_u32 v14, s37, v3
	v_mul_lo_u32 v15, s36, v5
	v_mad_u64_u32 v[12:13], s[0:1], s36, v3, 0
	v_add3_u32 v13, v13, v15, v14
	v_sub_u32_e32 v14, v11, v13
	v_mov_b32_e32 v15, s37
	v_sub_co_u32_e32 v9, vcc, v9, v12
	v_subb_co_u32_e64 v12, s[0:1], v14, v15, vcc
	v_subrev_co_u32_e64 v14, s[0:1], s36, v9
	v_subbrev_co_u32_e64 v12, s[0:1], 0, v12, s[0:1]
	v_cmp_le_u32_e64 s[0:1], s37, v12
	v_cndmask_b32_e64 v15, 0, -1, s[0:1]
	v_cmp_le_u32_e64 s[0:1], s36, v14
	v_cndmask_b32_e64 v14, 0, -1, s[0:1]
	v_cmp_eq_u32_e64 s[0:1], s37, v12
	v_cndmask_b32_e64 v12, v15, v14, s[0:1]
	v_add_co_u32_e64 v14, s[0:1], 2, v3
	v_subb_co_u32_e32 v11, vcc, v11, v13, vcc
	v_addc_co_u32_e64 v15, s[0:1], 0, v5, s[0:1]
	v_cmp_le_u32_e32 vcc, s37, v11
	v_add_co_u32_e64 v16, s[0:1], 1, v3
	v_cndmask_b32_e64 v13, 0, -1, vcc
	v_cmp_le_u32_e32 vcc, s36, v9
	v_addc_co_u32_e64 v17, s[0:1], 0, v5, s[0:1]
	v_cndmask_b32_e64 v9, 0, -1, vcc
	v_cmp_eq_u32_e32 vcc, s37, v11
	v_cmp_ne_u32_e64 s[0:1], 0, v12
	v_cndmask_b32_e32 v9, v13, v9, vcc
	v_cmp_ne_u32_e32 vcc, 0, v9
	v_cndmask_b32_e64 v9, v16, v14, s[0:1]
	v_cndmask_b32_e64 v12, v17, v15, s[0:1]
	v_cndmask_b32_e32 v3, v3, v9, vcc
	v_xor_b32_e32 v9, s35, v7
	v_xor_b32_e32 v7, s34, v7
	v_cndmask_b32_e32 v5, v5, v12, vcc
	v_xor_b32_e32 v3, v3, v7
	v_xor_b32_e32 v5, v5, v9
	v_sub_co_u32_e32 v12, vcc, v3, v7
	v_subb_co_u32_e32 v13, vcc, v5, v9, vcc
.LBB84_33:                              ;   in Loop: Header=BB84_23 Depth=2
	s_andn2_saveexec_b64 s[0:1], s[30:31]
	s_cbranch_execz .LBB84_35
; %bb.34:                               ;   in Loop: Header=BB84_23 Depth=2
	v_cvt_f32_u32_e32 v3, s53
	s_sub_i32 s16, 0, s53
	v_mov_b32_e32 v13, v2
	v_rcp_iflag_f32_e32 v3, v3
	v_mul_f32_e32 v3, 0x4f7ffffe, v3
	v_cvt_u32_f32_e32 v3, v3
	v_mul_lo_u32 v5, s16, v3
	v_mul_hi_u32 v5, v3, v5
	v_add_u32_e32 v3, v3, v5
	v_mul_hi_u32 v3, v10, v3
	v_mul_lo_u32 v5, v3, s53
	v_sub_u32_e32 v5, v10, v5
	v_add_u32_e32 v7, 1, v3
	v_subrev_u32_e32 v9, s53, v5
	v_cmp_le_u32_e32 vcc, s53, v5
	v_cndmask_b32_e32 v5, v5, v9, vcc
	v_cndmask_b32_e32 v3, v3, v7, vcc
	v_add_u32_e32 v7, 1, v3
	v_cmp_le_u32_e32 vcc, s53, v5
	v_cndmask_b32_e32 v12, v3, v7, vcc
.LBB84_35:                              ;   in Loop: Header=BB84_23 Depth=2
	s_or_b64 exec, exec, s[0:1]
	s_add_u32 s0, s43, s28
	s_addc_u32 s1, s44, s29
	s_add_i32 s16, s26, 4
	s_lshl_b64 s[28:29], s[16:17], 2
	s_add_u32 s30, s39, s28
	s_addc_u32 s31, s40, s29
	s_load_dword s55, s[30:31], 0x0
	s_load_dword s56, s[0:1], 0x0
                                        ; implicit-def: $vgpr14_vgpr15
	s_waitcnt lgkmcnt(0)
	s_ashr_i32 s0, s55, 31
	v_or_b32_e32 v3, s0, v13
	v_cmp_ne_u64_e32 vcc, 0, v[2:3]
	s_and_saveexec_b64 s[30:31], vcc
	s_xor_b64 s[30:31], exec, s[30:31]
	s_cbranch_execz .LBB84_37
; %bb.36:                               ;   in Loop: Header=BB84_23 Depth=2
	s_add_u32 s36, s55, s0
	s_mov_b32 s34, s0
	s_mov_b32 s35, s0
	s_addc_u32 s37, s0, s0
	s_xor_b64 s[36:37], s[36:37], s[34:35]
	v_cvt_f32_u32_e32 v3, s36
	v_cvt_f32_u32_e32 v5, s37
	s_sub_u32 s0, 0, s36
	s_subb_u32 s1, 0, s37
	v_mac_f32_e32 v3, 0x4f800000, v5
	v_rcp_f32_e32 v3, v3
	v_mul_f32_e32 v3, 0x5f7ffffc, v3
	v_mul_f32_e32 v5, 0x2f800000, v3
	v_trunc_f32_e32 v5, v5
	v_mac_f32_e32 v3, 0xcf800000, v5
	v_cvt_u32_f32_e32 v5, v5
	v_cvt_u32_f32_e32 v3, v3
	v_mul_lo_u32 v7, s0, v5
	v_mul_hi_u32 v11, s0, v3
	v_mul_lo_u32 v9, s1, v3
	v_add_u32_e32 v7, v11, v7
	v_mul_lo_u32 v14, s0, v3
	v_add_u32_e32 v7, v7, v9
	v_mul_lo_u32 v11, v3, v7
	v_mul_hi_u32 v15, v3, v14
	v_mul_hi_u32 v9, v3, v7
	v_add_co_u32_e32 v11, vcc, v15, v11
	v_addc_co_u32_e32 v9, vcc, 0, v9, vcc
	v_mul_hi_u32 v16, v5, v14
	v_mul_lo_u32 v14, v5, v14
	v_add_co_u32_e32 v11, vcc, v11, v14
	v_mul_hi_u32 v15, v5, v7
	v_addc_co_u32_e32 v9, vcc, v9, v16, vcc
	v_addc_co_u32_e32 v11, vcc, 0, v15, vcc
	v_mul_lo_u32 v7, v5, v7
	v_add_co_u32_e32 v7, vcc, v9, v7
	v_addc_co_u32_e32 v9, vcc, 0, v11, vcc
	v_add_co_u32_e32 v3, vcc, v3, v7
	v_addc_co_u32_e32 v5, vcc, v5, v9, vcc
	v_mul_lo_u32 v7, s0, v5
	v_mul_hi_u32 v9, s0, v3
	v_add_u32_e32 v7, v9, v7
	v_mul_lo_u32 v9, s1, v3
	v_add_u32_e32 v7, v7, v9
	v_mul_lo_u32 v11, s0, v3
	v_mul_hi_u32 v14, v5, v11
	v_mul_lo_u32 v15, v5, v11
	v_mul_lo_u32 v17, v3, v7
	v_mul_hi_u32 v11, v3, v11
	v_mul_hi_u32 v16, v3, v7
	v_add_co_u32_e32 v11, vcc, v11, v17
	v_addc_co_u32_e32 v16, vcc, 0, v16, vcc
	v_add_co_u32_e32 v11, vcc, v11, v15
	v_mul_hi_u32 v9, v5, v7
	v_addc_co_u32_e32 v11, vcc, v16, v14, vcc
	v_addc_co_u32_e32 v9, vcc, 0, v9, vcc
	v_mul_lo_u32 v7, v5, v7
	v_add_co_u32_e32 v7, vcc, v11, v7
	v_addc_co_u32_e32 v9, vcc, 0, v9, vcc
	v_add_co_u32_e32 v3, vcc, v3, v7
	v_addc_co_u32_e32 v5, vcc, v5, v9, vcc
	v_ashrrev_i32_e32 v7, 31, v13
	v_add_co_u32_e32 v9, vcc, v12, v7
	v_xor_b32_e32 v9, v9, v7
	v_addc_co_u32_e32 v11, vcc, v13, v7, vcc
	v_mad_u64_u32 v[14:15], s[0:1], v9, v5, 0
	v_mul_hi_u32 v13, v9, v3
	v_xor_b32_e32 v11, v11, v7
	v_add_co_u32_e32 v13, vcc, v13, v14
	v_addc_co_u32_e32 v18, vcc, 0, v15, vcc
	v_mad_u64_u32 v[16:17], s[0:1], v11, v3, 0
	v_add_co_u32_e32 v3, vcc, v13, v16
	v_mad_u64_u32 v[14:15], s[0:1], v11, v5, 0
	v_addc_co_u32_e32 v3, vcc, v18, v17, vcc
	v_addc_co_u32_e32 v5, vcc, 0, v15, vcc
	v_add_co_u32_e32 v3, vcc, v3, v14
	v_addc_co_u32_e32 v5, vcc, 0, v5, vcc
	v_mul_lo_u32 v13, s37, v3
	v_mul_lo_u32 v16, s36, v5
	v_mad_u64_u32 v[14:15], s[0:1], s36, v3, 0
	v_add3_u32 v13, v15, v16, v13
	v_sub_u32_e32 v15, v11, v13
	v_mov_b32_e32 v16, s37
	v_sub_co_u32_e32 v9, vcc, v9, v14
	v_subb_co_u32_e64 v14, s[0:1], v15, v16, vcc
	v_subrev_co_u32_e64 v15, s[0:1], s36, v9
	v_subbrev_co_u32_e64 v14, s[0:1], 0, v14, s[0:1]
	v_cmp_le_u32_e64 s[0:1], s37, v14
	v_cndmask_b32_e64 v16, 0, -1, s[0:1]
	v_cmp_le_u32_e64 s[0:1], s36, v15
	v_cndmask_b32_e64 v15, 0, -1, s[0:1]
	v_cmp_eq_u32_e64 s[0:1], s37, v14
	v_cndmask_b32_e64 v14, v16, v15, s[0:1]
	v_add_co_u32_e64 v15, s[0:1], 2, v3
	v_subb_co_u32_e32 v11, vcc, v11, v13, vcc
	v_addc_co_u32_e64 v16, s[0:1], 0, v5, s[0:1]
	v_cmp_le_u32_e32 vcc, s37, v11
	v_add_co_u32_e64 v17, s[0:1], 1, v3
	v_cndmask_b32_e64 v13, 0, -1, vcc
	v_cmp_le_u32_e32 vcc, s36, v9
	v_addc_co_u32_e64 v18, s[0:1], 0, v5, s[0:1]
	v_cndmask_b32_e64 v9, 0, -1, vcc
	v_cmp_eq_u32_e32 vcc, s37, v11
	v_cmp_ne_u32_e64 s[0:1], 0, v14
	v_cndmask_b32_e32 v9, v13, v9, vcc
	v_cmp_ne_u32_e32 vcc, 0, v9
	v_cndmask_b32_e64 v9, v17, v15, s[0:1]
	v_cndmask_b32_e64 v14, v18, v16, s[0:1]
	v_cndmask_b32_e32 v3, v3, v9, vcc
	v_xor_b32_e32 v9, s35, v7
	v_xor_b32_e32 v7, s34, v7
	v_cndmask_b32_e32 v5, v5, v14, vcc
	v_xor_b32_e32 v3, v3, v7
	v_xor_b32_e32 v5, v5, v9
	v_sub_co_u32_e32 v14, vcc, v3, v7
	v_subb_co_u32_e32 v15, vcc, v5, v9, vcc
.LBB84_37:                              ;   in Loop: Header=BB84_23 Depth=2
	s_andn2_saveexec_b64 s[0:1], s[30:31]
	s_cbranch_execz .LBB84_39
; %bb.38:                               ;   in Loop: Header=BB84_23 Depth=2
	v_cvt_f32_u32_e32 v3, s55
	s_sub_i32 s16, 0, s55
	v_mov_b32_e32 v15, v2
	v_rcp_iflag_f32_e32 v3, v3
	v_mul_f32_e32 v3, 0x4f7ffffe, v3
	v_cvt_u32_f32_e32 v3, v3
	v_mul_lo_u32 v5, s16, v3
	v_mul_hi_u32 v5, v3, v5
	v_add_u32_e32 v3, v3, v5
	v_mul_hi_u32 v3, v12, v3
	v_mul_lo_u32 v5, v3, s55
	v_sub_u32_e32 v5, v12, v5
	v_add_u32_e32 v7, 1, v3
	v_subrev_u32_e32 v9, s55, v5
	v_cmp_le_u32_e32 vcc, s55, v5
	v_cndmask_b32_e32 v5, v5, v9, vcc
	v_cndmask_b32_e32 v3, v3, v7, vcc
	v_add_u32_e32 v7, 1, v3
	v_cmp_le_u32_e32 vcc, s55, v5
	v_cndmask_b32_e32 v14, v3, v7, vcc
.LBB84_39:                              ;   in Loop: Header=BB84_23 Depth=2
	s_or_b64 exec, exec, s[0:1]
	s_add_u32 s0, s43, s28
	s_addc_u32 s1, s44, s29
	s_add_i32 s16, s26, 3
	s_lshl_b64 s[28:29], s[16:17], 2
	s_add_u32 s30, s39, s28
	s_addc_u32 s31, s40, s29
	s_load_dword s57, s[30:31], 0x0
	s_load_dword s58, s[0:1], 0x0
                                        ; implicit-def: $vgpr16_vgpr17
	s_waitcnt lgkmcnt(0)
	s_ashr_i32 s0, s57, 31
	v_or_b32_e32 v3, s0, v15
	v_cmp_ne_u64_e32 vcc, 0, v[2:3]
	s_and_saveexec_b64 s[30:31], vcc
	s_xor_b64 s[30:31], exec, s[30:31]
	s_cbranch_execz .LBB84_41
; %bb.40:                               ;   in Loop: Header=BB84_23 Depth=2
	s_add_u32 s36, s57, s0
	s_mov_b32 s34, s0
	s_mov_b32 s35, s0
	s_addc_u32 s37, s0, s0
	s_xor_b64 s[36:37], s[36:37], s[34:35]
	v_cvt_f32_u32_e32 v3, s36
	v_cvt_f32_u32_e32 v5, s37
	s_sub_u32 s0, 0, s36
	s_subb_u32 s1, 0, s37
	v_mac_f32_e32 v3, 0x4f800000, v5
	v_rcp_f32_e32 v3, v3
	v_mul_f32_e32 v3, 0x5f7ffffc, v3
	v_mul_f32_e32 v5, 0x2f800000, v3
	v_trunc_f32_e32 v5, v5
	v_mac_f32_e32 v3, 0xcf800000, v5
	v_cvt_u32_f32_e32 v5, v5
	v_cvt_u32_f32_e32 v3, v3
	v_mul_lo_u32 v7, s0, v5
	v_mul_hi_u32 v11, s0, v3
	v_mul_lo_u32 v9, s1, v3
	v_add_u32_e32 v7, v11, v7
	v_mul_lo_u32 v13, s0, v3
	v_add_u32_e32 v7, v7, v9
	v_mul_lo_u32 v11, v3, v7
	v_mul_hi_u32 v16, v3, v13
	v_mul_hi_u32 v9, v3, v7
	v_add_co_u32_e32 v11, vcc, v16, v11
	v_addc_co_u32_e32 v9, vcc, 0, v9, vcc
	v_mul_hi_u32 v17, v5, v13
	v_mul_lo_u32 v13, v5, v13
	v_add_co_u32_e32 v11, vcc, v11, v13
	v_mul_hi_u32 v16, v5, v7
	v_addc_co_u32_e32 v9, vcc, v9, v17, vcc
	v_addc_co_u32_e32 v11, vcc, 0, v16, vcc
	v_mul_lo_u32 v7, v5, v7
	v_add_co_u32_e32 v7, vcc, v9, v7
	v_addc_co_u32_e32 v9, vcc, 0, v11, vcc
	v_add_co_u32_e32 v3, vcc, v3, v7
	v_addc_co_u32_e32 v5, vcc, v5, v9, vcc
	v_mul_lo_u32 v7, s0, v5
	v_mul_hi_u32 v9, s0, v3
	v_add_u32_e32 v7, v9, v7
	v_mul_lo_u32 v9, s1, v3
	v_add_u32_e32 v7, v7, v9
	v_mul_lo_u32 v11, s0, v3
	v_mul_hi_u32 v13, v5, v11
	v_mul_lo_u32 v16, v5, v11
	v_mul_lo_u32 v18, v3, v7
	v_mul_hi_u32 v11, v3, v11
	v_mul_hi_u32 v17, v3, v7
	v_add_co_u32_e32 v11, vcc, v11, v18
	v_addc_co_u32_e32 v17, vcc, 0, v17, vcc
	v_add_co_u32_e32 v11, vcc, v11, v16
	v_mul_hi_u32 v9, v5, v7
	v_addc_co_u32_e32 v11, vcc, v17, v13, vcc
	v_addc_co_u32_e32 v9, vcc, 0, v9, vcc
	v_mul_lo_u32 v7, v5, v7
	v_add_co_u32_e32 v7, vcc, v11, v7
	v_addc_co_u32_e32 v9, vcc, 0, v9, vcc
	v_add_co_u32_e32 v3, vcc, v3, v7
	v_addc_co_u32_e32 v5, vcc, v5, v9, vcc
	v_ashrrev_i32_e32 v7, 31, v15
	v_add_co_u32_e32 v9, vcc, v14, v7
	v_xor_b32_e32 v9, v9, v7
	v_addc_co_u32_e32 v11, vcc, v15, v7, vcc
	v_mad_u64_u32 v[16:17], s[0:1], v9, v5, 0
	v_mul_hi_u32 v13, v9, v3
	v_xor_b32_e32 v11, v11, v7
	v_add_co_u32_e32 v13, vcc, v13, v16
	v_addc_co_u32_e32 v15, vcc, 0, v17, vcc
	v_mad_u64_u32 v[18:19], s[0:1], v11, v3, 0
	v_add_co_u32_e32 v3, vcc, v13, v18
	v_mad_u64_u32 v[16:17], s[0:1], v11, v5, 0
	v_addc_co_u32_e32 v3, vcc, v15, v19, vcc
	v_addc_co_u32_e32 v5, vcc, 0, v17, vcc
	v_add_co_u32_e32 v3, vcc, v3, v16
	v_addc_co_u32_e32 v5, vcc, 0, v5, vcc
	v_mul_lo_u32 v13, s37, v3
	v_mul_lo_u32 v15, s36, v5
	v_mad_u64_u32 v[16:17], s[0:1], s36, v3, 0
	v_add3_u32 v13, v17, v15, v13
	v_sub_u32_e32 v15, v11, v13
	v_mov_b32_e32 v17, s37
	v_sub_co_u32_e32 v9, vcc, v9, v16
	v_subb_co_u32_e64 v15, s[0:1], v15, v17, vcc
	v_subrev_co_u32_e64 v16, s[0:1], s36, v9
	v_subbrev_co_u32_e64 v15, s[0:1], 0, v15, s[0:1]
	v_cmp_le_u32_e64 s[0:1], s37, v15
	v_cndmask_b32_e64 v17, 0, -1, s[0:1]
	v_cmp_le_u32_e64 s[0:1], s36, v16
	v_cndmask_b32_e64 v16, 0, -1, s[0:1]
	v_cmp_eq_u32_e64 s[0:1], s37, v15
	v_cndmask_b32_e64 v15, v17, v16, s[0:1]
	v_add_co_u32_e64 v16, s[0:1], 2, v3
	v_subb_co_u32_e32 v11, vcc, v11, v13, vcc
	v_addc_co_u32_e64 v17, s[0:1], 0, v5, s[0:1]
	v_cmp_le_u32_e32 vcc, s37, v11
	v_add_co_u32_e64 v18, s[0:1], 1, v3
	v_cndmask_b32_e64 v13, 0, -1, vcc
	v_cmp_le_u32_e32 vcc, s36, v9
	v_addc_co_u32_e64 v19, s[0:1], 0, v5, s[0:1]
	v_cndmask_b32_e64 v9, 0, -1, vcc
	v_cmp_eq_u32_e32 vcc, s37, v11
	v_cmp_ne_u32_e64 s[0:1], 0, v15
	v_cndmask_b32_e32 v9, v13, v9, vcc
	v_cmp_ne_u32_e32 vcc, 0, v9
	v_cndmask_b32_e64 v9, v18, v16, s[0:1]
	v_cndmask_b32_e64 v15, v19, v17, s[0:1]
	v_cndmask_b32_e32 v3, v3, v9, vcc
	v_xor_b32_e32 v9, s35, v7
	v_xor_b32_e32 v7, s34, v7
	v_cndmask_b32_e32 v5, v5, v15, vcc
	v_xor_b32_e32 v3, v3, v7
	v_xor_b32_e32 v5, v5, v9
	v_sub_co_u32_e32 v16, vcc, v3, v7
	v_subb_co_u32_e32 v17, vcc, v5, v9, vcc
.LBB84_41:                              ;   in Loop: Header=BB84_23 Depth=2
	s_andn2_saveexec_b64 s[0:1], s[30:31]
	s_cbranch_execz .LBB84_43
; %bb.42:                               ;   in Loop: Header=BB84_23 Depth=2
	v_cvt_f32_u32_e32 v3, s57
	s_sub_i32 s16, 0, s57
	v_mov_b32_e32 v17, v2
	v_rcp_iflag_f32_e32 v3, v3
	v_mul_f32_e32 v3, 0x4f7ffffe, v3
	v_cvt_u32_f32_e32 v3, v3
	v_mul_lo_u32 v5, s16, v3
	v_mul_hi_u32 v5, v3, v5
	v_add_u32_e32 v3, v3, v5
	v_mul_hi_u32 v3, v14, v3
	v_mul_lo_u32 v5, v3, s57
	v_sub_u32_e32 v5, v14, v5
	v_add_u32_e32 v7, 1, v3
	v_subrev_u32_e32 v9, s57, v5
	v_cmp_le_u32_e32 vcc, s57, v5
	v_cndmask_b32_e32 v5, v5, v9, vcc
	v_cndmask_b32_e32 v3, v3, v7, vcc
	v_add_u32_e32 v7, 1, v3
	v_cmp_le_u32_e32 vcc, s57, v5
	v_cndmask_b32_e32 v16, v3, v7, vcc
.LBB84_43:                              ;   in Loop: Header=BB84_23 Depth=2
	s_or_b64 exec, exec, s[0:1]
	s_add_u32 s0, s43, s28
	s_addc_u32 s1, s44, s29
	s_add_i32 s16, s26, 2
	s_lshl_b64 s[28:29], s[16:17], 2
	s_add_u32 s30, s39, s28
	s_addc_u32 s31, s40, s29
	s_load_dword s59, s[30:31], 0x0
	s_load_dword s60, s[0:1], 0x0
                                        ; implicit-def: $vgpr18_vgpr19
	s_waitcnt lgkmcnt(0)
	s_ashr_i32 s0, s59, 31
	v_or_b32_e32 v3, s0, v17
	v_cmp_ne_u64_e32 vcc, 0, v[2:3]
	s_and_saveexec_b64 s[30:31], vcc
	s_xor_b64 s[30:31], exec, s[30:31]
	s_cbranch_execz .LBB84_45
; %bb.44:                               ;   in Loop: Header=BB84_23 Depth=2
	s_add_u32 s36, s59, s0
	s_mov_b32 s34, s0
	s_mov_b32 s35, s0
	s_addc_u32 s37, s0, s0
	s_xor_b64 s[36:37], s[36:37], s[34:35]
	v_cvt_f32_u32_e32 v3, s36
	v_cvt_f32_u32_e32 v5, s37
	s_sub_u32 s0, 0, s36
	s_subb_u32 s1, 0, s37
	v_mac_f32_e32 v3, 0x4f800000, v5
	v_rcp_f32_e32 v3, v3
	v_mul_f32_e32 v3, 0x5f7ffffc, v3
	v_mul_f32_e32 v5, 0x2f800000, v3
	v_trunc_f32_e32 v5, v5
	v_mac_f32_e32 v3, 0xcf800000, v5
	v_cvt_u32_f32_e32 v5, v5
	v_cvt_u32_f32_e32 v3, v3
	v_mul_lo_u32 v7, s0, v5
	v_mul_hi_u32 v11, s0, v3
	v_mul_lo_u32 v9, s1, v3
	v_add_u32_e32 v7, v11, v7
	v_mul_lo_u32 v13, s0, v3
	v_add_u32_e32 v7, v7, v9
	v_mul_lo_u32 v11, v3, v7
	v_mul_hi_u32 v15, v3, v13
	v_mul_hi_u32 v9, v3, v7
	v_add_co_u32_e32 v11, vcc, v15, v11
	v_addc_co_u32_e32 v9, vcc, 0, v9, vcc
	v_mul_hi_u32 v18, v5, v13
	v_mul_lo_u32 v13, v5, v13
	v_add_co_u32_e32 v11, vcc, v11, v13
	v_mul_hi_u32 v15, v5, v7
	v_addc_co_u32_e32 v9, vcc, v9, v18, vcc
	v_addc_co_u32_e32 v11, vcc, 0, v15, vcc
	v_mul_lo_u32 v7, v5, v7
	v_add_co_u32_e32 v7, vcc, v9, v7
	v_addc_co_u32_e32 v9, vcc, 0, v11, vcc
	v_add_co_u32_e32 v3, vcc, v3, v7
	v_addc_co_u32_e32 v5, vcc, v5, v9, vcc
	v_mul_lo_u32 v7, s0, v5
	v_mul_hi_u32 v9, s0, v3
	v_add_u32_e32 v7, v9, v7
	v_mul_lo_u32 v9, s1, v3
	v_add_u32_e32 v7, v7, v9
	v_mul_lo_u32 v11, s0, v3
	v_mul_hi_u32 v13, v5, v11
	v_mul_lo_u32 v15, v5, v11
	v_mul_lo_u32 v19, v3, v7
	v_mul_hi_u32 v11, v3, v11
	v_mul_hi_u32 v18, v3, v7
	v_add_co_u32_e32 v11, vcc, v11, v19
	v_addc_co_u32_e32 v18, vcc, 0, v18, vcc
	v_add_co_u32_e32 v11, vcc, v11, v15
	v_mul_hi_u32 v9, v5, v7
	v_addc_co_u32_e32 v11, vcc, v18, v13, vcc
	v_addc_co_u32_e32 v9, vcc, 0, v9, vcc
	v_mul_lo_u32 v7, v5, v7
	v_add_co_u32_e32 v7, vcc, v11, v7
	v_addc_co_u32_e32 v9, vcc, 0, v9, vcc
	v_add_co_u32_e32 v3, vcc, v3, v7
	v_addc_co_u32_e32 v5, vcc, v5, v9, vcc
	v_ashrrev_i32_e32 v7, 31, v17
	v_add_co_u32_e32 v9, vcc, v16, v7
	v_xor_b32_e32 v9, v9, v7
	v_addc_co_u32_e32 v11, vcc, v17, v7, vcc
	v_mad_u64_u32 v[18:19], s[0:1], v9, v5, 0
	v_mul_hi_u32 v13, v9, v3
	v_xor_b32_e32 v11, v11, v7
	v_add_co_u32_e32 v13, vcc, v13, v18
	v_addc_co_u32_e32 v15, vcc, 0, v19, vcc
	v_mad_u64_u32 v[20:21], s[0:1], v11, v3, 0
	v_add_co_u32_e32 v3, vcc, v13, v20
	v_mad_u64_u32 v[18:19], s[0:1], v11, v5, 0
	v_addc_co_u32_e32 v3, vcc, v15, v21, vcc
	v_addc_co_u32_e32 v5, vcc, 0, v19, vcc
	v_add_co_u32_e32 v3, vcc, v3, v18
	v_addc_co_u32_e32 v5, vcc, 0, v5, vcc
	v_mul_lo_u32 v13, s37, v3
	v_mul_lo_u32 v15, s36, v5
	v_mad_u64_u32 v[18:19], s[0:1], s36, v3, 0
	v_add3_u32 v13, v19, v15, v13
	v_sub_u32_e32 v15, v11, v13
	v_mov_b32_e32 v17, s37
	v_sub_co_u32_e32 v9, vcc, v9, v18
	v_subb_co_u32_e64 v15, s[0:1], v15, v17, vcc
	v_subrev_co_u32_e64 v17, s[0:1], s36, v9
	v_subbrev_co_u32_e64 v15, s[0:1], 0, v15, s[0:1]
	v_cmp_le_u32_e64 s[0:1], s37, v15
	v_cndmask_b32_e64 v18, 0, -1, s[0:1]
	v_cmp_le_u32_e64 s[0:1], s36, v17
	v_cndmask_b32_e64 v17, 0, -1, s[0:1]
	v_cmp_eq_u32_e64 s[0:1], s37, v15
	v_cndmask_b32_e64 v15, v18, v17, s[0:1]
	v_add_co_u32_e64 v17, s[0:1], 2, v3
	v_subb_co_u32_e32 v11, vcc, v11, v13, vcc
	v_addc_co_u32_e64 v18, s[0:1], 0, v5, s[0:1]
	v_cmp_le_u32_e32 vcc, s37, v11
	v_add_co_u32_e64 v19, s[0:1], 1, v3
	v_cndmask_b32_e64 v13, 0, -1, vcc
	v_cmp_le_u32_e32 vcc, s36, v9
	v_addc_co_u32_e64 v20, s[0:1], 0, v5, s[0:1]
	v_cndmask_b32_e64 v9, 0, -1, vcc
	v_cmp_eq_u32_e32 vcc, s37, v11
	v_cmp_ne_u32_e64 s[0:1], 0, v15
	v_cndmask_b32_e32 v9, v13, v9, vcc
	v_cmp_ne_u32_e32 vcc, 0, v9
	v_cndmask_b32_e64 v9, v19, v17, s[0:1]
	v_cndmask_b32_e64 v15, v20, v18, s[0:1]
	v_cndmask_b32_e32 v3, v3, v9, vcc
	v_xor_b32_e32 v9, s35, v7
	v_xor_b32_e32 v7, s34, v7
	v_cndmask_b32_e32 v5, v5, v15, vcc
	v_xor_b32_e32 v3, v3, v7
	v_xor_b32_e32 v5, v5, v9
	v_sub_co_u32_e32 v18, vcc, v3, v7
	v_subb_co_u32_e32 v19, vcc, v5, v9, vcc
.LBB84_45:                              ;   in Loop: Header=BB84_23 Depth=2
	s_andn2_saveexec_b64 s[0:1], s[30:31]
	s_cbranch_execz .LBB84_47
; %bb.46:                               ;   in Loop: Header=BB84_23 Depth=2
	v_cvt_f32_u32_e32 v3, s59
	s_sub_i32 s16, 0, s59
	v_mov_b32_e32 v19, v2
	v_rcp_iflag_f32_e32 v3, v3
	v_mul_f32_e32 v3, 0x4f7ffffe, v3
	v_cvt_u32_f32_e32 v3, v3
	v_mul_lo_u32 v5, s16, v3
	v_mul_hi_u32 v5, v3, v5
	v_add_u32_e32 v3, v3, v5
	v_mul_hi_u32 v3, v16, v3
	v_mul_lo_u32 v5, v3, s59
	v_sub_u32_e32 v5, v16, v5
	v_add_u32_e32 v7, 1, v3
	v_subrev_u32_e32 v9, s59, v5
	v_cmp_le_u32_e32 vcc, s59, v5
	v_cndmask_b32_e32 v5, v5, v9, vcc
	v_cndmask_b32_e32 v3, v3, v7, vcc
	v_add_u32_e32 v7, 1, v3
	v_cmp_le_u32_e32 vcc, s59, v5
	v_cndmask_b32_e32 v18, v3, v7, vcc
.LBB84_47:                              ;   in Loop: Header=BB84_23 Depth=2
	s_or_b64 exec, exec, s[0:1]
	s_add_u32 s0, s43, s28
	s_addc_u32 s1, s44, s29
	s_add_i32 s16, s26, 1
	s_lshl_b64 s[28:29], s[16:17], 2
	s_add_u32 s30, s39, s28
	s_addc_u32 s31, s40, s29
	s_load_dword s16, s[30:31], 0x0
	s_load_dword s61, s[0:1], 0x0
                                        ; implicit-def: $vgpr20_vgpr21
	s_waitcnt lgkmcnt(0)
	s_ashr_i32 s0, s16, 31
	v_or_b32_e32 v3, s0, v19
	v_cmp_ne_u64_e32 vcc, 0, v[2:3]
	s_and_saveexec_b64 s[30:31], vcc
	s_xor_b64 s[30:31], exec, s[30:31]
	s_cbranch_execz .LBB84_49
; %bb.48:                               ;   in Loop: Header=BB84_23 Depth=2
	s_add_u32 s36, s16, s0
	s_mov_b32 s34, s0
	s_mov_b32 s35, s0
	s_addc_u32 s37, s0, s0
	s_xor_b64 s[36:37], s[36:37], s[34:35]
	v_cvt_f32_u32_e32 v3, s36
	v_cvt_f32_u32_e32 v5, s37
	s_sub_u32 s0, 0, s36
	s_subb_u32 s1, 0, s37
	v_mac_f32_e32 v3, 0x4f800000, v5
	v_rcp_f32_e32 v3, v3
	v_mul_f32_e32 v3, 0x5f7ffffc, v3
	v_mul_f32_e32 v5, 0x2f800000, v3
	v_trunc_f32_e32 v5, v5
	v_mac_f32_e32 v3, 0xcf800000, v5
	v_cvt_u32_f32_e32 v5, v5
	v_cvt_u32_f32_e32 v3, v3
	v_mul_lo_u32 v7, s0, v5
	v_mul_hi_u32 v11, s0, v3
	v_mul_lo_u32 v9, s1, v3
	v_add_u32_e32 v7, v11, v7
	v_mul_lo_u32 v13, s0, v3
	v_add_u32_e32 v7, v7, v9
	v_mul_lo_u32 v11, v3, v7
	v_mul_hi_u32 v15, v3, v13
	v_mul_hi_u32 v9, v3, v7
	v_add_co_u32_e32 v11, vcc, v15, v11
	v_addc_co_u32_e32 v9, vcc, 0, v9, vcc
	v_mul_hi_u32 v17, v5, v13
	v_mul_lo_u32 v13, v5, v13
	v_add_co_u32_e32 v11, vcc, v11, v13
	v_mul_hi_u32 v15, v5, v7
	v_addc_co_u32_e32 v9, vcc, v9, v17, vcc
	v_addc_co_u32_e32 v11, vcc, 0, v15, vcc
	v_mul_lo_u32 v7, v5, v7
	v_add_co_u32_e32 v7, vcc, v9, v7
	v_addc_co_u32_e32 v9, vcc, 0, v11, vcc
	v_add_co_u32_e32 v3, vcc, v3, v7
	v_addc_co_u32_e32 v5, vcc, v5, v9, vcc
	v_mul_lo_u32 v7, s0, v5
	v_mul_hi_u32 v9, s0, v3
	v_add_u32_e32 v7, v9, v7
	v_mul_lo_u32 v9, s1, v3
	v_add_u32_e32 v7, v7, v9
	v_mul_lo_u32 v11, s0, v3
	v_mul_hi_u32 v13, v5, v11
	v_mul_lo_u32 v15, v5, v11
	v_mul_lo_u32 v20, v3, v7
	v_mul_hi_u32 v11, v3, v11
	v_mul_hi_u32 v17, v3, v7
	v_add_co_u32_e32 v11, vcc, v11, v20
	v_addc_co_u32_e32 v17, vcc, 0, v17, vcc
	v_add_co_u32_e32 v11, vcc, v11, v15
	v_mul_hi_u32 v9, v5, v7
	v_addc_co_u32_e32 v11, vcc, v17, v13, vcc
	v_addc_co_u32_e32 v9, vcc, 0, v9, vcc
	v_mul_lo_u32 v7, v5, v7
	v_add_co_u32_e32 v7, vcc, v11, v7
	v_addc_co_u32_e32 v9, vcc, 0, v9, vcc
	v_add_co_u32_e32 v3, vcc, v3, v7
	v_addc_co_u32_e32 v5, vcc, v5, v9, vcc
	v_ashrrev_i32_e32 v7, 31, v19
	v_add_co_u32_e32 v9, vcc, v18, v7
	v_xor_b32_e32 v9, v9, v7
	v_addc_co_u32_e32 v11, vcc, v19, v7, vcc
	v_mad_u64_u32 v[20:21], s[0:1], v9, v5, 0
	v_mul_hi_u32 v13, v9, v3
	v_xor_b32_e32 v11, v11, v7
	v_add_co_u32_e32 v13, vcc, v13, v20
	v_addc_co_u32_e32 v15, vcc, 0, v21, vcc
	v_mad_u64_u32 v[22:23], s[0:1], v11, v3, 0
	v_add_co_u32_e32 v3, vcc, v13, v22
	v_mad_u64_u32 v[20:21], s[0:1], v11, v5, 0
	v_addc_co_u32_e32 v3, vcc, v15, v23, vcc
	v_addc_co_u32_e32 v5, vcc, 0, v21, vcc
	v_add_co_u32_e32 v3, vcc, v3, v20
	v_addc_co_u32_e32 v5, vcc, 0, v5, vcc
	v_mul_lo_u32 v13, s37, v3
	v_mul_lo_u32 v15, s36, v5
	v_mad_u64_u32 v[20:21], s[0:1], s36, v3, 0
	v_add3_u32 v13, v21, v15, v13
	v_sub_u32_e32 v15, v11, v13
	v_mov_b32_e32 v17, s37
	v_sub_co_u32_e32 v9, vcc, v9, v20
	v_subb_co_u32_e64 v15, s[0:1], v15, v17, vcc
	v_subrev_co_u32_e64 v17, s[0:1], s36, v9
	v_subbrev_co_u32_e64 v15, s[0:1], 0, v15, s[0:1]
	v_cmp_le_u32_e64 s[0:1], s37, v15
	v_cndmask_b32_e64 v19, 0, -1, s[0:1]
	v_cmp_le_u32_e64 s[0:1], s36, v17
	v_cndmask_b32_e64 v17, 0, -1, s[0:1]
	v_cmp_eq_u32_e64 s[0:1], s37, v15
	v_cndmask_b32_e64 v15, v19, v17, s[0:1]
	v_add_co_u32_e64 v17, s[0:1], 2, v3
	v_subb_co_u32_e32 v11, vcc, v11, v13, vcc
	v_addc_co_u32_e64 v19, s[0:1], 0, v5, s[0:1]
	v_cmp_le_u32_e32 vcc, s37, v11
	v_add_co_u32_e64 v20, s[0:1], 1, v3
	v_cndmask_b32_e64 v13, 0, -1, vcc
	v_cmp_le_u32_e32 vcc, s36, v9
	v_addc_co_u32_e64 v21, s[0:1], 0, v5, s[0:1]
	v_cndmask_b32_e64 v9, 0, -1, vcc
	v_cmp_eq_u32_e32 vcc, s37, v11
	v_cmp_ne_u32_e64 s[0:1], 0, v15
	v_cndmask_b32_e32 v9, v13, v9, vcc
	v_cmp_ne_u32_e32 vcc, 0, v9
	v_cndmask_b32_e64 v9, v20, v17, s[0:1]
	v_cndmask_b32_e64 v15, v21, v19, s[0:1]
	v_cndmask_b32_e32 v3, v3, v9, vcc
	v_xor_b32_e32 v9, s35, v7
	v_xor_b32_e32 v7, s34, v7
	v_cndmask_b32_e32 v5, v5, v15, vcc
	v_xor_b32_e32 v3, v3, v7
	v_xor_b32_e32 v5, v5, v9
	v_sub_co_u32_e32 v20, vcc, v3, v7
	v_subb_co_u32_e32 v21, vcc, v5, v9, vcc
.LBB84_49:                              ;   in Loop: Header=BB84_23 Depth=2
	s_andn2_saveexec_b64 s[0:1], s[30:31]
	s_cbranch_execz .LBB84_51
; %bb.50:                               ;   in Loop: Header=BB84_23 Depth=2
	v_cvt_f32_u32_e32 v3, s16
	s_sub_i32 s27, 0, s16
	v_mov_b32_e32 v21, v2
	v_rcp_iflag_f32_e32 v3, v3
	v_mul_f32_e32 v3, 0x4f7ffffe, v3
	v_cvt_u32_f32_e32 v3, v3
	v_mul_lo_u32 v5, s27, v3
	v_mul_hi_u32 v5, v3, v5
	v_add_u32_e32 v3, v3, v5
	v_mul_hi_u32 v3, v18, v3
	v_mul_lo_u32 v5, v3, s16
	v_sub_u32_e32 v5, v18, v5
	v_add_u32_e32 v7, 1, v3
	v_subrev_u32_e32 v9, s16, v5
	v_cmp_le_u32_e32 vcc, s16, v5
	v_cndmask_b32_e32 v5, v5, v9, vcc
	v_cndmask_b32_e32 v3, v3, v7, vcc
	v_add_u32_e32 v7, 1, v3
	v_cmp_le_u32_e32 vcc, s16, v5
	v_cndmask_b32_e32 v20, v3, v7, vcc
.LBB84_51:                              ;   in Loop: Header=BB84_23 Depth=2
	s_or_b64 exec, exec, s[0:1]
	s_add_u32 s0, s43, s28
	s_mov_b32 s27, s17
	s_addc_u32 s1, s44, s29
	s_lshl_b64 s[28:29], s[26:27], 2
	s_add_u32 s30, s39, s28
	s_addc_u32 s31, s40, s29
	s_load_dword s27, s[30:31], 0x0
	s_load_dword s62, s[0:1], 0x0
                                        ; implicit-def: $vgpr22_vgpr23
	s_waitcnt lgkmcnt(0)
	s_ashr_i32 s0, s27, 31
	v_or_b32_e32 v3, s0, v21
	v_cmp_ne_u64_e32 vcc, 0, v[2:3]
	s_and_saveexec_b64 s[30:31], vcc
	s_xor_b64 s[30:31], exec, s[30:31]
	s_cbranch_execz .LBB84_53
; %bb.52:                               ;   in Loop: Header=BB84_23 Depth=2
	s_add_u32 s36, s27, s0
	s_mov_b32 s34, s0
	s_mov_b32 s35, s0
	s_addc_u32 s37, s0, s0
	s_xor_b64 s[36:37], s[36:37], s[34:35]
	v_cvt_f32_u32_e32 v3, s36
	v_cvt_f32_u32_e32 v5, s37
	s_sub_u32 s0, 0, s36
	s_subb_u32 s1, 0, s37
	v_mac_f32_e32 v3, 0x4f800000, v5
	v_rcp_f32_e32 v3, v3
	v_mul_f32_e32 v3, 0x5f7ffffc, v3
	v_mul_f32_e32 v5, 0x2f800000, v3
	v_trunc_f32_e32 v5, v5
	v_mac_f32_e32 v3, 0xcf800000, v5
	v_cvt_u32_f32_e32 v5, v5
	v_cvt_u32_f32_e32 v3, v3
	v_mul_lo_u32 v7, s0, v5
	v_mul_hi_u32 v11, s0, v3
	v_mul_lo_u32 v9, s1, v3
	v_add_u32_e32 v7, v11, v7
	v_mul_lo_u32 v13, s0, v3
	v_add_u32_e32 v7, v7, v9
	v_mul_lo_u32 v11, v3, v7
	v_mul_hi_u32 v15, v3, v13
	v_mul_hi_u32 v9, v3, v7
	v_add_co_u32_e32 v11, vcc, v15, v11
	v_addc_co_u32_e32 v9, vcc, 0, v9, vcc
	v_mul_hi_u32 v17, v5, v13
	v_mul_lo_u32 v13, v5, v13
	v_add_co_u32_e32 v11, vcc, v11, v13
	v_mul_hi_u32 v15, v5, v7
	v_addc_co_u32_e32 v9, vcc, v9, v17, vcc
	v_addc_co_u32_e32 v11, vcc, 0, v15, vcc
	v_mul_lo_u32 v7, v5, v7
	v_add_co_u32_e32 v7, vcc, v9, v7
	v_addc_co_u32_e32 v9, vcc, 0, v11, vcc
	v_add_co_u32_e32 v3, vcc, v3, v7
	v_addc_co_u32_e32 v5, vcc, v5, v9, vcc
	v_mul_lo_u32 v7, s0, v5
	v_mul_hi_u32 v9, s0, v3
	v_add_u32_e32 v7, v9, v7
	v_mul_lo_u32 v9, s1, v3
	v_add_u32_e32 v7, v7, v9
	v_mul_lo_u32 v11, s0, v3
	v_mul_hi_u32 v13, v5, v11
	v_mul_lo_u32 v15, v5, v11
	v_mul_lo_u32 v19, v3, v7
	v_mul_hi_u32 v11, v3, v11
	v_mul_hi_u32 v17, v3, v7
	v_add_co_u32_e32 v11, vcc, v11, v19
	v_addc_co_u32_e32 v17, vcc, 0, v17, vcc
	v_add_co_u32_e32 v11, vcc, v11, v15
	v_mul_hi_u32 v9, v5, v7
	v_addc_co_u32_e32 v11, vcc, v17, v13, vcc
	v_addc_co_u32_e32 v9, vcc, 0, v9, vcc
	v_mul_lo_u32 v7, v5, v7
	v_add_co_u32_e32 v7, vcc, v11, v7
	v_addc_co_u32_e32 v9, vcc, 0, v9, vcc
	v_add_co_u32_e32 v3, vcc, v3, v7
	v_addc_co_u32_e32 v5, vcc, v5, v9, vcc
	v_ashrrev_i32_e32 v7, 31, v21
	v_add_co_u32_e32 v9, vcc, v20, v7
	v_xor_b32_e32 v9, v9, v7
	v_addc_co_u32_e32 v11, vcc, v21, v7, vcc
	v_mad_u64_u32 v[22:23], s[0:1], v9, v5, 0
	v_mul_hi_u32 v13, v9, v3
	v_xor_b32_e32 v11, v11, v7
	v_add_co_u32_e32 v13, vcc, v13, v22
	v_addc_co_u32_e32 v15, vcc, 0, v23, vcc
	v_mad_u64_u32 v[28:29], s[0:1], v11, v3, 0
	v_add_co_u32_e32 v3, vcc, v13, v28
	v_mad_u64_u32 v[22:23], s[0:1], v11, v5, 0
	v_addc_co_u32_e32 v3, vcc, v15, v29, vcc
	v_addc_co_u32_e32 v5, vcc, 0, v23, vcc
	v_add_co_u32_e32 v3, vcc, v3, v22
	v_addc_co_u32_e32 v5, vcc, 0, v5, vcc
	v_mul_lo_u32 v13, s37, v3
	v_mul_lo_u32 v15, s36, v5
	v_mad_u64_u32 v[22:23], s[0:1], s36, v3, 0
	v_add3_u32 v13, v23, v15, v13
	v_sub_u32_e32 v15, v11, v13
	v_mov_b32_e32 v17, s37
	v_sub_co_u32_e32 v9, vcc, v9, v22
	v_subb_co_u32_e64 v15, s[0:1], v15, v17, vcc
	v_subrev_co_u32_e64 v17, s[0:1], s36, v9
	v_subbrev_co_u32_e64 v15, s[0:1], 0, v15, s[0:1]
	v_cmp_le_u32_e64 s[0:1], s37, v15
	v_cndmask_b32_e64 v19, 0, -1, s[0:1]
	v_cmp_le_u32_e64 s[0:1], s36, v17
	v_cndmask_b32_e64 v17, 0, -1, s[0:1]
	v_cmp_eq_u32_e64 s[0:1], s37, v15
	v_cndmask_b32_e64 v15, v19, v17, s[0:1]
	v_add_co_u32_e64 v17, s[0:1], 2, v3
	v_subb_co_u32_e32 v11, vcc, v11, v13, vcc
	v_addc_co_u32_e64 v19, s[0:1], 0, v5, s[0:1]
	v_cmp_le_u32_e32 vcc, s37, v11
	v_add_co_u32_e64 v21, s[0:1], 1, v3
	v_cndmask_b32_e64 v13, 0, -1, vcc
	v_cmp_le_u32_e32 vcc, s36, v9
	v_addc_co_u32_e64 v22, s[0:1], 0, v5, s[0:1]
	v_cndmask_b32_e64 v9, 0, -1, vcc
	v_cmp_eq_u32_e32 vcc, s37, v11
	v_cmp_ne_u32_e64 s[0:1], 0, v15
	v_cndmask_b32_e32 v9, v13, v9, vcc
	v_cmp_ne_u32_e32 vcc, 0, v9
	v_cndmask_b32_e64 v9, v21, v17, s[0:1]
	v_cndmask_b32_e64 v15, v22, v19, s[0:1]
	v_cndmask_b32_e32 v3, v3, v9, vcc
	v_xor_b32_e32 v9, s35, v7
	v_xor_b32_e32 v7, s34, v7
	v_cndmask_b32_e32 v5, v5, v15, vcc
	v_xor_b32_e32 v3, v3, v7
	v_xor_b32_e32 v5, v5, v9
	v_sub_co_u32_e32 v22, vcc, v3, v7
	v_subb_co_u32_e32 v23, vcc, v5, v9, vcc
.LBB84_53:                              ;   in Loop: Header=BB84_23 Depth=2
	s_andn2_saveexec_b64 s[0:1], s[30:31]
	s_cbranch_execz .LBB84_55
; %bb.54:                               ;   in Loop: Header=BB84_23 Depth=2
	v_cvt_f32_u32_e32 v3, s27
	s_sub_i32 s30, 0, s27
	v_mov_b32_e32 v23, v2
	v_rcp_iflag_f32_e32 v3, v3
	v_mul_f32_e32 v3, 0x4f7ffffe, v3
	v_cvt_u32_f32_e32 v3, v3
	v_mul_lo_u32 v5, s30, v3
	v_mul_hi_u32 v5, v3, v5
	v_add_u32_e32 v3, v3, v5
	v_mul_hi_u32 v3, v20, v3
	v_mul_lo_u32 v5, v3, s27
	v_sub_u32_e32 v5, v20, v5
	v_add_u32_e32 v7, 1, v3
	v_subrev_u32_e32 v9, s27, v5
	v_cmp_le_u32_e32 vcc, s27, v5
	v_cndmask_b32_e32 v5, v5, v9, vcc
	v_cndmask_b32_e32 v3, v3, v7, vcc
	v_add_u32_e32 v7, 1, v3
	v_cmp_le_u32_e32 vcc, s27, v5
	v_cndmask_b32_e32 v22, v3, v7, vcc
.LBB84_55:                              ;   in Loop: Header=BB84_23 Depth=2
	s_or_b64 exec, exec, s[0:1]
	v_mul_lo_u32 v3, v8, s50
	v_mul_lo_u32 v5, v10, s51
	v_sub_u32_e32 v3, v6, v3
	v_sub_u32_e32 v5, v8, v5
	v_mul_lo_u32 v3, s52, v3
	v_mul_lo_u32 v5, s54, v5
	v_add3_u32 v3, v3, v4, v5
	v_mul_lo_u32 v4, v12, s53
	v_mul_lo_u32 v5, v14, s55
	v_sub_u32_e32 v4, v10, v4
	v_sub_u32_e32 v5, v12, v5
	s_add_u32 s0, s43, s28
	v_mul_lo_u32 v4, s56, v4
	v_mul_lo_u32 v5, s58, v5
	s_addc_u32 s1, s44, s29
	v_add3_u32 v3, v4, v3, v5
	v_mul_lo_u32 v4, v16, s57
	v_mul_lo_u32 v5, v18, s59
	s_load_dword s0, s[0:1], 0x0
	v_sub_u32_e32 v4, v14, v4
	v_sub_u32_e32 v5, v16, v5
	v_mul_lo_u32 v4, s60, v4
	v_mul_lo_u32 v5, s61, v5
	v_add3_u32 v3, v4, v3, v5
	v_mul_lo_u32 v4, v20, s16
	v_mul_lo_u32 v5, v22, s27
	v_sub_u32_e32 v4, v18, v4
	v_sub_u32_e32 v5, v20, v5
	v_mul_lo_u32 v4, s62, v4
	s_waitcnt lgkmcnt(0)
	v_mul_lo_u32 v5, s0, v5
	s_add_i32 s26, s26, -8
	s_cmp_eq_u32 s26, -8
	v_add3_u32 v4, v4, v3, v5
	s_cbranch_scc1 .LBB84_57
; %bb.56:                               ;   in Loop: Header=BB84_23 Depth=2
	v_pk_mov_b32 v[6:7], v[22:23], v[22:23] op_sel:[0,1]
	s_branch .LBB84_23
.LBB84_57:                              ;   in Loop: Header=BB84_3 Depth=1
	s_load_dword s0, s[14:15], 0x0
	s_waitcnt lgkmcnt(0)
	v_cmp_gt_i32_e32 vcc, s0, v26
	s_and_b64 exec, exec, vcc
	s_cbranch_execz .LBB84_2
; %bb.58:                               ;   in Loop: Header=BB84_3 Depth=1
	v_ashrrev_i32_e32 v5, 31, v4
	v_lshlrev_b64 v[6:7], 3, v[4:5]
	v_mov_b32_e32 v3, s3
	v_add_co_u32_e32 v6, vcc, s2, v6
	v_addc_co_u32_e32 v7, vcc, v3, v7, vcc
	v_mov_b32_e32 v3, v2
	global_store_dwordx2 v[6:7], v[2:3], off
	v_add_u32_e32 v3, 1, v26
	v_cmp_gt_i32_e32 vcc, s0, v3
	s_and_b64 exec, exec, vcc
	s_cbranch_execz .LBB84_2
; %bb.59:                               ;   in Loop: Header=BB84_3 Depth=1
	v_sub_u32_e32 v6, v3, v25
	v_ashrrev_i32_e32 v7, 31, v6
	v_cmp_gt_i64_e32 vcc, s[8:9], v[6:7]
	s_and_b64 exec, exec, vcc
	s_cbranch_execz .LBB84_2
; %bb.60:                               ;   in Loop: Header=BB84_3 Depth=1
	v_add_u32_e32 v4, s49, v4
	v_ashrrev_i32_e32 v5, 31, v4
	v_lshlrev_b64 v[4:5], 3, v[4:5]
	v_mov_b32_e32 v3, s3
	v_add_co_u32_e32 v4, vcc, s2, v4
	v_addc_co_u32_e32 v5, vcc, v3, v5, vcc
	v_mov_b32_e32 v3, v2
	global_store_dwordx2 v[4:5], v[2:3], off
	s_branch .LBB84_2
.LBB84_61:
	s_endpgm
	.section	.rodata,"a",@progbits
	.p2align	6, 0x0
	.amdhsa_kernel _ZN2at6native16triu_tril_kernelIN3c107complexIfEEiLb1ELi2ELb1EEEvNS_4cuda6detail10TensorInfoIT_T0_EENS7_IKS8_S9_EEllS9_
		.amdhsa_group_segment_fixed_size 0
		.amdhsa_private_segment_fixed_size 0
		.amdhsa_kernarg_size 712
		.amdhsa_user_sgpr_count 6
		.amdhsa_user_sgpr_private_segment_buffer 1
		.amdhsa_user_sgpr_dispatch_ptr 0
		.amdhsa_user_sgpr_queue_ptr 0
		.amdhsa_user_sgpr_kernarg_segment_ptr 1
		.amdhsa_user_sgpr_dispatch_id 0
		.amdhsa_user_sgpr_flat_scratch_init 0
		.amdhsa_user_sgpr_kernarg_preload_length 0
		.amdhsa_user_sgpr_kernarg_preload_offset 0
		.amdhsa_user_sgpr_private_segment_size 0
		.amdhsa_uses_dynamic_stack 0
		.amdhsa_system_sgpr_private_segment_wavefront_offset 0
		.amdhsa_system_sgpr_workgroup_id_x 1
		.amdhsa_system_sgpr_workgroup_id_y 0
		.amdhsa_system_sgpr_workgroup_id_z 0
		.amdhsa_system_sgpr_workgroup_info 0
		.amdhsa_system_vgpr_workitem_id 0
		.amdhsa_next_free_vgpr 30
		.amdhsa_next_free_sgpr 63
		.amdhsa_accum_offset 32
		.amdhsa_reserve_vcc 1
		.amdhsa_reserve_flat_scratch 0
		.amdhsa_float_round_mode_32 0
		.amdhsa_float_round_mode_16_64 0
		.amdhsa_float_denorm_mode_32 3
		.amdhsa_float_denorm_mode_16_64 3
		.amdhsa_dx10_clamp 1
		.amdhsa_ieee_mode 1
		.amdhsa_fp16_overflow 0
		.amdhsa_tg_split 0
		.amdhsa_exception_fp_ieee_invalid_op 0
		.amdhsa_exception_fp_denorm_src 0
		.amdhsa_exception_fp_ieee_div_zero 0
		.amdhsa_exception_fp_ieee_overflow 0
		.amdhsa_exception_fp_ieee_underflow 0
		.amdhsa_exception_fp_ieee_inexact 0
		.amdhsa_exception_int_div_zero 0
	.end_amdhsa_kernel
	.section	.text._ZN2at6native16triu_tril_kernelIN3c107complexIfEEiLb1ELi2ELb1EEEvNS_4cuda6detail10TensorInfoIT_T0_EENS7_IKS8_S9_EEllS9_,"axG",@progbits,_ZN2at6native16triu_tril_kernelIN3c107complexIfEEiLb1ELi2ELb1EEEvNS_4cuda6detail10TensorInfoIT_T0_EENS7_IKS8_S9_EEllS9_,comdat
.Lfunc_end84:
	.size	_ZN2at6native16triu_tril_kernelIN3c107complexIfEEiLb1ELi2ELb1EEEvNS_4cuda6detail10TensorInfoIT_T0_EENS7_IKS8_S9_EEllS9_, .Lfunc_end84-_ZN2at6native16triu_tril_kernelIN3c107complexIfEEiLb1ELi2ELb1EEEvNS_4cuda6detail10TensorInfoIT_T0_EENS7_IKS8_S9_EEllS9_
                                        ; -- End function
	.section	.AMDGPU.csdata,"",@progbits
; Kernel info:
; codeLenInByte = 10120
; NumSgprs: 67
; NumVgprs: 30
; NumAgprs: 0
; TotalNumVgprs: 30
; ScratchSize: 0
; MemoryBound: 0
; FloatMode: 240
; IeeeMode: 1
; LDSByteSize: 0 bytes/workgroup (compile time only)
; SGPRBlocks: 8
; VGPRBlocks: 3
; NumSGPRsForWavesPerEU: 67
; NumVGPRsForWavesPerEU: 30
; AccumOffset: 32
; Occupancy: 8
; WaveLimiterHint : 0
; COMPUTE_PGM_RSRC2:SCRATCH_EN: 0
; COMPUTE_PGM_RSRC2:USER_SGPR: 6
; COMPUTE_PGM_RSRC2:TRAP_HANDLER: 0
; COMPUTE_PGM_RSRC2:TGID_X_EN: 1
; COMPUTE_PGM_RSRC2:TGID_Y_EN: 0
; COMPUTE_PGM_RSRC2:TGID_Z_EN: 0
; COMPUTE_PGM_RSRC2:TIDIG_COMP_CNT: 0
; COMPUTE_PGM_RSRC3_GFX90A:ACCUM_OFFSET: 7
; COMPUTE_PGM_RSRC3_GFX90A:TG_SPLIT: 0
	.section	.text._ZN2at6native16triu_tril_kernelIN3c107complexIfEEiLb1ELi2ELb0EEEvNS_4cuda6detail10TensorInfoIT_T0_EENS7_IKS8_S9_EEllS9_,"axG",@progbits,_ZN2at6native16triu_tril_kernelIN3c107complexIfEEiLb1ELi2ELb0EEEvNS_4cuda6detail10TensorInfoIT_T0_EENS7_IKS8_S9_EEllS9_,comdat
	.protected	_ZN2at6native16triu_tril_kernelIN3c107complexIfEEiLb1ELi2ELb0EEEvNS_4cuda6detail10TensorInfoIT_T0_EENS7_IKS8_S9_EEllS9_ ; -- Begin function _ZN2at6native16triu_tril_kernelIN3c107complexIfEEiLb1ELi2ELb0EEEvNS_4cuda6detail10TensorInfoIT_T0_EENS7_IKS8_S9_EEllS9_
	.globl	_ZN2at6native16triu_tril_kernelIN3c107complexIfEEiLb1ELi2ELb0EEEvNS_4cuda6detail10TensorInfoIT_T0_EENS7_IKS8_S9_EEllS9_
	.p2align	8
	.type	_ZN2at6native16triu_tril_kernelIN3c107complexIfEEiLb1ELi2ELb0EEEvNS_4cuda6detail10TensorInfoIT_T0_EENS7_IKS8_S9_EEllS9_,@function
_ZN2at6native16triu_tril_kernelIN3c107complexIfEEiLb1ELi2ELb0EEEvNS_4cuda6detail10TensorInfoIT_T0_EENS7_IKS8_S9_EEllS9_: ; @_ZN2at6native16triu_tril_kernelIN3c107complexIfEEiLb1ELi2ELb0EEEvNS_4cuda6detail10TensorInfoIT_T0_EENS7_IKS8_S9_EEllS9_
; %bb.0:
	s_load_dword s2, s[4:5], 0x1d4
	s_load_dwordx4 s[8:11], s[4:5], 0x1b0
	s_add_u32 s0, s4, 0x1c8
	v_mov_b32_e32 v2, 0
	s_addc_u32 s1, s5, 0
	s_waitcnt lgkmcnt(0)
	s_and_b32 s2, s2, 0xffff
	v_mov_b32_e32 v1, v2
	v_mov_b32_e32 v3, s6
	v_mad_u64_u32 v[0:1], s[6:7], s2, v3, v[0:1]
	v_lshlrev_b64 v[0:1], 1, v[0:1]
	v_cmp_gt_i64_e32 vcc, s[10:11], v[0:1]
	s_and_saveexec_b64 s[6:7], vcc
	s_cbranch_execz .LBB85_52
; %bb.1:
	s_load_dword s20, s[4:5], 0x1a8
	s_add_u32 s33, s4, 0xd8
	s_addc_u32 s42, s5, 0
	s_load_dword s3, s[0:1], 0x0
	s_load_dwordx2 s[6:7], s[4:5], 0xd8
	s_mov_b64 s[26:27], 0
	s_waitcnt lgkmcnt(0)
	s_ashr_i32 s21, s20, 31
	s_lshl_b64 s[0:1], s[20:21], 2
	s_add_u32 s18, s0, -8
	s_addc_u32 s19, s1, -1
	s_add_u32 s0, s33, s18
	s_addc_u32 s1, s42, s19
	s_load_dwordx2 s[12:13], s[0:1], 0x8
	s_load_dword s43, s[4:5], 0x1c0
	s_load_dwordx2 s[16:17], s[0:1], 0x6c
	s_mul_i32 s3, s3, s2
	v_cmp_gt_i64_e64 s[14:15], s[20:21], 2
	s_waitcnt lgkmcnt(0)
	s_ashr_i32 s44, s12, 31
	v_cvt_f32_u32_e32 v3, s43
	s_ashr_i32 s45, s43, 31
	s_add_u32 s46, s4, 0x6c
	s_addc_u32 s47, s5, 0
	s_add_u32 s0, s46, s18
	v_rcp_iflag_f32_e32 v3, v3
	s_addc_u32 s1, s47, s19
	s_load_dwordx2 s[18:19], s[0:1], 0x0
	s_add_i32 s48, s20, -3
	s_load_dwordx2 s[4:5], s[4:5], 0x0
	s_lshl_b32 s49, s3, 1
	s_and_b32 s51, s20, 3
	v_mul_f32_e32 v3, 0x4f7ffffe, v3
	s_cmp_lg_u32 s51, 2
	v_cvt_u32_f32_e32 v22, v3
	s_cselect_b64 s[22:23], -1, 0
	s_cmp_gt_u32 s48, 2
	s_mov_b32 s21, 0
	s_cselect_b64 s[24:25], -1, 0
	s_ashr_i32 s1, s17, 31
	s_mov_b32 s0, s17
	s_waitcnt lgkmcnt(0)
	s_ashr_i32 s3, s19, 31
	s_mov_b32 s2, s19
	s_mov_b32 s50, s21
	s_lshl_b64 s[28:29], s[0:1], 3
	s_lshl_b64 s[30:31], s[2:3], 3
	s_branch .LBB85_3
.LBB85_2:                               ;   in Loop: Header=BB85_3 Depth=1
	s_or_b64 exec, exec, s[0:1]
	v_mov_b32_e32 v3, s50
	v_add_co_u32_e32 v0, vcc, s49, v0
	v_addc_co_u32_e32 v1, vcc, v1, v3, vcc
	v_cmp_le_i64_e32 vcc, s[10:11], v[0:1]
	s_or_b64 s[26:27], vcc, s[26:27]
	s_andn2_b64 exec, exec, s[26:27]
	s_cbranch_execz .LBB85_52
.LBB85_3:                               ; =>This Loop Header: Depth=1
                                        ;     Child Loop BB85_37 Depth 2
                                        ;     Child Loop BB85_18 Depth 2
	v_or_b32_e32 v3, s45, v1
	v_cmp_ne_u64_e32 vcc, 0, v[2:3]
                                        ; implicit-def: $vgpr4_vgpr5
                                        ; implicit-def: $vgpr14_vgpr15
	s_and_saveexec_b64 s[0:1], vcc
	s_xor_b64 s[34:35], exec, s[0:1]
	s_cbranch_execz .LBB85_5
; %bb.4:                                ;   in Loop: Header=BB85_3 Depth=1
	s_add_u32 s0, s43, s45
	s_mov_b32 s2, s45
	s_mov_b32 s3, s45
	s_addc_u32 s1, s45, s45
	s_xor_b64 s[36:37], s[0:1], s[2:3]
	v_cvt_f32_u32_e32 v3, s36
	v_cvt_f32_u32_e32 v4, s37
	s_sub_u32 s0, 0, s36
	s_subb_u32 s1, 0, s37
	v_mac_f32_e32 v3, 0x4f800000, v4
	v_rcp_f32_e32 v3, v3
	v_mul_f32_e32 v3, 0x5f7ffffc, v3
	v_mul_f32_e32 v4, 0x2f800000, v3
	v_trunc_f32_e32 v4, v4
	v_mac_f32_e32 v3, 0xcf800000, v4
	v_cvt_u32_f32_e32 v4, v4
	v_cvt_u32_f32_e32 v3, v3
	v_mul_lo_u32 v5, s0, v4
	v_mul_hi_u32 v7, s0, v3
	v_mul_lo_u32 v6, s1, v3
	v_add_u32_e32 v5, v7, v5
	v_mul_lo_u32 v8, s0, v3
	v_add_u32_e32 v5, v5, v6
	v_mul_lo_u32 v7, v3, v5
	v_mul_hi_u32 v9, v3, v8
	v_mul_hi_u32 v6, v3, v5
	v_add_co_u32_e32 v7, vcc, v9, v7
	v_addc_co_u32_e32 v6, vcc, 0, v6, vcc
	v_mul_hi_u32 v10, v4, v8
	v_mul_lo_u32 v8, v4, v8
	v_add_co_u32_e32 v7, vcc, v7, v8
	v_mul_hi_u32 v9, v4, v5
	v_addc_co_u32_e32 v6, vcc, v6, v10, vcc
	v_addc_co_u32_e32 v7, vcc, 0, v9, vcc
	v_mul_lo_u32 v5, v4, v5
	v_add_co_u32_e32 v5, vcc, v6, v5
	v_addc_co_u32_e32 v6, vcc, 0, v7, vcc
	v_add_co_u32_e32 v3, vcc, v3, v5
	v_addc_co_u32_e32 v4, vcc, v4, v6, vcc
	v_mul_lo_u32 v5, s0, v4
	v_mul_hi_u32 v6, s0, v3
	v_add_u32_e32 v5, v6, v5
	v_mul_lo_u32 v6, s1, v3
	v_add_u32_e32 v5, v5, v6
	v_mul_lo_u32 v7, s0, v3
	v_mul_hi_u32 v8, v4, v7
	v_mul_lo_u32 v9, v4, v7
	v_mul_lo_u32 v11, v3, v5
	v_mul_hi_u32 v7, v3, v7
	v_mul_hi_u32 v10, v3, v5
	v_add_co_u32_e32 v7, vcc, v7, v11
	v_addc_co_u32_e32 v10, vcc, 0, v10, vcc
	v_add_co_u32_e32 v7, vcc, v7, v9
	v_mul_hi_u32 v6, v4, v5
	v_addc_co_u32_e32 v7, vcc, v10, v8, vcc
	v_addc_co_u32_e32 v6, vcc, 0, v6, vcc
	v_mul_lo_u32 v5, v4, v5
	v_add_co_u32_e32 v5, vcc, v7, v5
	v_addc_co_u32_e32 v6, vcc, 0, v6, vcc
	v_add_co_u32_e32 v3, vcc, v3, v5
	v_addc_co_u32_e32 v6, vcc, v4, v6, vcc
	v_ashrrev_i32_e32 v8, 31, v1
	v_add_co_u32_e32 v4, vcc, v0, v8
	v_addc_co_u32_e32 v5, vcc, v1, v8, vcc
	v_xor_b32_e32 v10, v4, v8
	v_xor_b32_e32 v9, v5, v8
	v_mad_u64_u32 v[4:5], s[0:1], v10, v6, 0
	v_mul_hi_u32 v7, v10, v3
	v_add_co_u32_e32 v11, vcc, v7, v4
	v_addc_co_u32_e32 v12, vcc, 0, v5, vcc
	v_mad_u64_u32 v[4:5], s[0:1], v9, v6, 0
	v_mad_u64_u32 v[6:7], s[0:1], v9, v3, 0
	v_add_co_u32_e32 v3, vcc, v11, v6
	v_addc_co_u32_e32 v3, vcc, v12, v7, vcc
	v_addc_co_u32_e32 v5, vcc, 0, v5, vcc
	v_add_co_u32_e32 v3, vcc, v3, v4
	v_addc_co_u32_e32 v6, vcc, 0, v5, vcc
	v_mul_lo_u32 v7, s37, v3
	v_mul_lo_u32 v11, s36, v6
	v_mad_u64_u32 v[4:5], s[0:1], s36, v3, 0
	v_add3_u32 v5, v5, v11, v7
	v_sub_u32_e32 v7, v9, v5
	v_mov_b32_e32 v11, s37
	v_sub_co_u32_e32 v4, vcc, v10, v4
	v_subb_co_u32_e64 v7, s[0:1], v7, v11, vcc
	v_subrev_co_u32_e64 v10, s[0:1], s36, v4
	v_subbrev_co_u32_e64 v7, s[0:1], 0, v7, s[0:1]
	v_cmp_le_u32_e64 s[0:1], s37, v7
	v_cndmask_b32_e64 v11, 0, -1, s[0:1]
	v_cmp_le_u32_e64 s[0:1], s36, v10
	v_cndmask_b32_e64 v12, 0, -1, s[0:1]
	v_cmp_eq_u32_e64 s[0:1], s37, v7
	v_cndmask_b32_e64 v7, v11, v12, s[0:1]
	v_add_co_u32_e64 v11, s[0:1], 2, v3
	v_addc_co_u32_e64 v12, s[0:1], 0, v6, s[0:1]
	v_add_co_u32_e64 v13, s[0:1], 1, v3
	v_subb_co_u32_e32 v5, vcc, v9, v5, vcc
	v_addc_co_u32_e64 v14, s[0:1], 0, v6, s[0:1]
	v_cmp_le_u32_e32 vcc, s37, v5
	v_cmp_ne_u32_e64 s[0:1], 0, v7
	v_cndmask_b32_e64 v9, 0, -1, vcc
	v_cmp_le_u32_e32 vcc, s36, v4
	v_cndmask_b32_e64 v7, v14, v12, s[0:1]
	v_cndmask_b32_e64 v12, 0, -1, vcc
	v_cmp_eq_u32_e32 vcc, s37, v5
	v_cndmask_b32_e32 v5, v9, v12, vcc
	v_cmp_ne_u32_e32 vcc, 0, v5
	v_cndmask_b32_e32 v5, v6, v7, vcc
	v_cndmask_b32_e64 v6, v13, v11, s[0:1]
	v_cndmask_b32_e32 v3, v3, v6, vcc
	v_xor_b32_e32 v7, s2, v8
	v_xor_b32_e32 v6, s3, v8
	;; [unrolled: 1-line block ×4, first 2 shown]
	v_sub_co_u32_e64 v14, s[2:3], v3, v7
	v_subb_co_u32_e64 v15, s[2:3], v5, v6, s[2:3]
	v_subrev_co_u32_e64 v3, s[2:3], s36, v10
	v_cndmask_b32_e64 v3, v10, v3, s[0:1]
	v_cndmask_b32_e32 v3, v4, v3, vcc
	v_xor_b32_e32 v3, v3, v8
	v_sub_co_u32_e32 v4, vcc, v3, v8
.LBB85_5:                               ;   in Loop: Header=BB85_3 Depth=1
	s_andn2_saveexec_b64 s[2:3], s[34:35]
	s_cbranch_execz .LBB85_7
; %bb.6:                                ;   in Loop: Header=BB85_3 Depth=1
	s_sub_i32 s0, 0, s43
	v_mul_lo_u32 v3, s0, v22
	v_mul_hi_u32 v3, v22, v3
	v_add_u32_e32 v3, v22, v3
	v_mul_hi_u32 v3, v0, v3
	v_mul_lo_u32 v4, v3, s43
	v_sub_u32_e32 v4, v0, v4
	v_subrev_u32_e32 v5, s43, v4
	v_cmp_le_u32_e32 vcc, s43, v4
	v_cndmask_b32_e32 v4, v4, v5, vcc
	v_subrev_u32_e32 v5, s43, v4
	v_cmp_le_u32_e64 s[0:1], s43, v4
	v_cndmask_b32_e64 v4, v4, v5, s[0:1]
	v_add_u32_e32 v5, 1, v3
	v_cndmask_b32_e32 v3, v3, v5, vcc
	v_add_u32_e32 v5, 1, v3
	v_cndmask_b32_e64 v14, v3, v5, s[0:1]
	v_mov_b32_e32 v15, v2
.LBB85_7:                               ;   in Loop: Header=BB85_3 Depth=1
	s_or_b64 exec, exec, s[2:3]
	v_or_b32_e32 v3, s44, v15
	v_cmp_ne_u64_e32 vcc, 0, v[2:3]
                                        ; implicit-def: $vgpr8_vgpr9
	s_and_saveexec_b64 s[0:1], vcc
	s_xor_b64 s[2:3], exec, s[0:1]
	s_cbranch_execz .LBB85_9
; %bb.8:                                ;   in Loop: Header=BB85_3 Depth=1
	s_add_u32 s34, s12, s44
	s_mov_b32 s0, s44
	s_mov_b32 s1, s44
	s_addc_u32 s35, s44, s44
	s_xor_b64 s[34:35], s[34:35], s[0:1]
	v_cvt_f32_u32_e32 v5, s34
	v_cvt_f32_u32_e32 v6, s35
	s_sub_u32 s0, 0, s34
	s_subb_u32 s1, 0, s35
	v_mac_f32_e32 v5, 0x4f800000, v6
	v_rcp_f32_e32 v5, v5
	v_mul_f32_e32 v5, 0x5f7ffffc, v5
	v_mul_f32_e32 v6, 0x2f800000, v5
	v_trunc_f32_e32 v6, v6
	v_mac_f32_e32 v5, 0xcf800000, v6
	v_cvt_u32_f32_e32 v6, v6
	v_cvt_u32_f32_e32 v5, v5
	v_mul_lo_u32 v7, s0, v6
	v_mul_hi_u32 v9, s0, v5
	v_mul_lo_u32 v8, s1, v5
	v_add_u32_e32 v7, v9, v7
	v_mul_lo_u32 v10, s0, v5
	v_add_u32_e32 v7, v7, v8
	v_mul_lo_u32 v9, v5, v7
	v_mul_hi_u32 v11, v5, v10
	v_mul_hi_u32 v8, v5, v7
	v_add_co_u32_e32 v9, vcc, v11, v9
	v_addc_co_u32_e32 v8, vcc, 0, v8, vcc
	v_mul_hi_u32 v12, v6, v10
	v_mul_lo_u32 v10, v6, v10
	v_add_co_u32_e32 v9, vcc, v9, v10
	v_mul_hi_u32 v11, v6, v7
	v_addc_co_u32_e32 v8, vcc, v8, v12, vcc
	v_addc_co_u32_e32 v9, vcc, 0, v11, vcc
	v_mul_lo_u32 v7, v6, v7
	v_add_co_u32_e32 v7, vcc, v8, v7
	v_addc_co_u32_e32 v8, vcc, 0, v9, vcc
	v_add_co_u32_e32 v5, vcc, v5, v7
	v_addc_co_u32_e32 v6, vcc, v6, v8, vcc
	v_mul_lo_u32 v7, s0, v6
	v_mul_hi_u32 v8, s0, v5
	v_add_u32_e32 v7, v8, v7
	v_mul_lo_u32 v8, s1, v5
	v_add_u32_e32 v7, v7, v8
	v_mul_lo_u32 v9, s0, v5
	v_mul_hi_u32 v10, v6, v9
	v_mul_lo_u32 v11, v6, v9
	v_mul_lo_u32 v13, v5, v7
	v_mul_hi_u32 v9, v5, v9
	v_mul_hi_u32 v12, v5, v7
	v_add_co_u32_e32 v9, vcc, v9, v13
	v_addc_co_u32_e32 v12, vcc, 0, v12, vcc
	v_add_co_u32_e32 v9, vcc, v9, v11
	v_mul_hi_u32 v8, v6, v7
	v_addc_co_u32_e32 v9, vcc, v12, v10, vcc
	v_addc_co_u32_e32 v8, vcc, 0, v8, vcc
	v_mul_lo_u32 v7, v6, v7
	v_add_co_u32_e32 v7, vcc, v9, v7
	v_addc_co_u32_e32 v8, vcc, 0, v8, vcc
	v_add_co_u32_e32 v5, vcc, v5, v7
	v_addc_co_u32_e32 v8, vcc, v6, v8, vcc
	v_ashrrev_i32_e32 v10, 31, v15
	v_add_co_u32_e32 v6, vcc, v14, v10
	v_addc_co_u32_e32 v7, vcc, v15, v10, vcc
	v_xor_b32_e32 v12, v6, v10
	v_xor_b32_e32 v11, v7, v10
	v_mad_u64_u32 v[6:7], s[0:1], v12, v8, 0
	v_mul_hi_u32 v9, v12, v5
	v_add_co_u32_e32 v13, vcc, v9, v6
	v_addc_co_u32_e32 v16, vcc, 0, v7, vcc
	v_mad_u64_u32 v[6:7], s[0:1], v11, v8, 0
	v_mad_u64_u32 v[8:9], s[0:1], v11, v5, 0
	v_add_co_u32_e32 v5, vcc, v13, v8
	v_addc_co_u32_e32 v5, vcc, v16, v9, vcc
	v_addc_co_u32_e32 v7, vcc, 0, v7, vcc
	v_add_co_u32_e32 v5, vcc, v5, v6
	v_addc_co_u32_e32 v6, vcc, 0, v7, vcc
	v_mul_lo_u32 v8, s35, v5
	v_mul_lo_u32 v9, s34, v6
	v_mad_u64_u32 v[6:7], s[0:1], s34, v5, 0
	v_add3_u32 v5, v7, v9, v8
	v_sub_u32_e32 v7, v11, v5
	v_mov_b32_e32 v8, s35
	v_sub_co_u32_e32 v6, vcc, v12, v6
	v_subb_co_u32_e64 v7, s[0:1], v7, v8, vcc
	v_subrev_co_u32_e64 v8, s[0:1], s34, v6
	v_subbrev_co_u32_e64 v7, s[0:1], 0, v7, s[0:1]
	v_cmp_le_u32_e64 s[0:1], s35, v7
	v_subb_co_u32_e32 v5, vcc, v11, v5, vcc
	v_cndmask_b32_e64 v9, 0, -1, s[0:1]
	v_cmp_le_u32_e64 s[0:1], s34, v8
	v_cmp_le_u32_e32 vcc, s35, v5
	v_cndmask_b32_e64 v12, 0, -1, s[0:1]
	v_cmp_eq_u32_e64 s[0:1], s35, v7
	v_cndmask_b32_e64 v11, 0, -1, vcc
	v_cmp_le_u32_e32 vcc, s34, v6
	v_cndmask_b32_e64 v7, v9, v12, s[0:1]
	v_cndmask_b32_e64 v12, 0, -1, vcc
	v_cmp_eq_u32_e32 vcc, s35, v5
	v_subrev_co_u32_e64 v9, s[0:1], s34, v8
	v_cndmask_b32_e32 v5, v11, v12, vcc
	v_cmp_ne_u32_e32 vcc, 0, v7
	v_cndmask_b32_e32 v7, v8, v9, vcc
	v_cmp_ne_u32_e32 vcc, 0, v5
	v_cndmask_b32_e32 v5, v6, v7, vcc
	v_xor_b32_e32 v5, v5, v10
	v_sub_co_u32_e32 v8, vcc, v5, v10
.LBB85_9:                               ;   in Loop: Header=BB85_3 Depth=1
	s_andn2_saveexec_b64 s[0:1], s[2:3]
	s_cbranch_execz .LBB85_11
; %bb.10:                               ;   in Loop: Header=BB85_3 Depth=1
	v_cvt_f32_u32_e32 v5, s12
	s_sub_i32 s2, 0, s12
	v_rcp_iflag_f32_e32 v5, v5
	v_mul_f32_e32 v5, 0x4f7ffffe, v5
	v_cvt_u32_f32_e32 v5, v5
	v_mul_lo_u32 v6, s2, v5
	v_mul_hi_u32 v6, v5, v6
	v_add_u32_e32 v5, v5, v6
	v_mul_hi_u32 v5, v14, v5
	v_mul_lo_u32 v5, v5, s12
	v_sub_u32_e32 v5, v14, v5
	v_subrev_u32_e32 v6, s12, v5
	v_cmp_le_u32_e32 vcc, s12, v5
	v_cndmask_b32_e32 v5, v5, v6, vcc
	v_subrev_u32_e32 v6, s12, v5
	v_cmp_le_u32_e32 vcc, s12, v5
	v_cndmask_b32_e32 v8, v5, v6, vcc
.LBB85_11:                              ;   in Loop: Header=BB85_3 Depth=1
	s_or_b64 exec, exec, s[0:1]
	v_mul_lo_u32 v6, s17, v4
	v_mad_u64_u32 v[10:11], s[0:1], s16, v8, v[6:7]
	v_mul_lo_u32 v6, s19, v4
	s_andn2_b64 vcc, exec, s[14:15]
	v_mad_u64_u32 v[6:7], s[0:1], s18, v8, v[6:7]
	s_cbranch_vccnz .LBB85_41
; %bb.12:                               ;   in Loop: Header=BB85_3 Depth=1
	v_cmp_ne_u64_e32 vcc, 0, v[2:3]
                                        ; implicit-def: $vgpr12_vgpr13
	s_and_saveexec_b64 s[0:1], vcc
	s_xor_b64 s[2:3], exec, s[0:1]
	s_cbranch_execz .LBB85_14
; %bb.13:                               ;   in Loop: Header=BB85_3 Depth=1
	s_add_u32 s0, s12, s44
	s_mov_b32 s34, s44
	s_mov_b32 s35, s44
	s_addc_u32 s1, s44, s44
	s_xor_b64 s[36:37], s[0:1], s[34:35]
	v_cvt_f32_u32_e32 v3, s36
	v_cvt_f32_u32_e32 v5, s37
	s_sub_u32 s0, 0, s36
	s_subb_u32 s1, 0, s37
	v_mac_f32_e32 v3, 0x4f800000, v5
	v_rcp_f32_e32 v3, v3
	v_mul_f32_e32 v3, 0x5f7ffffc, v3
	v_mul_f32_e32 v5, 0x2f800000, v3
	v_trunc_f32_e32 v5, v5
	v_mac_f32_e32 v3, 0xcf800000, v5
	v_cvt_u32_f32_e32 v5, v5
	v_cvt_u32_f32_e32 v3, v3
	v_mul_lo_u32 v7, s0, v5
	v_mul_hi_u32 v11, s0, v3
	v_mul_lo_u32 v9, s1, v3
	v_add_u32_e32 v7, v11, v7
	v_mul_lo_u32 v12, s0, v3
	v_add_u32_e32 v7, v7, v9
	v_mul_lo_u32 v11, v3, v7
	v_mul_hi_u32 v13, v3, v12
	v_mul_hi_u32 v9, v3, v7
	v_add_co_u32_e32 v11, vcc, v13, v11
	v_addc_co_u32_e32 v9, vcc, 0, v9, vcc
	v_mul_hi_u32 v16, v5, v12
	v_mul_lo_u32 v12, v5, v12
	v_add_co_u32_e32 v11, vcc, v11, v12
	v_mul_hi_u32 v13, v5, v7
	v_addc_co_u32_e32 v9, vcc, v9, v16, vcc
	v_addc_co_u32_e32 v11, vcc, 0, v13, vcc
	v_mul_lo_u32 v7, v5, v7
	v_add_co_u32_e32 v7, vcc, v9, v7
	v_addc_co_u32_e32 v9, vcc, 0, v11, vcc
	v_add_co_u32_e32 v3, vcc, v3, v7
	v_addc_co_u32_e32 v5, vcc, v5, v9, vcc
	v_mul_lo_u32 v7, s0, v5
	v_mul_hi_u32 v9, s0, v3
	v_add_u32_e32 v7, v9, v7
	v_mul_lo_u32 v9, s1, v3
	v_add_u32_e32 v7, v7, v9
	v_mul_lo_u32 v11, s0, v3
	v_mul_hi_u32 v12, v5, v11
	v_mul_lo_u32 v13, v5, v11
	v_mul_lo_u32 v17, v3, v7
	v_mul_hi_u32 v11, v3, v11
	v_mul_hi_u32 v16, v3, v7
	v_add_co_u32_e32 v11, vcc, v11, v17
	v_addc_co_u32_e32 v16, vcc, 0, v16, vcc
	v_add_co_u32_e32 v11, vcc, v11, v13
	v_mul_hi_u32 v9, v5, v7
	v_addc_co_u32_e32 v11, vcc, v16, v12, vcc
	v_addc_co_u32_e32 v9, vcc, 0, v9, vcc
	v_mul_lo_u32 v7, v5, v7
	v_add_co_u32_e32 v7, vcc, v11, v7
	v_addc_co_u32_e32 v9, vcc, 0, v9, vcc
	v_add_co_u32_e32 v3, vcc, v3, v7
	v_addc_co_u32_e32 v5, vcc, v5, v9, vcc
	v_ashrrev_i32_e32 v7, 31, v15
	v_add_co_u32_e32 v9, vcc, v14, v7
	v_xor_b32_e32 v9, v9, v7
	v_addc_co_u32_e32 v11, vcc, v15, v7, vcc
	v_mad_u64_u32 v[12:13], s[0:1], v9, v5, 0
	v_mul_hi_u32 v14, v9, v3
	v_xor_b32_e32 v11, v11, v7
	v_add_co_u32_e32 v16, vcc, v14, v12
	v_addc_co_u32_e32 v17, vcc, 0, v13, vcc
	v_mad_u64_u32 v[14:15], s[0:1], v11, v3, 0
	v_add_co_u32_e32 v3, vcc, v16, v14
	v_mad_u64_u32 v[12:13], s[0:1], v11, v5, 0
	v_addc_co_u32_e32 v3, vcc, v17, v15, vcc
	v_addc_co_u32_e32 v5, vcc, 0, v13, vcc
	v_add_co_u32_e32 v3, vcc, v3, v12
	v_addc_co_u32_e32 v5, vcc, 0, v5, vcc
	v_mul_lo_u32 v14, s37, v3
	v_mul_lo_u32 v15, s36, v5
	v_mad_u64_u32 v[12:13], s[0:1], s36, v3, 0
	v_add3_u32 v13, v13, v15, v14
	v_sub_u32_e32 v14, v11, v13
	v_mov_b32_e32 v15, s37
	v_sub_co_u32_e32 v9, vcc, v9, v12
	v_subb_co_u32_e64 v12, s[0:1], v14, v15, vcc
	v_subrev_co_u32_e64 v14, s[0:1], s36, v9
	v_subbrev_co_u32_e64 v12, s[0:1], 0, v12, s[0:1]
	v_cmp_le_u32_e64 s[0:1], s37, v12
	v_cndmask_b32_e64 v15, 0, -1, s[0:1]
	v_cmp_le_u32_e64 s[0:1], s36, v14
	v_cndmask_b32_e64 v14, 0, -1, s[0:1]
	v_cmp_eq_u32_e64 s[0:1], s37, v12
	v_cndmask_b32_e64 v12, v15, v14, s[0:1]
	v_add_co_u32_e64 v14, s[0:1], 2, v3
	v_subb_co_u32_e32 v11, vcc, v11, v13, vcc
	v_addc_co_u32_e64 v15, s[0:1], 0, v5, s[0:1]
	v_cmp_le_u32_e32 vcc, s37, v11
	v_add_co_u32_e64 v16, s[0:1], 1, v3
	v_cndmask_b32_e64 v13, 0, -1, vcc
	v_cmp_le_u32_e32 vcc, s36, v9
	v_addc_co_u32_e64 v17, s[0:1], 0, v5, s[0:1]
	v_cndmask_b32_e64 v9, 0, -1, vcc
	v_cmp_eq_u32_e32 vcc, s37, v11
	v_cmp_ne_u32_e64 s[0:1], 0, v12
	v_cndmask_b32_e32 v9, v13, v9, vcc
	v_cmp_ne_u32_e32 vcc, 0, v9
	v_cndmask_b32_e64 v9, v16, v14, s[0:1]
	v_cndmask_b32_e64 v12, v17, v15, s[0:1]
	v_cndmask_b32_e32 v3, v3, v9, vcc
	v_xor_b32_e32 v9, s35, v7
	v_xor_b32_e32 v7, s34, v7
	v_cndmask_b32_e32 v5, v5, v12, vcc
	v_xor_b32_e32 v3, v3, v7
	v_xor_b32_e32 v5, v5, v9
	v_sub_co_u32_e32 v12, vcc, v3, v7
	v_subb_co_u32_e32 v13, vcc, v5, v9, vcc
                                        ; implicit-def: $vgpr14_vgpr15
.LBB85_14:                              ;   in Loop: Header=BB85_3 Depth=1
	s_andn2_saveexec_b64 s[0:1], s[2:3]
	s_cbranch_execz .LBB85_16
; %bb.15:                               ;   in Loop: Header=BB85_3 Depth=1
	v_cvt_f32_u32_e32 v3, s12
	s_sub_i32 s2, 0, s12
	v_mov_b32_e32 v13, v2
	v_rcp_iflag_f32_e32 v3, v3
	v_mul_f32_e32 v3, 0x4f7ffffe, v3
	v_cvt_u32_f32_e32 v3, v3
	v_mul_lo_u32 v5, s2, v3
	v_mul_hi_u32 v5, v3, v5
	v_add_u32_e32 v3, v3, v5
	v_mul_hi_u32 v3, v14, v3
	v_mul_lo_u32 v5, v3, s12
	v_sub_u32_e32 v5, v14, v5
	v_add_u32_e32 v7, 1, v3
	v_subrev_u32_e32 v9, s12, v5
	v_cmp_le_u32_e32 vcc, s12, v5
	v_cndmask_b32_e32 v5, v5, v9, vcc
	v_cndmask_b32_e32 v3, v3, v7, vcc
	v_add_u32_e32 v7, 1, v3
	v_cmp_le_u32_e32 vcc, s12, v5
	v_cndmask_b32_e32 v12, v3, v7, vcc
.LBB85_16:                              ;   in Loop: Header=BB85_3 Depth=1
	s_or_b64 exec, exec, s[0:1]
	s_andn2_b64 vcc, exec, s[22:23]
	s_mov_b32 s52, 1
	s_mov_b32 s20, s48
	s_cbranch_vccz .LBB85_37
.LBB85_17:                              ;   in Loop: Header=BB85_3 Depth=1
	s_and_b64 vcc, exec, s[24:25]
	s_cbranch_vccz .LBB85_41
.LBB85_18:                              ;   Parent Loop BB85_3 Depth=1
                                        ; =>  This Inner Loop Header: Depth=2
	s_lshl_b64 s[2:3], s[20:21], 2
	s_add_u32 s34, s33, s2
	s_addc_u32 s35, s42, s3
	s_load_dword s52, s[34:35], 0x8
                                        ; implicit-def: $vgpr14_vgpr15
	s_waitcnt lgkmcnt(0)
	s_ashr_i32 s0, s52, 31
	v_or_b32_e32 v3, s0, v13
	v_cmp_ne_u64_e32 vcc, 0, v[2:3]
	s_and_saveexec_b64 s[36:37], vcc
	s_xor_b64 s[36:37], exec, s[36:37]
	s_cbranch_execz .LBB85_20
; %bb.19:                               ;   in Loop: Header=BB85_18 Depth=2
	s_add_u32 s40, s52, s0
	s_mov_b32 s38, s0
	s_mov_b32 s39, s0
	s_addc_u32 s41, s0, s0
	s_xor_b64 s[40:41], s[40:41], s[38:39]
	v_cvt_f32_u32_e32 v3, s40
	v_cvt_f32_u32_e32 v5, s41
	s_sub_u32 s0, 0, s40
	s_subb_u32 s1, 0, s41
	v_mac_f32_e32 v3, 0x4f800000, v5
	v_rcp_f32_e32 v3, v3
	v_mul_f32_e32 v3, 0x5f7ffffc, v3
	v_mul_f32_e32 v5, 0x2f800000, v3
	v_trunc_f32_e32 v5, v5
	v_mac_f32_e32 v3, 0xcf800000, v5
	v_cvt_u32_f32_e32 v5, v5
	v_cvt_u32_f32_e32 v3, v3
	v_mul_lo_u32 v7, s0, v5
	v_mul_hi_u32 v11, s0, v3
	v_mul_lo_u32 v9, s1, v3
	v_add_u32_e32 v7, v11, v7
	v_mul_lo_u32 v14, s0, v3
	v_add_u32_e32 v7, v7, v9
	v_mul_lo_u32 v11, v3, v7
	v_mul_hi_u32 v15, v3, v14
	v_mul_hi_u32 v9, v3, v7
	v_add_co_u32_e32 v11, vcc, v15, v11
	v_addc_co_u32_e32 v9, vcc, 0, v9, vcc
	v_mul_hi_u32 v16, v5, v14
	v_mul_lo_u32 v14, v5, v14
	v_add_co_u32_e32 v11, vcc, v11, v14
	v_mul_hi_u32 v15, v5, v7
	v_addc_co_u32_e32 v9, vcc, v9, v16, vcc
	v_addc_co_u32_e32 v11, vcc, 0, v15, vcc
	v_mul_lo_u32 v7, v5, v7
	v_add_co_u32_e32 v7, vcc, v9, v7
	v_addc_co_u32_e32 v9, vcc, 0, v11, vcc
	v_add_co_u32_e32 v3, vcc, v3, v7
	v_addc_co_u32_e32 v5, vcc, v5, v9, vcc
	v_mul_lo_u32 v7, s0, v5
	v_mul_hi_u32 v9, s0, v3
	v_add_u32_e32 v7, v9, v7
	v_mul_lo_u32 v9, s1, v3
	v_add_u32_e32 v7, v7, v9
	v_mul_lo_u32 v11, s0, v3
	v_mul_hi_u32 v14, v5, v11
	v_mul_lo_u32 v15, v5, v11
	v_mul_lo_u32 v17, v3, v7
	v_mul_hi_u32 v11, v3, v11
	v_mul_hi_u32 v16, v3, v7
	v_add_co_u32_e32 v11, vcc, v11, v17
	v_addc_co_u32_e32 v16, vcc, 0, v16, vcc
	v_add_co_u32_e32 v11, vcc, v11, v15
	v_mul_hi_u32 v9, v5, v7
	v_addc_co_u32_e32 v11, vcc, v16, v14, vcc
	v_addc_co_u32_e32 v9, vcc, 0, v9, vcc
	v_mul_lo_u32 v7, v5, v7
	v_add_co_u32_e32 v7, vcc, v11, v7
	v_addc_co_u32_e32 v9, vcc, 0, v9, vcc
	v_add_co_u32_e32 v3, vcc, v3, v7
	v_addc_co_u32_e32 v5, vcc, v5, v9, vcc
	v_ashrrev_i32_e32 v7, 31, v13
	v_add_co_u32_e32 v9, vcc, v12, v7
	v_xor_b32_e32 v9, v9, v7
	v_addc_co_u32_e32 v11, vcc, v13, v7, vcc
	v_mad_u64_u32 v[14:15], s[0:1], v9, v5, 0
	v_mul_hi_u32 v13, v9, v3
	v_xor_b32_e32 v11, v11, v7
	v_add_co_u32_e32 v13, vcc, v13, v14
	v_addc_co_u32_e32 v18, vcc, 0, v15, vcc
	v_mad_u64_u32 v[16:17], s[0:1], v11, v3, 0
	v_add_co_u32_e32 v3, vcc, v13, v16
	v_mad_u64_u32 v[14:15], s[0:1], v11, v5, 0
	v_addc_co_u32_e32 v3, vcc, v18, v17, vcc
	v_addc_co_u32_e32 v5, vcc, 0, v15, vcc
	v_add_co_u32_e32 v3, vcc, v3, v14
	v_addc_co_u32_e32 v5, vcc, 0, v5, vcc
	v_mul_lo_u32 v13, s41, v3
	v_mul_lo_u32 v16, s40, v5
	v_mad_u64_u32 v[14:15], s[0:1], s40, v3, 0
	v_add3_u32 v13, v15, v16, v13
	v_sub_u32_e32 v15, v11, v13
	v_mov_b32_e32 v16, s41
	v_sub_co_u32_e32 v9, vcc, v9, v14
	v_subb_co_u32_e64 v14, s[0:1], v15, v16, vcc
	v_subrev_co_u32_e64 v15, s[0:1], s40, v9
	v_subbrev_co_u32_e64 v14, s[0:1], 0, v14, s[0:1]
	v_cmp_le_u32_e64 s[0:1], s41, v14
	v_cndmask_b32_e64 v16, 0, -1, s[0:1]
	v_cmp_le_u32_e64 s[0:1], s40, v15
	v_cndmask_b32_e64 v15, 0, -1, s[0:1]
	v_cmp_eq_u32_e64 s[0:1], s41, v14
	v_cndmask_b32_e64 v14, v16, v15, s[0:1]
	v_add_co_u32_e64 v15, s[0:1], 2, v3
	v_subb_co_u32_e32 v11, vcc, v11, v13, vcc
	v_addc_co_u32_e64 v16, s[0:1], 0, v5, s[0:1]
	v_cmp_le_u32_e32 vcc, s41, v11
	v_add_co_u32_e64 v17, s[0:1], 1, v3
	v_cndmask_b32_e64 v13, 0, -1, vcc
	v_cmp_le_u32_e32 vcc, s40, v9
	v_addc_co_u32_e64 v18, s[0:1], 0, v5, s[0:1]
	v_cndmask_b32_e64 v9, 0, -1, vcc
	v_cmp_eq_u32_e32 vcc, s41, v11
	v_cmp_ne_u32_e64 s[0:1], 0, v14
	v_cndmask_b32_e32 v9, v13, v9, vcc
	v_cmp_ne_u32_e32 vcc, 0, v9
	v_cndmask_b32_e64 v9, v17, v15, s[0:1]
	v_cndmask_b32_e64 v14, v18, v16, s[0:1]
	v_cndmask_b32_e32 v3, v3, v9, vcc
	v_xor_b32_e32 v9, s39, v7
	v_xor_b32_e32 v7, s38, v7
	v_cndmask_b32_e32 v5, v5, v14, vcc
	v_xor_b32_e32 v3, v3, v7
	v_xor_b32_e32 v5, v5, v9
	v_sub_co_u32_e32 v14, vcc, v3, v7
	v_subb_co_u32_e32 v15, vcc, v5, v9, vcc
.LBB85_20:                              ;   in Loop: Header=BB85_18 Depth=2
	s_andn2_saveexec_b64 s[0:1], s[36:37]
	s_cbranch_execz .LBB85_22
; %bb.21:                               ;   in Loop: Header=BB85_18 Depth=2
	v_cvt_f32_u32_e32 v3, s52
	s_sub_i32 s36, 0, s52
	v_mov_b32_e32 v15, v2
	v_rcp_iflag_f32_e32 v3, v3
	v_mul_f32_e32 v3, 0x4f7ffffe, v3
	v_cvt_u32_f32_e32 v3, v3
	v_mul_lo_u32 v5, s36, v3
	v_mul_hi_u32 v5, v3, v5
	v_add_u32_e32 v3, v3, v5
	v_mul_hi_u32 v3, v12, v3
	v_mul_lo_u32 v5, v3, s52
	v_sub_u32_e32 v5, v12, v5
	v_add_u32_e32 v7, 1, v3
	v_subrev_u32_e32 v9, s52, v5
	v_cmp_le_u32_e32 vcc, s52, v5
	v_cndmask_b32_e32 v5, v5, v9, vcc
	v_cndmask_b32_e32 v3, v3, v7, vcc
	v_add_u32_e32 v7, 1, v3
	v_cmp_le_u32_e32 vcc, s52, v5
	v_cndmask_b32_e32 v14, v3, v7, vcc
.LBB85_22:                              ;   in Loop: Header=BB85_18 Depth=2
	s_or_b64 exec, exec, s[0:1]
	s_add_u32 s0, s46, s2
	s_addc_u32 s1, s47, s3
	s_add_i32 s2, s20, -1
	s_mov_b32 s3, s21
	s_lshl_b64 s[36:37], s[2:3], 2
	s_add_u32 s2, s33, s36
	s_addc_u32 s3, s42, s37
	s_load_dword s53, s[2:3], 0x8
	s_load_dword s54, s[34:35], 0x6c
	;; [unrolled: 1-line block ×3, first 2 shown]
                                        ; implicit-def: $vgpr16_vgpr17
	s_waitcnt lgkmcnt(0)
	s_ashr_i32 s0, s53, 31
	v_or_b32_e32 v3, s0, v15
	v_cmp_ne_u64_e32 vcc, 0, v[2:3]
	s_and_saveexec_b64 s[34:35], vcc
	s_xor_b64 s[34:35], exec, s[34:35]
	s_cbranch_execz .LBB85_24
; %bb.23:                               ;   in Loop: Header=BB85_18 Depth=2
	s_add_u32 s40, s53, s0
	s_mov_b32 s38, s0
	s_mov_b32 s39, s0
	s_addc_u32 s41, s0, s0
	s_xor_b64 s[40:41], s[40:41], s[38:39]
	v_cvt_f32_u32_e32 v3, s40
	v_cvt_f32_u32_e32 v5, s41
	s_sub_u32 s0, 0, s40
	s_subb_u32 s1, 0, s41
	v_mac_f32_e32 v3, 0x4f800000, v5
	v_rcp_f32_e32 v3, v3
	v_mul_f32_e32 v3, 0x5f7ffffc, v3
	v_mul_f32_e32 v5, 0x2f800000, v3
	v_trunc_f32_e32 v5, v5
	v_mac_f32_e32 v3, 0xcf800000, v5
	v_cvt_u32_f32_e32 v5, v5
	v_cvt_u32_f32_e32 v3, v3
	v_mul_lo_u32 v7, s0, v5
	v_mul_hi_u32 v11, s0, v3
	v_mul_lo_u32 v9, s1, v3
	v_add_u32_e32 v7, v11, v7
	v_mul_lo_u32 v13, s0, v3
	v_add_u32_e32 v7, v7, v9
	v_mul_lo_u32 v11, v3, v7
	v_mul_hi_u32 v16, v3, v13
	v_mul_hi_u32 v9, v3, v7
	v_add_co_u32_e32 v11, vcc, v16, v11
	v_addc_co_u32_e32 v9, vcc, 0, v9, vcc
	v_mul_hi_u32 v17, v5, v13
	v_mul_lo_u32 v13, v5, v13
	v_add_co_u32_e32 v11, vcc, v11, v13
	v_mul_hi_u32 v16, v5, v7
	v_addc_co_u32_e32 v9, vcc, v9, v17, vcc
	v_addc_co_u32_e32 v11, vcc, 0, v16, vcc
	v_mul_lo_u32 v7, v5, v7
	v_add_co_u32_e32 v7, vcc, v9, v7
	v_addc_co_u32_e32 v9, vcc, 0, v11, vcc
	v_add_co_u32_e32 v3, vcc, v3, v7
	v_addc_co_u32_e32 v5, vcc, v5, v9, vcc
	v_mul_lo_u32 v7, s0, v5
	v_mul_hi_u32 v9, s0, v3
	v_add_u32_e32 v7, v9, v7
	v_mul_lo_u32 v9, s1, v3
	v_add_u32_e32 v7, v7, v9
	v_mul_lo_u32 v11, s0, v3
	v_mul_hi_u32 v13, v5, v11
	v_mul_lo_u32 v16, v5, v11
	v_mul_lo_u32 v18, v3, v7
	v_mul_hi_u32 v11, v3, v11
	v_mul_hi_u32 v17, v3, v7
	v_add_co_u32_e32 v11, vcc, v11, v18
	v_addc_co_u32_e32 v17, vcc, 0, v17, vcc
	v_add_co_u32_e32 v11, vcc, v11, v16
	v_mul_hi_u32 v9, v5, v7
	v_addc_co_u32_e32 v11, vcc, v17, v13, vcc
	v_addc_co_u32_e32 v9, vcc, 0, v9, vcc
	v_mul_lo_u32 v7, v5, v7
	v_add_co_u32_e32 v7, vcc, v11, v7
	v_addc_co_u32_e32 v9, vcc, 0, v9, vcc
	v_add_co_u32_e32 v3, vcc, v3, v7
	v_addc_co_u32_e32 v5, vcc, v5, v9, vcc
	v_ashrrev_i32_e32 v7, 31, v15
	v_add_co_u32_e32 v9, vcc, v14, v7
	v_xor_b32_e32 v9, v9, v7
	v_addc_co_u32_e32 v11, vcc, v15, v7, vcc
	v_mad_u64_u32 v[16:17], s[0:1], v9, v5, 0
	v_mul_hi_u32 v13, v9, v3
	v_xor_b32_e32 v11, v11, v7
	v_add_co_u32_e32 v13, vcc, v13, v16
	v_addc_co_u32_e32 v15, vcc, 0, v17, vcc
	v_mad_u64_u32 v[18:19], s[0:1], v11, v3, 0
	v_add_co_u32_e32 v3, vcc, v13, v18
	v_mad_u64_u32 v[16:17], s[0:1], v11, v5, 0
	v_addc_co_u32_e32 v3, vcc, v15, v19, vcc
	v_addc_co_u32_e32 v5, vcc, 0, v17, vcc
	v_add_co_u32_e32 v3, vcc, v3, v16
	v_addc_co_u32_e32 v5, vcc, 0, v5, vcc
	v_mul_lo_u32 v13, s41, v3
	v_mul_lo_u32 v15, s40, v5
	v_mad_u64_u32 v[16:17], s[0:1], s40, v3, 0
	v_add3_u32 v13, v17, v15, v13
	v_sub_u32_e32 v15, v11, v13
	v_mov_b32_e32 v17, s41
	v_sub_co_u32_e32 v9, vcc, v9, v16
	v_subb_co_u32_e64 v15, s[0:1], v15, v17, vcc
	v_subrev_co_u32_e64 v16, s[0:1], s40, v9
	v_subbrev_co_u32_e64 v15, s[0:1], 0, v15, s[0:1]
	v_cmp_le_u32_e64 s[0:1], s41, v15
	v_cndmask_b32_e64 v17, 0, -1, s[0:1]
	v_cmp_le_u32_e64 s[0:1], s40, v16
	v_cndmask_b32_e64 v16, 0, -1, s[0:1]
	v_cmp_eq_u32_e64 s[0:1], s41, v15
	v_cndmask_b32_e64 v15, v17, v16, s[0:1]
	v_add_co_u32_e64 v16, s[0:1], 2, v3
	v_subb_co_u32_e32 v11, vcc, v11, v13, vcc
	v_addc_co_u32_e64 v17, s[0:1], 0, v5, s[0:1]
	v_cmp_le_u32_e32 vcc, s41, v11
	v_add_co_u32_e64 v18, s[0:1], 1, v3
	v_cndmask_b32_e64 v13, 0, -1, vcc
	v_cmp_le_u32_e32 vcc, s40, v9
	v_addc_co_u32_e64 v19, s[0:1], 0, v5, s[0:1]
	v_cndmask_b32_e64 v9, 0, -1, vcc
	v_cmp_eq_u32_e32 vcc, s41, v11
	v_cmp_ne_u32_e64 s[0:1], 0, v15
	v_cndmask_b32_e32 v9, v13, v9, vcc
	v_cmp_ne_u32_e32 vcc, 0, v9
	v_cndmask_b32_e64 v9, v18, v16, s[0:1]
	v_cndmask_b32_e64 v15, v19, v17, s[0:1]
	v_cndmask_b32_e32 v3, v3, v9, vcc
	v_xor_b32_e32 v9, s39, v7
	v_xor_b32_e32 v7, s38, v7
	v_cndmask_b32_e32 v5, v5, v15, vcc
	v_xor_b32_e32 v3, v3, v7
	v_xor_b32_e32 v5, v5, v9
	v_sub_co_u32_e32 v16, vcc, v3, v7
	v_subb_co_u32_e32 v17, vcc, v5, v9, vcc
.LBB85_24:                              ;   in Loop: Header=BB85_18 Depth=2
	s_andn2_saveexec_b64 s[0:1], s[34:35]
	s_cbranch_execz .LBB85_26
; %bb.25:                               ;   in Loop: Header=BB85_18 Depth=2
	v_cvt_f32_u32_e32 v3, s53
	s_sub_i32 s34, 0, s53
	v_mov_b32_e32 v17, v2
	v_rcp_iflag_f32_e32 v3, v3
	v_mul_f32_e32 v3, 0x4f7ffffe, v3
	v_cvt_u32_f32_e32 v3, v3
	v_mul_lo_u32 v5, s34, v3
	v_mul_hi_u32 v5, v3, v5
	v_add_u32_e32 v3, v3, v5
	v_mul_hi_u32 v3, v14, v3
	v_mul_lo_u32 v5, v3, s53
	v_sub_u32_e32 v5, v14, v5
	v_add_u32_e32 v7, 1, v3
	v_subrev_u32_e32 v9, s53, v5
	v_cmp_le_u32_e32 vcc, s53, v5
	v_cndmask_b32_e32 v5, v5, v9, vcc
	v_cndmask_b32_e32 v3, v3, v7, vcc
	v_add_u32_e32 v7, 1, v3
	v_cmp_le_u32_e32 vcc, s53, v5
	v_cndmask_b32_e32 v16, v3, v7, vcc
.LBB85_26:                              ;   in Loop: Header=BB85_18 Depth=2
	s_or_b64 exec, exec, s[0:1]
	s_add_u32 s0, s46, s36
	s_addc_u32 s1, s47, s37
	s_add_i32 s34, s20, -2
	s_mov_b32 s35, s21
	s_lshl_b64 s[34:35], s[34:35], 2
	s_add_u32 s36, s33, s34
	s_addc_u32 s37, s42, s35
	s_load_dword s56, s[36:37], 0x8
	s_load_dword s58, s[2:3], 0x6c
	;; [unrolled: 1-line block ×3, first 2 shown]
                                        ; implicit-def: $vgpr18_vgpr19
	s_waitcnt lgkmcnt(0)
	s_ashr_i32 s0, s56, 31
	v_or_b32_e32 v3, s0, v17
	v_cmp_ne_u64_e32 vcc, 0, v[2:3]
	s_and_saveexec_b64 s[2:3], vcc
	s_xor_b64 s[2:3], exec, s[2:3]
	s_cbranch_execz .LBB85_28
; %bb.27:                               ;   in Loop: Header=BB85_18 Depth=2
	s_add_u32 s40, s56, s0
	s_mov_b32 s38, s0
	s_mov_b32 s39, s0
	s_addc_u32 s41, s0, s0
	s_xor_b64 s[40:41], s[40:41], s[38:39]
	v_cvt_f32_u32_e32 v3, s40
	v_cvt_f32_u32_e32 v5, s41
	s_sub_u32 s0, 0, s40
	s_subb_u32 s1, 0, s41
	v_mac_f32_e32 v3, 0x4f800000, v5
	v_rcp_f32_e32 v3, v3
	v_mul_f32_e32 v3, 0x5f7ffffc, v3
	v_mul_f32_e32 v5, 0x2f800000, v3
	v_trunc_f32_e32 v5, v5
	v_mac_f32_e32 v3, 0xcf800000, v5
	v_cvt_u32_f32_e32 v5, v5
	v_cvt_u32_f32_e32 v3, v3
	v_mul_lo_u32 v7, s0, v5
	v_mul_hi_u32 v11, s0, v3
	v_mul_lo_u32 v9, s1, v3
	v_add_u32_e32 v7, v11, v7
	v_mul_lo_u32 v13, s0, v3
	v_add_u32_e32 v7, v7, v9
	v_mul_lo_u32 v11, v3, v7
	v_mul_hi_u32 v15, v3, v13
	v_mul_hi_u32 v9, v3, v7
	v_add_co_u32_e32 v11, vcc, v15, v11
	v_addc_co_u32_e32 v9, vcc, 0, v9, vcc
	v_mul_hi_u32 v18, v5, v13
	v_mul_lo_u32 v13, v5, v13
	v_add_co_u32_e32 v11, vcc, v11, v13
	v_mul_hi_u32 v15, v5, v7
	v_addc_co_u32_e32 v9, vcc, v9, v18, vcc
	v_addc_co_u32_e32 v11, vcc, 0, v15, vcc
	v_mul_lo_u32 v7, v5, v7
	v_add_co_u32_e32 v7, vcc, v9, v7
	v_addc_co_u32_e32 v9, vcc, 0, v11, vcc
	v_add_co_u32_e32 v3, vcc, v3, v7
	v_addc_co_u32_e32 v5, vcc, v5, v9, vcc
	v_mul_lo_u32 v7, s0, v5
	v_mul_hi_u32 v9, s0, v3
	v_add_u32_e32 v7, v9, v7
	v_mul_lo_u32 v9, s1, v3
	v_add_u32_e32 v7, v7, v9
	v_mul_lo_u32 v11, s0, v3
	v_mul_hi_u32 v13, v5, v11
	v_mul_lo_u32 v15, v5, v11
	v_mul_lo_u32 v19, v3, v7
	v_mul_hi_u32 v11, v3, v11
	v_mul_hi_u32 v18, v3, v7
	v_add_co_u32_e32 v11, vcc, v11, v19
	v_addc_co_u32_e32 v18, vcc, 0, v18, vcc
	v_add_co_u32_e32 v11, vcc, v11, v15
	v_mul_hi_u32 v9, v5, v7
	v_addc_co_u32_e32 v11, vcc, v18, v13, vcc
	v_addc_co_u32_e32 v9, vcc, 0, v9, vcc
	v_mul_lo_u32 v7, v5, v7
	v_add_co_u32_e32 v7, vcc, v11, v7
	v_addc_co_u32_e32 v9, vcc, 0, v9, vcc
	v_add_co_u32_e32 v3, vcc, v3, v7
	v_addc_co_u32_e32 v5, vcc, v5, v9, vcc
	v_ashrrev_i32_e32 v7, 31, v17
	v_add_co_u32_e32 v9, vcc, v16, v7
	v_xor_b32_e32 v9, v9, v7
	v_addc_co_u32_e32 v11, vcc, v17, v7, vcc
	v_mad_u64_u32 v[18:19], s[0:1], v9, v5, 0
	v_mul_hi_u32 v13, v9, v3
	v_xor_b32_e32 v11, v11, v7
	v_add_co_u32_e32 v13, vcc, v13, v18
	v_addc_co_u32_e32 v15, vcc, 0, v19, vcc
	v_mad_u64_u32 v[20:21], s[0:1], v11, v3, 0
	v_add_co_u32_e32 v3, vcc, v13, v20
	v_mad_u64_u32 v[18:19], s[0:1], v11, v5, 0
	v_addc_co_u32_e32 v3, vcc, v15, v21, vcc
	v_addc_co_u32_e32 v5, vcc, 0, v19, vcc
	v_add_co_u32_e32 v3, vcc, v3, v18
	v_addc_co_u32_e32 v5, vcc, 0, v5, vcc
	v_mul_lo_u32 v13, s41, v3
	v_mul_lo_u32 v15, s40, v5
	v_mad_u64_u32 v[18:19], s[0:1], s40, v3, 0
	v_add3_u32 v13, v19, v15, v13
	v_sub_u32_e32 v15, v11, v13
	v_mov_b32_e32 v17, s41
	v_sub_co_u32_e32 v9, vcc, v9, v18
	v_subb_co_u32_e64 v15, s[0:1], v15, v17, vcc
	v_subrev_co_u32_e64 v17, s[0:1], s40, v9
	v_subbrev_co_u32_e64 v15, s[0:1], 0, v15, s[0:1]
	v_cmp_le_u32_e64 s[0:1], s41, v15
	v_cndmask_b32_e64 v18, 0, -1, s[0:1]
	v_cmp_le_u32_e64 s[0:1], s40, v17
	v_cndmask_b32_e64 v17, 0, -1, s[0:1]
	v_cmp_eq_u32_e64 s[0:1], s41, v15
	v_cndmask_b32_e64 v15, v18, v17, s[0:1]
	v_add_co_u32_e64 v17, s[0:1], 2, v3
	v_subb_co_u32_e32 v11, vcc, v11, v13, vcc
	v_addc_co_u32_e64 v18, s[0:1], 0, v5, s[0:1]
	v_cmp_le_u32_e32 vcc, s41, v11
	v_add_co_u32_e64 v19, s[0:1], 1, v3
	v_cndmask_b32_e64 v13, 0, -1, vcc
	v_cmp_le_u32_e32 vcc, s40, v9
	v_addc_co_u32_e64 v20, s[0:1], 0, v5, s[0:1]
	v_cndmask_b32_e64 v9, 0, -1, vcc
	v_cmp_eq_u32_e32 vcc, s41, v11
	v_cmp_ne_u32_e64 s[0:1], 0, v15
	v_cndmask_b32_e32 v9, v13, v9, vcc
	v_cmp_ne_u32_e32 vcc, 0, v9
	v_cndmask_b32_e64 v9, v19, v17, s[0:1]
	v_cndmask_b32_e64 v15, v20, v18, s[0:1]
	v_cndmask_b32_e32 v3, v3, v9, vcc
	v_xor_b32_e32 v9, s39, v7
	v_xor_b32_e32 v7, s38, v7
	v_cndmask_b32_e32 v5, v5, v15, vcc
	v_xor_b32_e32 v3, v3, v7
	v_xor_b32_e32 v5, v5, v9
	v_sub_co_u32_e32 v18, vcc, v3, v7
	v_subb_co_u32_e32 v19, vcc, v5, v9, vcc
.LBB85_28:                              ;   in Loop: Header=BB85_18 Depth=2
	s_andn2_saveexec_b64 s[0:1], s[2:3]
	s_cbranch_execz .LBB85_30
; %bb.29:                               ;   in Loop: Header=BB85_18 Depth=2
	v_cvt_f32_u32_e32 v3, s56
	s_sub_i32 s2, 0, s56
	v_mov_b32_e32 v19, v2
	v_rcp_iflag_f32_e32 v3, v3
	v_mul_f32_e32 v3, 0x4f7ffffe, v3
	v_cvt_u32_f32_e32 v3, v3
	v_mul_lo_u32 v5, s2, v3
	v_mul_hi_u32 v5, v3, v5
	v_add_u32_e32 v3, v3, v5
	v_mul_hi_u32 v3, v16, v3
	v_mul_lo_u32 v5, v3, s56
	v_sub_u32_e32 v5, v16, v5
	v_add_u32_e32 v7, 1, v3
	v_subrev_u32_e32 v9, s56, v5
	v_cmp_le_u32_e32 vcc, s56, v5
	v_cndmask_b32_e32 v5, v5, v9, vcc
	v_cndmask_b32_e32 v3, v3, v7, vcc
	v_add_u32_e32 v7, 1, v3
	v_cmp_le_u32_e32 vcc, s56, v5
	v_cndmask_b32_e32 v18, v3, v7, vcc
.LBB85_30:                              ;   in Loop: Header=BB85_18 Depth=2
	s_or_b64 exec, exec, s[0:1]
	s_add_u32 s0, s46, s34
	s_addc_u32 s1, s47, s35
	s_add_i32 s2, s20, -3
	s_mov_b32 s3, s21
	s_lshl_b64 s[2:3], s[2:3], 2
	s_add_u32 s34, s33, s2
	s_addc_u32 s35, s42, s3
	s_load_dword s59, s[34:35], 0x8
	s_load_dword s60, s[36:37], 0x6c
	;; [unrolled: 1-line block ×3, first 2 shown]
                                        ; implicit-def: $vgpr20_vgpr21
	s_waitcnt lgkmcnt(0)
	s_ashr_i32 s0, s59, 31
	v_or_b32_e32 v3, s0, v19
	v_cmp_ne_u64_e32 vcc, 0, v[2:3]
	s_and_saveexec_b64 s[36:37], vcc
	s_xor_b64 s[36:37], exec, s[36:37]
	s_cbranch_execz .LBB85_32
; %bb.31:                               ;   in Loop: Header=BB85_18 Depth=2
	s_add_u32 s40, s59, s0
	s_mov_b32 s38, s0
	s_mov_b32 s39, s0
	s_addc_u32 s41, s0, s0
	s_xor_b64 s[40:41], s[40:41], s[38:39]
	v_cvt_f32_u32_e32 v3, s40
	v_cvt_f32_u32_e32 v5, s41
	s_sub_u32 s0, 0, s40
	s_subb_u32 s1, 0, s41
	v_mac_f32_e32 v3, 0x4f800000, v5
	v_rcp_f32_e32 v3, v3
	v_mul_f32_e32 v3, 0x5f7ffffc, v3
	v_mul_f32_e32 v5, 0x2f800000, v3
	v_trunc_f32_e32 v5, v5
	v_mac_f32_e32 v3, 0xcf800000, v5
	v_cvt_u32_f32_e32 v5, v5
	v_cvt_u32_f32_e32 v3, v3
	v_mul_lo_u32 v7, s0, v5
	v_mul_hi_u32 v11, s0, v3
	v_mul_lo_u32 v9, s1, v3
	v_add_u32_e32 v7, v11, v7
	v_mul_lo_u32 v13, s0, v3
	v_add_u32_e32 v7, v7, v9
	v_mul_lo_u32 v11, v3, v7
	v_mul_hi_u32 v15, v3, v13
	v_mul_hi_u32 v9, v3, v7
	v_add_co_u32_e32 v11, vcc, v15, v11
	v_addc_co_u32_e32 v9, vcc, 0, v9, vcc
	v_mul_hi_u32 v17, v5, v13
	v_mul_lo_u32 v13, v5, v13
	v_add_co_u32_e32 v11, vcc, v11, v13
	v_mul_hi_u32 v15, v5, v7
	v_addc_co_u32_e32 v9, vcc, v9, v17, vcc
	v_addc_co_u32_e32 v11, vcc, 0, v15, vcc
	v_mul_lo_u32 v7, v5, v7
	v_add_co_u32_e32 v7, vcc, v9, v7
	v_addc_co_u32_e32 v9, vcc, 0, v11, vcc
	v_add_co_u32_e32 v3, vcc, v3, v7
	v_addc_co_u32_e32 v5, vcc, v5, v9, vcc
	v_mul_lo_u32 v7, s0, v5
	v_mul_hi_u32 v9, s0, v3
	v_add_u32_e32 v7, v9, v7
	v_mul_lo_u32 v9, s1, v3
	v_add_u32_e32 v7, v7, v9
	v_mul_lo_u32 v11, s0, v3
	v_mul_hi_u32 v13, v5, v11
	v_mul_lo_u32 v15, v5, v11
	v_mul_lo_u32 v20, v3, v7
	v_mul_hi_u32 v11, v3, v11
	v_mul_hi_u32 v17, v3, v7
	v_add_co_u32_e32 v11, vcc, v11, v20
	v_addc_co_u32_e32 v17, vcc, 0, v17, vcc
	v_add_co_u32_e32 v11, vcc, v11, v15
	v_mul_hi_u32 v9, v5, v7
	v_addc_co_u32_e32 v11, vcc, v17, v13, vcc
	v_addc_co_u32_e32 v9, vcc, 0, v9, vcc
	v_mul_lo_u32 v7, v5, v7
	v_add_co_u32_e32 v7, vcc, v11, v7
	v_addc_co_u32_e32 v9, vcc, 0, v9, vcc
	v_add_co_u32_e32 v3, vcc, v3, v7
	v_addc_co_u32_e32 v5, vcc, v5, v9, vcc
	v_ashrrev_i32_e32 v7, 31, v19
	v_add_co_u32_e32 v9, vcc, v18, v7
	v_xor_b32_e32 v9, v9, v7
	v_addc_co_u32_e32 v11, vcc, v19, v7, vcc
	v_mad_u64_u32 v[20:21], s[0:1], v9, v5, 0
	v_mul_hi_u32 v13, v9, v3
	v_xor_b32_e32 v11, v11, v7
	v_add_co_u32_e32 v13, vcc, v13, v20
	v_addc_co_u32_e32 v15, vcc, 0, v21, vcc
	v_mad_u64_u32 v[24:25], s[0:1], v11, v3, 0
	v_add_co_u32_e32 v3, vcc, v13, v24
	v_mad_u64_u32 v[20:21], s[0:1], v11, v5, 0
	v_addc_co_u32_e32 v3, vcc, v15, v25, vcc
	v_addc_co_u32_e32 v5, vcc, 0, v21, vcc
	v_add_co_u32_e32 v3, vcc, v3, v20
	v_addc_co_u32_e32 v5, vcc, 0, v5, vcc
	v_mul_lo_u32 v13, s41, v3
	v_mul_lo_u32 v15, s40, v5
	v_mad_u64_u32 v[20:21], s[0:1], s40, v3, 0
	v_add3_u32 v13, v21, v15, v13
	v_sub_u32_e32 v15, v11, v13
	v_mov_b32_e32 v17, s41
	v_sub_co_u32_e32 v9, vcc, v9, v20
	v_subb_co_u32_e64 v15, s[0:1], v15, v17, vcc
	v_subrev_co_u32_e64 v17, s[0:1], s40, v9
	v_subbrev_co_u32_e64 v15, s[0:1], 0, v15, s[0:1]
	v_cmp_le_u32_e64 s[0:1], s41, v15
	v_cndmask_b32_e64 v19, 0, -1, s[0:1]
	v_cmp_le_u32_e64 s[0:1], s40, v17
	v_cndmask_b32_e64 v17, 0, -1, s[0:1]
	v_cmp_eq_u32_e64 s[0:1], s41, v15
	v_cndmask_b32_e64 v15, v19, v17, s[0:1]
	v_add_co_u32_e64 v17, s[0:1], 2, v3
	v_subb_co_u32_e32 v11, vcc, v11, v13, vcc
	v_addc_co_u32_e64 v19, s[0:1], 0, v5, s[0:1]
	v_cmp_le_u32_e32 vcc, s41, v11
	v_add_co_u32_e64 v20, s[0:1], 1, v3
	v_cndmask_b32_e64 v13, 0, -1, vcc
	v_cmp_le_u32_e32 vcc, s40, v9
	v_addc_co_u32_e64 v21, s[0:1], 0, v5, s[0:1]
	v_cndmask_b32_e64 v9, 0, -1, vcc
	v_cmp_eq_u32_e32 vcc, s41, v11
	v_cmp_ne_u32_e64 s[0:1], 0, v15
	v_cndmask_b32_e32 v9, v13, v9, vcc
	v_cmp_ne_u32_e32 vcc, 0, v9
	v_cndmask_b32_e64 v9, v20, v17, s[0:1]
	v_cndmask_b32_e64 v15, v21, v19, s[0:1]
	v_cndmask_b32_e32 v3, v3, v9, vcc
	v_xor_b32_e32 v9, s39, v7
	v_xor_b32_e32 v7, s38, v7
	v_cndmask_b32_e32 v5, v5, v15, vcc
	v_xor_b32_e32 v3, v3, v7
	v_xor_b32_e32 v5, v5, v9
	v_sub_co_u32_e32 v20, vcc, v3, v7
	v_subb_co_u32_e32 v21, vcc, v5, v9, vcc
.LBB85_32:                              ;   in Loop: Header=BB85_18 Depth=2
	s_andn2_saveexec_b64 s[0:1], s[36:37]
	s_cbranch_execz .LBB85_34
; %bb.33:                               ;   in Loop: Header=BB85_18 Depth=2
	v_cvt_f32_u32_e32 v3, s59
	s_sub_i32 s36, 0, s59
	v_mov_b32_e32 v21, v2
	v_rcp_iflag_f32_e32 v3, v3
	v_mul_f32_e32 v3, 0x4f7ffffe, v3
	v_cvt_u32_f32_e32 v3, v3
	v_mul_lo_u32 v5, s36, v3
	v_mul_hi_u32 v5, v3, v5
	v_add_u32_e32 v3, v3, v5
	v_mul_hi_u32 v3, v18, v3
	v_mul_lo_u32 v5, v3, s59
	v_sub_u32_e32 v5, v18, v5
	v_add_u32_e32 v7, 1, v3
	v_subrev_u32_e32 v9, s59, v5
	v_cmp_le_u32_e32 vcc, s59, v5
	v_cndmask_b32_e32 v5, v5, v9, vcc
	v_cndmask_b32_e32 v3, v3, v7, vcc
	v_add_u32_e32 v7, 1, v3
	v_cmp_le_u32_e32 vcc, s59, v5
	v_cndmask_b32_e32 v20, v3, v7, vcc
.LBB85_34:                              ;   in Loop: Header=BB85_18 Depth=2
	s_or_b64 exec, exec, s[0:1]
	s_add_u32 s0, s46, s2
	v_mul_lo_u32 v3, v14, s52
	v_mul_lo_u32 v7, v16, s53
	s_load_dword s2, s[34:35], 0x6c
	s_addc_u32 s1, s47, s3
	s_load_dword s0, s[0:1], 0x0
	v_sub_u32_e32 v3, v12, v3
	v_sub_u32_e32 v7, v14, v7
	v_mul_lo_u32 v5, s54, v3
	v_mul_lo_u32 v3, s55, v3
	;; [unrolled: 1-line block ×4, first 2 shown]
	v_add3_u32 v5, v5, v10, v9
	v_add3_u32 v3, v3, v6, v7
	v_mul_lo_u32 v6, v18, s56
	v_mul_lo_u32 v9, v20, s59
	v_sub_u32_e32 v6, v16, v6
	v_sub_u32_e32 v9, v18, v9
	v_mul_lo_u32 v7, s60, v6
	s_waitcnt lgkmcnt(0)
	v_mul_lo_u32 v10, s2, v9
	v_mul_lo_u32 v6, s61, v6
	v_add3_u32 v10, v7, v5, v10
	v_mul_lo_u32 v5, s0, v9
	s_add_i32 s20, s20, -4
	s_cmp_eq_u32 s20, -1
	v_add3_u32 v6, v6, v3, v5
	s_cbranch_scc1 .LBB85_41
; %bb.35:                               ;   in Loop: Header=BB85_18 Depth=2
	v_pk_mov_b32 v[12:13], v[20:21], v[20:21] op_sel:[0,1]
	s_branch .LBB85_18
.LBB85_36:                              ;   in Loop: Header=BB85_37 Depth=2
	s_or_b64 exec, exec, s[0:1]
	s_load_dword s34, s[34:35], 0x6c
	s_add_u32 s0, s46, s2
	s_addc_u32 s1, s47, s3
	s_load_dword s2, s[0:1], 0x0
	v_mul_lo_u32 v3, v12, s53
	v_sub_u32_e32 v3, v14, v3
	s_waitcnt lgkmcnt(0)
	v_mad_u64_u32 v[10:11], s[0:1], s34, v3, v[10:11]
	s_add_i32 s20, s20, -1
	s_xor_b32 s0, s51, s52
	s_add_i32 s52, s52, 1
	s_cmp_lg_u32 s0, 2
	v_mad_u64_u32 v[6:7], s[0:1], s2, v3, v[6:7]
	s_cbranch_scc0 .LBB85_17
.LBB85_37:                              ;   Parent Loop BB85_3 Depth=1
                                        ; =>  This Inner Loop Header: Depth=2
	s_lshl_b64 s[2:3], s[20:21], 2
	s_add_u32 s34, s33, s2
	s_addc_u32 s35, s42, s3
	s_load_dword s53, s[34:35], 0x8
	v_pk_mov_b32 v[14:15], v[12:13], v[12:13] op_sel:[0,1]
                                        ; implicit-def: $vgpr12_vgpr13
	s_waitcnt lgkmcnt(0)
	s_ashr_i32 s0, s53, 31
	v_or_b32_e32 v3, s0, v15
	v_cmp_ne_u64_e32 vcc, 0, v[2:3]
	s_and_saveexec_b64 s[36:37], vcc
	s_xor_b64 s[36:37], exec, s[36:37]
	s_cbranch_execz .LBB85_39
; %bb.38:                               ;   in Loop: Header=BB85_37 Depth=2
	s_add_u32 s40, s53, s0
	s_mov_b32 s38, s0
	s_mov_b32 s39, s0
	s_addc_u32 s41, s0, s0
	s_xor_b64 s[40:41], s[40:41], s[38:39]
	v_cvt_f32_u32_e32 v3, s40
	v_cvt_f32_u32_e32 v5, s41
	s_sub_u32 s0, 0, s40
	s_subb_u32 s1, 0, s41
	v_mac_f32_e32 v3, 0x4f800000, v5
	v_rcp_f32_e32 v3, v3
	v_mul_f32_e32 v3, 0x5f7ffffc, v3
	v_mul_f32_e32 v5, 0x2f800000, v3
	v_trunc_f32_e32 v5, v5
	v_mac_f32_e32 v3, 0xcf800000, v5
	v_cvt_u32_f32_e32 v5, v5
	v_cvt_u32_f32_e32 v3, v3
	v_mul_lo_u32 v7, s0, v5
	v_mul_hi_u32 v11, s0, v3
	v_mul_lo_u32 v9, s1, v3
	v_add_u32_e32 v7, v11, v7
	v_mul_lo_u32 v12, s0, v3
	v_add_u32_e32 v7, v7, v9
	v_mul_lo_u32 v11, v3, v7
	v_mul_hi_u32 v13, v3, v12
	v_mul_hi_u32 v9, v3, v7
	v_add_co_u32_e32 v11, vcc, v13, v11
	v_addc_co_u32_e32 v9, vcc, 0, v9, vcc
	v_mul_hi_u32 v16, v5, v12
	v_mul_lo_u32 v12, v5, v12
	v_add_co_u32_e32 v11, vcc, v11, v12
	v_mul_hi_u32 v13, v5, v7
	v_addc_co_u32_e32 v9, vcc, v9, v16, vcc
	v_addc_co_u32_e32 v11, vcc, 0, v13, vcc
	v_mul_lo_u32 v7, v5, v7
	v_add_co_u32_e32 v7, vcc, v9, v7
	v_addc_co_u32_e32 v9, vcc, 0, v11, vcc
	v_add_co_u32_e32 v3, vcc, v3, v7
	v_addc_co_u32_e32 v5, vcc, v5, v9, vcc
	v_mul_lo_u32 v7, s0, v5
	v_mul_hi_u32 v9, s0, v3
	v_add_u32_e32 v7, v9, v7
	v_mul_lo_u32 v9, s1, v3
	v_add_u32_e32 v7, v7, v9
	v_mul_lo_u32 v11, s0, v3
	v_mul_hi_u32 v12, v5, v11
	v_mul_lo_u32 v13, v5, v11
	v_mul_lo_u32 v17, v3, v7
	v_mul_hi_u32 v11, v3, v11
	v_mul_hi_u32 v16, v3, v7
	v_add_co_u32_e32 v11, vcc, v11, v17
	v_addc_co_u32_e32 v16, vcc, 0, v16, vcc
	v_add_co_u32_e32 v11, vcc, v11, v13
	v_mul_hi_u32 v9, v5, v7
	v_addc_co_u32_e32 v11, vcc, v16, v12, vcc
	v_addc_co_u32_e32 v9, vcc, 0, v9, vcc
	v_mul_lo_u32 v7, v5, v7
	v_add_co_u32_e32 v7, vcc, v11, v7
	v_addc_co_u32_e32 v9, vcc, 0, v9, vcc
	v_add_co_u32_e32 v3, vcc, v3, v7
	v_addc_co_u32_e32 v5, vcc, v5, v9, vcc
	v_ashrrev_i32_e32 v7, 31, v15
	v_add_co_u32_e32 v9, vcc, v14, v7
	v_xor_b32_e32 v9, v9, v7
	v_addc_co_u32_e32 v11, vcc, v15, v7, vcc
	v_mad_u64_u32 v[12:13], s[0:1], v9, v5, 0
	v_mul_hi_u32 v15, v9, v3
	v_xor_b32_e32 v11, v11, v7
	v_add_co_u32_e32 v15, vcc, v15, v12
	v_addc_co_u32_e32 v18, vcc, 0, v13, vcc
	v_mad_u64_u32 v[16:17], s[0:1], v11, v3, 0
	v_add_co_u32_e32 v3, vcc, v15, v16
	v_mad_u64_u32 v[12:13], s[0:1], v11, v5, 0
	v_addc_co_u32_e32 v3, vcc, v18, v17, vcc
	v_addc_co_u32_e32 v5, vcc, 0, v13, vcc
	v_add_co_u32_e32 v3, vcc, v3, v12
	v_addc_co_u32_e32 v5, vcc, 0, v5, vcc
	v_mul_lo_u32 v15, s41, v3
	v_mul_lo_u32 v16, s40, v5
	v_mad_u64_u32 v[12:13], s[0:1], s40, v3, 0
	v_add3_u32 v13, v13, v16, v15
	v_sub_u32_e32 v15, v11, v13
	v_mov_b32_e32 v16, s41
	v_sub_co_u32_e32 v9, vcc, v9, v12
	v_subb_co_u32_e64 v12, s[0:1], v15, v16, vcc
	v_subrev_co_u32_e64 v15, s[0:1], s40, v9
	v_subbrev_co_u32_e64 v12, s[0:1], 0, v12, s[0:1]
	v_cmp_le_u32_e64 s[0:1], s41, v12
	v_cndmask_b32_e64 v16, 0, -1, s[0:1]
	v_cmp_le_u32_e64 s[0:1], s40, v15
	v_cndmask_b32_e64 v15, 0, -1, s[0:1]
	v_cmp_eq_u32_e64 s[0:1], s41, v12
	v_cndmask_b32_e64 v12, v16, v15, s[0:1]
	v_add_co_u32_e64 v15, s[0:1], 2, v3
	v_subb_co_u32_e32 v11, vcc, v11, v13, vcc
	v_addc_co_u32_e64 v16, s[0:1], 0, v5, s[0:1]
	v_cmp_le_u32_e32 vcc, s41, v11
	v_add_co_u32_e64 v17, s[0:1], 1, v3
	v_cndmask_b32_e64 v13, 0, -1, vcc
	v_cmp_le_u32_e32 vcc, s40, v9
	v_addc_co_u32_e64 v18, s[0:1], 0, v5, s[0:1]
	v_cndmask_b32_e64 v9, 0, -1, vcc
	v_cmp_eq_u32_e32 vcc, s41, v11
	v_cmp_ne_u32_e64 s[0:1], 0, v12
	v_cndmask_b32_e32 v9, v13, v9, vcc
	v_cmp_ne_u32_e32 vcc, 0, v9
	v_cndmask_b32_e64 v9, v17, v15, s[0:1]
	v_cndmask_b32_e64 v12, v18, v16, s[0:1]
	v_cndmask_b32_e32 v3, v3, v9, vcc
	v_xor_b32_e32 v9, s39, v7
	v_xor_b32_e32 v7, s38, v7
	v_cndmask_b32_e32 v5, v5, v12, vcc
	v_xor_b32_e32 v3, v3, v7
	v_xor_b32_e32 v5, v5, v9
	v_sub_co_u32_e32 v12, vcc, v3, v7
	v_subb_co_u32_e32 v13, vcc, v5, v9, vcc
.LBB85_39:                              ;   in Loop: Header=BB85_37 Depth=2
	s_andn2_saveexec_b64 s[0:1], s[36:37]
	s_cbranch_execz .LBB85_36
; %bb.40:                               ;   in Loop: Header=BB85_37 Depth=2
	v_cvt_f32_u32_e32 v3, s53
	s_sub_i32 s36, 0, s53
	v_mov_b32_e32 v13, v2
	v_rcp_iflag_f32_e32 v3, v3
	v_mul_f32_e32 v3, 0x4f7ffffe, v3
	v_cvt_u32_f32_e32 v3, v3
	v_mul_lo_u32 v5, s36, v3
	v_mul_hi_u32 v5, v3, v5
	v_add_u32_e32 v3, v3, v5
	v_mul_hi_u32 v3, v14, v3
	v_mul_lo_u32 v5, v3, s53
	v_sub_u32_e32 v5, v14, v5
	v_add_u32_e32 v7, 1, v3
	v_subrev_u32_e32 v9, s53, v5
	v_cmp_le_u32_e32 vcc, s53, v5
	v_cndmask_b32_e32 v5, v5, v9, vcc
	v_cndmask_b32_e32 v3, v3, v7, vcc
	v_add_u32_e32 v7, 1, v3
	v_cmp_le_u32_e32 vcc, s53, v5
	v_cndmask_b32_e32 v12, v3, v7, vcc
	s_branch .LBB85_36
.LBB85_41:                              ;   in Loop: Header=BB85_3 Depth=1
	v_mov_b32_e32 v3, v4
	v_sub_u32_e32 v4, v4, v8
	v_add_u32_e32 v4, 2, v4
	v_ashrrev_i32_e32 v5, 31, v4
	v_cmp_le_i64_e32 vcc, s[8:9], v[4:5]
                                        ; implicit-def: $vgpr4
                                        ; implicit-def: $vgpr12
	s_and_saveexec_b64 s[0:1], vcc
	s_xor_b64 s[0:1], exec, s[0:1]
	s_cbranch_execnz .LBB85_44
; %bb.42:                               ;   in Loop: Header=BB85_3 Depth=1
	s_andn2_saveexec_b64 s[0:1], s[0:1]
	s_cbranch_execnz .LBB85_49
.LBB85_43:                              ;   in Loop: Header=BB85_3 Depth=1
	s_or_b64 exec, exec, s[0:1]
	v_cmp_gt_i32_e32 vcc, s13, v3
	s_and_saveexec_b64 s[0:1], vcc
	s_cbranch_execz .LBB85_2
	s_branch .LBB85_50
.LBB85_44:                              ;   in Loop: Header=BB85_3 Depth=1
	v_cmp_gt_i32_e32 vcc, s13, v3
	v_mov_b32_e32 v4, 0
	v_mov_b32_e32 v5, 0
	;; [unrolled: 1-line block ×4, first 2 shown]
	s_and_saveexec_b64 s[2:3], vcc
	s_cbranch_execz .LBB85_48
; %bb.45:                               ;   in Loop: Header=BB85_3 Depth=1
	v_ashrrev_i32_e32 v11, 31, v10
	v_lshlrev_b64 v[4:5], 3, v[10:11]
	v_mov_b32_e32 v7, s7
	v_add_co_u32_e32 v10, vcc, s6, v4
	v_addc_co_u32_e32 v11, vcc, v7, v5, vcc
	global_load_dwordx2 v[4:5], v[10:11], off
	v_add_u32_e32 v7, 1, v3
	v_cmp_gt_i32_e32 vcc, s13, v7
	v_mov_b32_e32 v15, 0
	v_mov_b32_e32 v14, 0
	s_and_saveexec_b64 s[34:35], vcc
	s_xor_b64 s[34:35], exec, s[34:35]
	s_cbranch_execz .LBB85_47
; %bb.46:                               ;   in Loop: Header=BB85_3 Depth=1
	v_mov_b32_e32 v7, s29
	v_add_co_u32_e32 v10, vcc, s28, v10
	v_addc_co_u32_e32 v11, vcc, v11, v7, vcc
	global_load_dwordx2 v[14:15], v[10:11], off
.LBB85_47:                              ;   in Loop: Header=BB85_3 Depth=1
	s_or_b64 exec, exec, s[34:35]
.LBB85_48:                              ;   in Loop: Header=BB85_3 Depth=1
	s_or_b64 exec, exec, s[2:3]
	v_sub_u32_e32 v8, v3, v8
	v_ashrrev_i32_e32 v9, 31, v8
	v_cmp_gt_i64_e32 vcc, s[8:9], v[8:9]
	s_waitcnt vmcnt(0)
	v_cndmask_b32_e64 v12, v4, 0, vcc
	v_add_u32_e32 v4, 1, v8
	v_cndmask_b32_e64 v13, v5, 0, vcc
	v_ashrrev_i32_e32 v5, 31, v4
	v_cmp_gt_i64_e32 vcc, s[8:9], v[4:5]
	v_cndmask_b32_e64 v4, v14, 0, vcc
	v_cndmask_b32_e64 v5, v15, 0, vcc
	s_andn2_saveexec_b64 s[0:1], s[0:1]
	s_cbranch_execz .LBB85_43
.LBB85_49:                              ;   in Loop: Header=BB85_3 Depth=1
	v_mov_b32_e32 v13, 0
	v_mov_b32_e32 v12, v13
	;; [unrolled: 1-line block ×4, first 2 shown]
	s_or_b64 exec, exec, s[0:1]
	v_cmp_gt_i32_e32 vcc, s13, v3
	s_and_saveexec_b64 s[0:1], vcc
	s_cbranch_execz .LBB85_2
.LBB85_50:                              ;   in Loop: Header=BB85_3 Depth=1
	v_ashrrev_i32_e32 v7, 31, v6
	v_lshlrev_b64 v[6:7], 3, v[6:7]
	v_mov_b32_e32 v8, s5
	v_add_co_u32_e32 v6, vcc, s4, v6
	v_addc_co_u32_e32 v7, vcc, v8, v7, vcc
	v_add_u32_e32 v3, 1, v3
	v_cmp_gt_i32_e32 vcc, s13, v3
	global_store_dwordx2 v[6:7], v[12:13], off
	s_and_saveexec_b64 s[2:3], vcc
	s_xor_b64 s[2:3], exec, s[2:3]
	s_cbranch_execz .LBB85_2
; %bb.51:                               ;   in Loop: Header=BB85_3 Depth=1
	v_mov_b32_e32 v3, s31
	v_add_co_u32_e32 v6, vcc, s30, v6
	v_addc_co_u32_e32 v7, vcc, v7, v3, vcc
	global_store_dwordx2 v[6:7], v[4:5], off
	s_branch .LBB85_2
.LBB85_52:
	s_endpgm
	.section	.rodata,"a",@progbits
	.p2align	6, 0x0
	.amdhsa_kernel _ZN2at6native16triu_tril_kernelIN3c107complexIfEEiLb1ELi2ELb0EEEvNS_4cuda6detail10TensorInfoIT_T0_EENS7_IKS8_S9_EEllS9_
		.amdhsa_group_segment_fixed_size 0
		.amdhsa_private_segment_fixed_size 0
		.amdhsa_kernarg_size 712
		.amdhsa_user_sgpr_count 6
		.amdhsa_user_sgpr_private_segment_buffer 1
		.amdhsa_user_sgpr_dispatch_ptr 0
		.amdhsa_user_sgpr_queue_ptr 0
		.amdhsa_user_sgpr_kernarg_segment_ptr 1
		.amdhsa_user_sgpr_dispatch_id 0
		.amdhsa_user_sgpr_flat_scratch_init 0
		.amdhsa_user_sgpr_kernarg_preload_length 0
		.amdhsa_user_sgpr_kernarg_preload_offset 0
		.amdhsa_user_sgpr_private_segment_size 0
		.amdhsa_uses_dynamic_stack 0
		.amdhsa_system_sgpr_private_segment_wavefront_offset 0
		.amdhsa_system_sgpr_workgroup_id_x 1
		.amdhsa_system_sgpr_workgroup_id_y 0
		.amdhsa_system_sgpr_workgroup_id_z 0
		.amdhsa_system_sgpr_workgroup_info 0
		.amdhsa_system_vgpr_workitem_id 0
		.amdhsa_next_free_vgpr 26
		.amdhsa_next_free_sgpr 62
		.amdhsa_accum_offset 28
		.amdhsa_reserve_vcc 1
		.amdhsa_reserve_flat_scratch 0
		.amdhsa_float_round_mode_32 0
		.amdhsa_float_round_mode_16_64 0
		.amdhsa_float_denorm_mode_32 3
		.amdhsa_float_denorm_mode_16_64 3
		.amdhsa_dx10_clamp 1
		.amdhsa_ieee_mode 1
		.amdhsa_fp16_overflow 0
		.amdhsa_tg_split 0
		.amdhsa_exception_fp_ieee_invalid_op 0
		.amdhsa_exception_fp_denorm_src 0
		.amdhsa_exception_fp_ieee_div_zero 0
		.amdhsa_exception_fp_ieee_overflow 0
		.amdhsa_exception_fp_ieee_underflow 0
		.amdhsa_exception_fp_ieee_inexact 0
		.amdhsa_exception_int_div_zero 0
	.end_amdhsa_kernel
	.section	.text._ZN2at6native16triu_tril_kernelIN3c107complexIfEEiLb1ELi2ELb0EEEvNS_4cuda6detail10TensorInfoIT_T0_EENS7_IKS8_S9_EEllS9_,"axG",@progbits,_ZN2at6native16triu_tril_kernelIN3c107complexIfEEiLb1ELi2ELb0EEEvNS_4cuda6detail10TensorInfoIT_T0_EENS7_IKS8_S9_EEllS9_,comdat
.Lfunc_end85:
	.size	_ZN2at6native16triu_tril_kernelIN3c107complexIfEEiLb1ELi2ELb0EEEvNS_4cuda6detail10TensorInfoIT_T0_EENS7_IKS8_S9_EEllS9_, .Lfunc_end85-_ZN2at6native16triu_tril_kernelIN3c107complexIfEEiLb1ELi2ELb0EEEvNS_4cuda6detail10TensorInfoIT_T0_EENS7_IKS8_S9_EEllS9_
                                        ; -- End function
	.section	.AMDGPU.csdata,"",@progbits
; Kernel info:
; codeLenInByte = 7684
; NumSgprs: 66
; NumVgprs: 26
; NumAgprs: 0
; TotalNumVgprs: 26
; ScratchSize: 0
; MemoryBound: 0
; FloatMode: 240
; IeeeMode: 1
; LDSByteSize: 0 bytes/workgroup (compile time only)
; SGPRBlocks: 8
; VGPRBlocks: 3
; NumSGPRsForWavesPerEU: 66
; NumVGPRsForWavesPerEU: 26
; AccumOffset: 28
; Occupancy: 8
; WaveLimiterHint : 0
; COMPUTE_PGM_RSRC2:SCRATCH_EN: 0
; COMPUTE_PGM_RSRC2:USER_SGPR: 6
; COMPUTE_PGM_RSRC2:TRAP_HANDLER: 0
; COMPUTE_PGM_RSRC2:TGID_X_EN: 1
; COMPUTE_PGM_RSRC2:TGID_Y_EN: 0
; COMPUTE_PGM_RSRC2:TGID_Z_EN: 0
; COMPUTE_PGM_RSRC2:TIDIG_COMP_CNT: 0
; COMPUTE_PGM_RSRC3_GFX90A:ACCUM_OFFSET: 6
; COMPUTE_PGM_RSRC3_GFX90A:TG_SPLIT: 0
	.section	.text._ZN2at6native16triu_tril_kernelIN3c107complexIfEElLb1ELi2ELb1EEEvNS_4cuda6detail10TensorInfoIT_T0_EENS7_IKS8_S9_EEllS9_,"axG",@progbits,_ZN2at6native16triu_tril_kernelIN3c107complexIfEElLb1ELi2ELb1EEEvNS_4cuda6detail10TensorInfoIT_T0_EENS7_IKS8_S9_EEllS9_,comdat
	.protected	_ZN2at6native16triu_tril_kernelIN3c107complexIfEElLb1ELi2ELb1EEEvNS_4cuda6detail10TensorInfoIT_T0_EENS7_IKS8_S9_EEllS9_ ; -- Begin function _ZN2at6native16triu_tril_kernelIN3c107complexIfEElLb1ELi2ELb1EEEvNS_4cuda6detail10TensorInfoIT_T0_EENS7_IKS8_S9_EEllS9_
	.globl	_ZN2at6native16triu_tril_kernelIN3c107complexIfEElLb1ELi2ELb1EEEvNS_4cuda6detail10TensorInfoIT_T0_EENS7_IKS8_S9_EEllS9_
	.p2align	8
	.type	_ZN2at6native16triu_tril_kernelIN3c107complexIfEElLb1ELi2ELb1EEEvNS_4cuda6detail10TensorInfoIT_T0_EENS7_IKS8_S9_EEllS9_,@function
_ZN2at6native16triu_tril_kernelIN3c107complexIfEElLb1ELi2ELb1EEEvNS_4cuda6detail10TensorInfoIT_T0_EENS7_IKS8_S9_EEllS9_: ; @_ZN2at6native16triu_tril_kernelIN3c107complexIfEElLb1ELi2ELb1EEEvNS_4cuda6detail10TensorInfoIT_T0_EENS7_IKS8_S9_EEllS9_
; %bb.0:
	s_load_dword s2, s[4:5], 0x364
	s_load_dwordx4 s[8:11], s[4:5], 0x340
	s_add_u32 s0, s4, 0x358
	v_mov_b32_e32 v2, 0
	s_addc_u32 s1, s5, 0
	s_waitcnt lgkmcnt(0)
	s_and_b32 s12, s2, 0xffff
	v_mov_b32_e32 v1, v2
	v_mov_b32_e32 v3, s6
	v_mad_u64_u32 v[0:1], s[2:3], s12, v3, v[0:1]
	v_lshlrev_b64 v[0:1], 1, v[0:1]
	v_cmp_gt_i64_e32 vcc, s[10:11], v[0:1]
	s_and_saveexec_b64 s[2:3], vcc
	s_cbranch_execz .LBB86_21
; %bb.1:
	s_load_dword s13, s[0:1], 0x0
	s_load_dword s18, s[4:5], 0x338
	s_load_dwordx2 s[2:3], s[4:5], 0x350
	s_load_dwordx2 s[6:7], s[4:5], 0x0
	s_mov_b32 s48, 0
	s_waitcnt lgkmcnt(0)
	s_mul_i32 s20, s13, s12
	s_ashr_i32 s19, s18, 31
	s_add_u32 s24, s4, 0x1a8
	s_addc_u32 s25, s5, 0
	s_lshl_b64 s[0:1], s[18:19], 3
	s_add_u32 s16, s0, -16
	s_addc_u32 s17, s1, -1
	s_add_u32 s14, s24, s16
	s_addc_u32 s15, s25, s17
	v_cmp_gt_i64_e64 s[12:13], s[18:19], 2
	s_add_u32 s19, s0, -8
	s_addc_u32 s21, s1, -1
	s_add_u32 s26, s4, 0xd0
	s_addc_u32 s27, s5, 0
	s_add_u32 s4, s26, s19
	v_cvt_f32_u32_e32 v3, s2
	s_addc_u32 s5, s27, s21
	s_add_u32 s16, s26, s16
	s_addc_u32 s17, s27, s17
	s_add_i32 s0, s18, -3
	s_ashr_i32 s1, s0, 31
	v_rcp_iflag_f32_e32 v3, v3
	s_add_u32 s18, s24, s19
	s_addc_u32 s19, s25, s21
	s_lshl_b32 s33, s20, 1
	s_lshl_b64 s[22:23], s[0:1], 3
	s_add_u32 s20, s26, s22
	s_load_dwordx2 s[14:15], s[14:15], 0x0
	s_addc_u32 s21, s27, s23
	v_mul_f32_e32 v3, 0x4f7ffffe, v3
	s_add_u32 s22, s24, s22
	v_cvt_u32_f32_e32 v12, v3
	s_addc_u32 s23, s25, s23
	s_add_u32 s24, s0, 1
	s_addc_u32 s25, s1, 0
	s_mov_b64 s[26:27], 0
	s_branch .LBB86_3
.LBB86_2:                               ;   in Loop: Header=BB86_3 Depth=1
	s_or_b64 exec, exec, s[28:29]
	v_mov_b32_e32 v3, s48
	v_add_co_u32_e32 v0, vcc, s33, v0
	v_addc_co_u32_e32 v1, vcc, v1, v3, vcc
	v_cmp_le_i64_e32 vcc, s[10:11], v[0:1]
	s_or_b64 s[26:27], vcc, s[26:27]
	s_andn2_b64 exec, exec, s[26:27]
	s_cbranch_execz .LBB86_21
.LBB86_3:                               ; =>This Loop Header: Depth=1
                                        ;     Child Loop BB86_17 Depth 2
	v_or_b32_e32 v3, s3, v1
	v_cmp_ne_u64_e32 vcc, 0, v[2:3]
                                        ; implicit-def: $vgpr8_vgpr9
	s_and_saveexec_b64 s[0:1], vcc
	s_xor_b64 s[28:29], exec, s[0:1]
	s_cbranch_execz .LBB86_5
; %bb.4:                                ;   in Loop: Header=BB86_3 Depth=1
	s_ashr_i32 s30, s3, 31
	s_add_u32 s0, s2, s30
	s_mov_b32 s31, s30
	s_addc_u32 s1, s3, s30
	s_xor_b64 s[34:35], s[0:1], s[30:31]
	v_cvt_f32_u32_e32 v3, s34
	v_cvt_f32_u32_e32 v4, s35
	s_sub_u32 s0, 0, s34
	s_subb_u32 s1, 0, s35
	v_mac_f32_e32 v3, 0x4f800000, v4
	v_rcp_f32_e32 v3, v3
	v_mul_f32_e32 v3, 0x5f7ffffc, v3
	v_mul_f32_e32 v4, 0x2f800000, v3
	v_trunc_f32_e32 v4, v4
	v_mac_f32_e32 v3, 0xcf800000, v4
	v_cvt_u32_f32_e32 v4, v4
	v_cvt_u32_f32_e32 v3, v3
	v_mul_lo_u32 v5, s0, v4
	v_mul_hi_u32 v7, s0, v3
	v_mul_lo_u32 v6, s1, v3
	v_add_u32_e32 v5, v7, v5
	v_mul_lo_u32 v8, s0, v3
	v_add_u32_e32 v5, v5, v6
	v_mul_lo_u32 v7, v3, v5
	v_mul_hi_u32 v9, v3, v8
	v_mul_hi_u32 v6, v3, v5
	v_add_co_u32_e32 v7, vcc, v9, v7
	v_addc_co_u32_e32 v6, vcc, 0, v6, vcc
	v_mul_hi_u32 v10, v4, v8
	v_mul_lo_u32 v8, v4, v8
	v_add_co_u32_e32 v7, vcc, v7, v8
	v_mul_hi_u32 v9, v4, v5
	v_addc_co_u32_e32 v6, vcc, v6, v10, vcc
	v_addc_co_u32_e32 v7, vcc, 0, v9, vcc
	v_mul_lo_u32 v5, v4, v5
	v_add_co_u32_e32 v5, vcc, v6, v5
	v_addc_co_u32_e32 v6, vcc, 0, v7, vcc
	v_add_co_u32_e32 v3, vcc, v3, v5
	v_addc_co_u32_e32 v4, vcc, v4, v6, vcc
	v_mul_lo_u32 v5, s0, v4
	v_mul_hi_u32 v6, s0, v3
	v_add_u32_e32 v5, v6, v5
	v_mul_lo_u32 v6, s1, v3
	v_add_u32_e32 v5, v5, v6
	v_mul_lo_u32 v7, s0, v3
	v_mul_hi_u32 v8, v4, v7
	v_mul_lo_u32 v9, v4, v7
	v_mul_lo_u32 v11, v3, v5
	v_mul_hi_u32 v7, v3, v7
	v_mul_hi_u32 v10, v3, v5
	v_add_co_u32_e32 v7, vcc, v7, v11
	v_addc_co_u32_e32 v10, vcc, 0, v10, vcc
	v_add_co_u32_e32 v7, vcc, v7, v9
	v_mul_hi_u32 v6, v4, v5
	v_addc_co_u32_e32 v7, vcc, v10, v8, vcc
	v_addc_co_u32_e32 v6, vcc, 0, v6, vcc
	v_mul_lo_u32 v5, v4, v5
	v_add_co_u32_e32 v5, vcc, v7, v5
	v_addc_co_u32_e32 v6, vcc, 0, v6, vcc
	v_add_co_u32_e32 v3, vcc, v3, v5
	v_addc_co_u32_e32 v6, vcc, v4, v6, vcc
	v_ashrrev_i32_e32 v8, 31, v1
	v_add_co_u32_e32 v4, vcc, v0, v8
	v_addc_co_u32_e32 v5, vcc, v1, v8, vcc
	v_xor_b32_e32 v10, v4, v8
	v_xor_b32_e32 v9, v5, v8
	v_mad_u64_u32 v[4:5], s[0:1], v10, v6, 0
	v_mul_hi_u32 v7, v10, v3
	v_add_co_u32_e32 v11, vcc, v7, v4
	v_addc_co_u32_e32 v13, vcc, 0, v5, vcc
	v_mad_u64_u32 v[4:5], s[0:1], v9, v6, 0
	v_mad_u64_u32 v[6:7], s[0:1], v9, v3, 0
	v_add_co_u32_e32 v3, vcc, v11, v6
	v_addc_co_u32_e32 v3, vcc, v13, v7, vcc
	v_addc_co_u32_e32 v5, vcc, 0, v5, vcc
	v_add_co_u32_e32 v3, vcc, v3, v4
	v_addc_co_u32_e32 v6, vcc, 0, v5, vcc
	v_mul_lo_u32 v7, s35, v3
	v_mul_lo_u32 v11, s34, v6
	v_mad_u64_u32 v[4:5], s[0:1], s34, v3, 0
	v_add3_u32 v5, v5, v11, v7
	v_sub_u32_e32 v7, v9, v5
	v_mov_b32_e32 v11, s35
	v_sub_co_u32_e32 v4, vcc, v10, v4
	v_subb_co_u32_e64 v7, s[0:1], v7, v11, vcc
	v_subrev_co_u32_e64 v10, s[0:1], s34, v4
	v_subbrev_co_u32_e64 v7, s[0:1], 0, v7, s[0:1]
	v_cmp_le_u32_e64 s[0:1], s35, v7
	v_cndmask_b32_e64 v11, 0, -1, s[0:1]
	v_cmp_le_u32_e64 s[0:1], s34, v10
	v_cndmask_b32_e64 v10, 0, -1, s[0:1]
	v_cmp_eq_u32_e64 s[0:1], s35, v7
	v_cndmask_b32_e64 v7, v11, v10, s[0:1]
	v_add_co_u32_e64 v10, s[0:1], 2, v3
	v_subb_co_u32_e32 v5, vcc, v9, v5, vcc
	v_addc_co_u32_e64 v11, s[0:1], 0, v6, s[0:1]
	v_cmp_le_u32_e32 vcc, s35, v5
	v_add_co_u32_e64 v13, s[0:1], 1, v3
	v_cndmask_b32_e64 v9, 0, -1, vcc
	v_cmp_le_u32_e32 vcc, s34, v4
	v_addc_co_u32_e64 v14, s[0:1], 0, v6, s[0:1]
	v_cndmask_b32_e64 v4, 0, -1, vcc
	v_cmp_eq_u32_e32 vcc, s35, v5
	v_cmp_ne_u32_e64 s[0:1], 0, v7
	v_cndmask_b32_e32 v4, v9, v4, vcc
	v_cmp_ne_u32_e32 vcc, 0, v4
	v_cndmask_b32_e64 v5, v13, v10, s[0:1]
	v_cndmask_b32_e64 v7, v14, v11, s[0:1]
	v_cndmask_b32_e32 v3, v3, v5, vcc
	v_xor_b32_e32 v5, s30, v8
	v_cndmask_b32_e32 v4, v6, v7, vcc
	v_xor_b32_e32 v3, v3, v5
	v_xor_b32_e32 v4, v4, v5
	v_sub_co_u32_e32 v8, vcc, v3, v5
	v_subb_co_u32_e32 v9, vcc, v4, v5, vcc
.LBB86_5:                               ;   in Loop: Header=BB86_3 Depth=1
	s_andn2_saveexec_b64 s[0:1], s[28:29]
	s_cbranch_execz .LBB86_7
; %bb.6:                                ;   in Loop: Header=BB86_3 Depth=1
	s_sub_i32 s28, 0, s2
	v_mul_lo_u32 v3, s28, v12
	v_mul_hi_u32 v3, v12, v3
	v_add_u32_e32 v3, v12, v3
	v_mul_hi_u32 v3, v0, v3
	v_mul_lo_u32 v4, v3, s2
	v_sub_u32_e32 v4, v0, v4
	v_subrev_u32_e32 v5, s2, v4
	v_cmp_le_u32_e32 vcc, s2, v4
	v_cndmask_b32_e32 v4, v4, v5, vcc
	v_add_u32_e32 v5, 1, v3
	v_cndmask_b32_e32 v3, v3, v5, vcc
	v_add_u32_e32 v5, 1, v3
	v_cmp_le_u32_e32 vcc, s2, v4
	v_cndmask_b32_e32 v8, v3, v5, vcc
	v_mov_b32_e32 v9, v2
.LBB86_7:                               ;   in Loop: Header=BB86_3 Depth=1
	s_or_b64 exec, exec, s[0:1]
	s_waitcnt lgkmcnt(0)
	v_or_b32_e32 v3, s15, v9
	v_cmp_ne_u64_e32 vcc, 0, v[2:3]
                                        ; implicit-def: $vgpr6_vgpr7
	s_and_saveexec_b64 s[0:1], vcc
	s_xor_b64 s[28:29], exec, s[0:1]
	s_cbranch_execz .LBB86_9
; %bb.8:                                ;   in Loop: Header=BB86_3 Depth=1
	s_ashr_i32 s30, s15, 31
	s_add_u32 s0, s14, s30
	s_mov_b32 s31, s30
	s_addc_u32 s1, s15, s30
	s_xor_b64 s[34:35], s[0:1], s[30:31]
	v_cvt_f32_u32_e32 v3, s34
	v_cvt_f32_u32_e32 v4, s35
	s_sub_u32 s0, 0, s34
	s_subb_u32 s1, 0, s35
	v_mac_f32_e32 v3, 0x4f800000, v4
	v_rcp_f32_e32 v3, v3
	v_mul_f32_e32 v3, 0x5f7ffffc, v3
	v_mul_f32_e32 v4, 0x2f800000, v3
	v_trunc_f32_e32 v4, v4
	v_mac_f32_e32 v3, 0xcf800000, v4
	v_cvt_u32_f32_e32 v4, v4
	v_cvt_u32_f32_e32 v3, v3
	v_mul_lo_u32 v5, s0, v4
	v_mul_hi_u32 v7, s0, v3
	v_mul_lo_u32 v6, s1, v3
	v_add_u32_e32 v5, v7, v5
	v_mul_lo_u32 v10, s0, v3
	v_add_u32_e32 v5, v5, v6
	v_mul_lo_u32 v7, v3, v5
	v_mul_hi_u32 v11, v3, v10
	v_mul_hi_u32 v6, v3, v5
	v_add_co_u32_e32 v7, vcc, v11, v7
	v_addc_co_u32_e32 v6, vcc, 0, v6, vcc
	v_mul_hi_u32 v13, v4, v10
	v_mul_lo_u32 v10, v4, v10
	v_add_co_u32_e32 v7, vcc, v7, v10
	v_mul_hi_u32 v11, v4, v5
	v_addc_co_u32_e32 v6, vcc, v6, v13, vcc
	v_addc_co_u32_e32 v7, vcc, 0, v11, vcc
	v_mul_lo_u32 v5, v4, v5
	v_add_co_u32_e32 v5, vcc, v6, v5
	v_addc_co_u32_e32 v6, vcc, 0, v7, vcc
	v_add_co_u32_e32 v3, vcc, v3, v5
	v_addc_co_u32_e32 v4, vcc, v4, v6, vcc
	v_mul_lo_u32 v5, s0, v4
	v_mul_hi_u32 v6, s0, v3
	v_add_u32_e32 v5, v6, v5
	v_mul_lo_u32 v6, s1, v3
	v_add_u32_e32 v5, v5, v6
	v_mul_lo_u32 v7, s0, v3
	v_mul_hi_u32 v10, v4, v7
	v_mul_lo_u32 v11, v4, v7
	v_mul_lo_u32 v14, v3, v5
	v_mul_hi_u32 v7, v3, v7
	v_mul_hi_u32 v13, v3, v5
	v_add_co_u32_e32 v7, vcc, v7, v14
	v_addc_co_u32_e32 v13, vcc, 0, v13, vcc
	v_add_co_u32_e32 v7, vcc, v7, v11
	v_mul_hi_u32 v6, v4, v5
	v_addc_co_u32_e32 v7, vcc, v13, v10, vcc
	v_addc_co_u32_e32 v6, vcc, 0, v6, vcc
	v_mul_lo_u32 v5, v4, v5
	v_add_co_u32_e32 v5, vcc, v7, v5
	v_addc_co_u32_e32 v6, vcc, 0, v6, vcc
	v_add_co_u32_e32 v3, vcc, v3, v5
	v_addc_co_u32_e32 v6, vcc, v4, v6, vcc
	v_ashrrev_i32_e32 v10, 31, v9
	v_add_co_u32_e32 v4, vcc, v8, v10
	v_addc_co_u32_e32 v5, vcc, v9, v10, vcc
	v_xor_b32_e32 v13, v4, v10
	v_xor_b32_e32 v11, v5, v10
	v_mad_u64_u32 v[4:5], s[0:1], v13, v6, 0
	v_mul_hi_u32 v7, v13, v3
	v_add_co_u32_e32 v14, vcc, v7, v4
	v_addc_co_u32_e32 v15, vcc, 0, v5, vcc
	v_mad_u64_u32 v[4:5], s[0:1], v11, v6, 0
	v_mad_u64_u32 v[6:7], s[0:1], v11, v3, 0
	v_add_co_u32_e32 v3, vcc, v14, v6
	v_addc_co_u32_e32 v3, vcc, v15, v7, vcc
	v_addc_co_u32_e32 v5, vcc, 0, v5, vcc
	v_add_co_u32_e32 v3, vcc, v3, v4
	v_addc_co_u32_e32 v6, vcc, 0, v5, vcc
	v_mul_lo_u32 v7, s35, v3
	v_mul_lo_u32 v14, s34, v6
	v_mad_u64_u32 v[4:5], s[0:1], s34, v3, 0
	v_add3_u32 v5, v5, v14, v7
	v_sub_u32_e32 v7, v11, v5
	v_mov_b32_e32 v14, s35
	v_sub_co_u32_e32 v4, vcc, v13, v4
	v_subb_co_u32_e64 v7, s[0:1], v7, v14, vcc
	v_subrev_co_u32_e64 v13, s[0:1], s34, v4
	v_subbrev_co_u32_e64 v7, s[0:1], 0, v7, s[0:1]
	v_cmp_le_u32_e64 s[0:1], s35, v7
	v_cndmask_b32_e64 v14, 0, -1, s[0:1]
	v_cmp_le_u32_e64 s[0:1], s34, v13
	v_cndmask_b32_e64 v13, 0, -1, s[0:1]
	v_cmp_eq_u32_e64 s[0:1], s35, v7
	v_cndmask_b32_e64 v7, v14, v13, s[0:1]
	v_add_co_u32_e64 v13, s[0:1], 2, v3
	v_subb_co_u32_e32 v5, vcc, v11, v5, vcc
	v_addc_co_u32_e64 v14, s[0:1], 0, v6, s[0:1]
	v_cmp_le_u32_e32 vcc, s35, v5
	v_add_co_u32_e64 v15, s[0:1], 1, v3
	v_cndmask_b32_e64 v11, 0, -1, vcc
	v_cmp_le_u32_e32 vcc, s34, v4
	v_addc_co_u32_e64 v16, s[0:1], 0, v6, s[0:1]
	v_cndmask_b32_e64 v4, 0, -1, vcc
	v_cmp_eq_u32_e32 vcc, s35, v5
	v_cmp_ne_u32_e64 s[0:1], 0, v7
	v_cndmask_b32_e32 v4, v11, v4, vcc
	v_cmp_ne_u32_e32 vcc, 0, v4
	v_cndmask_b32_e64 v5, v15, v13, s[0:1]
	v_cndmask_b32_e64 v7, v16, v14, s[0:1]
	v_cndmask_b32_e32 v3, v3, v5, vcc
	v_xor_b32_e32 v5, s30, v10
	v_cndmask_b32_e32 v4, v6, v7, vcc
	v_xor_b32_e32 v3, v3, v5
	v_xor_b32_e32 v4, v4, v5
	v_sub_co_u32_e32 v6, vcc, v3, v5
	v_subb_co_u32_e32 v7, vcc, v4, v5, vcc
.LBB86_9:                               ;   in Loop: Header=BB86_3 Depth=1
	s_andn2_saveexec_b64 s[0:1], s[28:29]
	s_cbranch_execz .LBB86_11
; %bb.10:                               ;   in Loop: Header=BB86_3 Depth=1
	v_cvt_f32_u32_e32 v3, s14
	s_sub_i32 s28, 0, s14
	v_mov_b32_e32 v7, v2
	v_rcp_iflag_f32_e32 v3, v3
	v_mul_f32_e32 v3, 0x4f7ffffe, v3
	v_cvt_u32_f32_e32 v3, v3
	v_mul_lo_u32 v4, s28, v3
	v_mul_hi_u32 v4, v3, v4
	v_add_u32_e32 v3, v3, v4
	v_mul_hi_u32 v3, v8, v3
	v_mul_lo_u32 v4, v3, s14
	v_sub_u32_e32 v4, v8, v4
	v_add_u32_e32 v5, 1, v3
	v_subrev_u32_e32 v6, s14, v4
	v_cmp_le_u32_e32 vcc, s14, v4
	v_cndmask_b32_e32 v4, v4, v6, vcc
	v_cndmask_b32_e32 v3, v3, v5, vcc
	v_add_u32_e32 v5, 1, v3
	v_cmp_le_u32_e32 vcc, s14, v4
	v_cndmask_b32_e32 v6, v3, v5, vcc
.LBB86_11:                              ;   in Loop: Header=BB86_3 Depth=1
	s_or_b64 exec, exec, s[0:1]
	v_mul_lo_u32 v3, v9, s2
	v_mul_lo_u32 v10, v8, s3
	v_mad_u64_u32 v[4:5], s[0:1], v8, s2, 0
	v_add3_u32 v3, v5, v10, v3
	v_sub_co_u32_e32 v4, vcc, v0, v4
	v_subb_co_u32_e32 v5, vcc, v1, v3, vcc
	v_mul_lo_u32 v3, v7, s14
	v_mul_lo_u32 v13, v6, s15
	v_mad_u64_u32 v[10:11], s[0:1], v6, s14, 0
	v_add3_u32 v3, v11, v13, v3
	v_sub_co_u32_e32 v13, vcc, v8, v10
	v_subb_co_u32_e32 v14, vcc, v9, v3, vcc
	v_sub_co_u32_e32 v8, vcc, v4, v13
	v_subb_co_u32_e32 v9, vcc, v5, v14, vcc
	v_cmp_gt_i64_e32 vcc, s[8:9], v[8:9]
	s_and_saveexec_b64 s[28:29], vcc
	s_cbranch_execz .LBB86_2
; %bb.12:                               ;   in Loop: Header=BB86_3 Depth=1
	s_load_dwordx2 s[30:31], s[4:5], 0x0
	s_load_dwordx2 s[0:1], s[16:17], 0x0
	s_and_b64 vcc, exec, s[12:13]
	s_mov_b64 s[36:37], s[22:23]
	s_mov_b64 s[38:39], s[20:21]
	s_waitcnt lgkmcnt(0)
	v_mul_lo_u32 v3, s31, v4
	v_mul_lo_u32 v10, s30, v5
	v_mad_u64_u32 v[8:9], s[34:35], s30, v4, 0
	v_add3_u32 v9, v9, v10, v3
	v_mad_u64_u32 v[8:9], s[34:35], s0, v13, v[8:9]
	v_mul_lo_u32 v3, s0, v14
	v_mul_lo_u32 v10, s1, v13
	v_add3_u32 v9, v10, v9, v3
	s_mov_b64 s[34:35], s[24:25]
	s_cbranch_vccnz .LBB86_17
.LBB86_13:                              ;   in Loop: Header=BB86_3 Depth=1
	s_load_dwordx2 s[0:1], s[18:19], 0x0
	s_waitcnt lgkmcnt(0)
	v_cmp_gt_i64_e32 vcc, s[0:1], v[4:5]
	s_and_b64 exec, exec, vcc
	s_cbranch_execz .LBB86_2
; %bb.14:                               ;   in Loop: Header=BB86_3 Depth=1
	v_lshlrev_b64 v[6:7], 3, v[8:9]
	v_mov_b32_e32 v3, s7
	v_add_co_u32_e32 v6, vcc, s6, v6
	v_addc_co_u32_e32 v7, vcc, v3, v7, vcc
	v_add_co_u32_e32 v4, vcc, 1, v4
	v_addc_co_u32_e32 v5, vcc, 0, v5, vcc
	v_cmp_gt_i64_e32 vcc, s[0:1], v[4:5]
	v_sub_co_u32_e64 v4, s[0:1], v4, v13
	v_subb_co_u32_e64 v5, s[0:1], v5, v14, s[0:1]
	v_cmp_gt_i64_e64 s[0:1], s[8:9], v[4:5]
	v_mov_b32_e32 v3, v2
	s_and_b64 s[0:1], vcc, s[0:1]
	global_store_dwordx2 v[6:7], v[2:3], off
	s_and_b64 exec, exec, s[0:1]
	s_cbranch_execz .LBB86_2
; %bb.15:                               ;   in Loop: Header=BB86_3 Depth=1
	s_lshl_b64 s[0:1], s[30:31], 3
	v_mov_b32_e32 v5, s1
	v_add_co_u32_e32 v4, vcc, s0, v6
	v_addc_co_u32_e32 v5, vcc, v7, v5, vcc
	global_store_dwordx2 v[4:5], v[2:3], off
	s_branch .LBB86_2
.LBB86_16:                              ;   in Loop: Header=BB86_17 Depth=2
	s_or_b64 exec, exec, s[0:1]
	v_mad_u64_u32 v[16:17], s[0:1], v10, s40, 0
	s_load_dwordx2 s[0:1], s[38:39], 0x0
	s_add_u32 s38, s38, -8
	s_addc_u32 s39, s39, -1
	v_mul_lo_u32 v3, v11, s40
	v_mul_lo_u32 v15, v10, s41
	s_add_u32 s36, s36, -8
	v_add3_u32 v3, v17, v15, v3
	v_sub_co_u32_e32 v6, vcc, v6, v16
	s_addc_u32 s37, s37, -1
	v_subb_co_u32_e32 v3, vcc, v7, v3, vcc
	s_add_u32 s34, s34, -1
	s_waitcnt lgkmcnt(0)
	v_mul_lo_u32 v3, s0, v3
	v_mul_lo_u32 v7, s1, v6
	v_mad_u64_u32 v[8:9], s[0:1], s0, v6, v[8:9]
	s_addc_u32 s35, s35, -1
	v_cmp_lt_i64_e64 s[0:1], s[34:35], 1
	v_add3_u32 v9, v7, v9, v3
	s_and_b64 vcc, exec, s[0:1]
	v_pk_mov_b32 v[6:7], v[10:11], v[10:11] op_sel:[0,1]
	s_cbranch_vccnz .LBB86_13
.LBB86_17:                              ;   Parent Loop BB86_3 Depth=1
                                        ; =>  This Inner Loop Header: Depth=2
	s_load_dwordx2 s[40:41], s[36:37], 0x0
                                        ; implicit-def: $vgpr10_vgpr11
	s_waitcnt lgkmcnt(0)
	v_or_b32_e32 v3, s41, v7
	v_cmp_ne_u64_e32 vcc, 0, v[2:3]
	s_and_saveexec_b64 s[0:1], vcc
	s_xor_b64 s[42:43], exec, s[0:1]
	s_cbranch_execz .LBB86_19
; %bb.18:                               ;   in Loop: Header=BB86_17 Depth=2
	s_ashr_i32 s44, s41, 31
	s_add_u32 s0, s40, s44
	s_mov_b32 s45, s44
	s_addc_u32 s1, s41, s44
	s_xor_b64 s[46:47], s[0:1], s[44:45]
	v_cvt_f32_u32_e32 v3, s46
	v_cvt_f32_u32_e32 v10, s47
	s_sub_u32 s0, 0, s46
	s_subb_u32 s1, 0, s47
	v_mac_f32_e32 v3, 0x4f800000, v10
	v_rcp_f32_e32 v3, v3
	v_mul_f32_e32 v3, 0x5f7ffffc, v3
	v_mul_f32_e32 v10, 0x2f800000, v3
	v_trunc_f32_e32 v10, v10
	v_mac_f32_e32 v3, 0xcf800000, v10
	v_cvt_u32_f32_e32 v10, v10
	v_cvt_u32_f32_e32 v3, v3
	v_mul_lo_u32 v11, s0, v10
	v_mul_hi_u32 v16, s0, v3
	v_mul_lo_u32 v15, s1, v3
	v_add_u32_e32 v11, v16, v11
	v_mul_lo_u32 v17, s0, v3
	v_add_u32_e32 v11, v11, v15
	v_mul_lo_u32 v16, v3, v11
	v_mul_hi_u32 v18, v3, v17
	v_mul_hi_u32 v15, v3, v11
	v_add_co_u32_e32 v16, vcc, v18, v16
	v_addc_co_u32_e32 v15, vcc, 0, v15, vcc
	v_mul_hi_u32 v19, v10, v17
	v_mul_lo_u32 v17, v10, v17
	v_add_co_u32_e32 v16, vcc, v16, v17
	v_mul_hi_u32 v18, v10, v11
	v_addc_co_u32_e32 v15, vcc, v15, v19, vcc
	v_addc_co_u32_e32 v16, vcc, 0, v18, vcc
	v_mul_lo_u32 v11, v10, v11
	v_add_co_u32_e32 v11, vcc, v15, v11
	v_addc_co_u32_e32 v15, vcc, 0, v16, vcc
	v_add_co_u32_e32 v3, vcc, v3, v11
	v_addc_co_u32_e32 v10, vcc, v10, v15, vcc
	v_mul_lo_u32 v11, s0, v10
	v_mul_hi_u32 v15, s0, v3
	v_add_u32_e32 v11, v15, v11
	v_mul_lo_u32 v15, s1, v3
	v_add_u32_e32 v11, v11, v15
	v_mul_lo_u32 v16, s0, v3
	v_mul_hi_u32 v17, v10, v16
	v_mul_lo_u32 v18, v10, v16
	v_mul_lo_u32 v20, v3, v11
	v_mul_hi_u32 v16, v3, v16
	v_mul_hi_u32 v19, v3, v11
	v_add_co_u32_e32 v16, vcc, v16, v20
	v_addc_co_u32_e32 v19, vcc, 0, v19, vcc
	v_add_co_u32_e32 v16, vcc, v16, v18
	v_mul_hi_u32 v15, v10, v11
	v_addc_co_u32_e32 v16, vcc, v19, v17, vcc
	v_addc_co_u32_e32 v15, vcc, 0, v15, vcc
	v_mul_lo_u32 v11, v10, v11
	v_add_co_u32_e32 v11, vcc, v16, v11
	v_addc_co_u32_e32 v15, vcc, 0, v15, vcc
	v_add_co_u32_e32 v3, vcc, v3, v11
	v_addc_co_u32_e32 v15, vcc, v10, v15, vcc
	v_ashrrev_i32_e32 v18, 31, v7
	v_add_co_u32_e32 v10, vcc, v6, v18
	v_addc_co_u32_e32 v11, vcc, v7, v18, vcc
	v_xor_b32_e32 v20, v10, v18
	v_xor_b32_e32 v19, v11, v18
	v_mad_u64_u32 v[10:11], s[0:1], v20, v15, 0
	v_mul_hi_u32 v16, v20, v3
	v_add_co_u32_e32 v21, vcc, v16, v10
	v_addc_co_u32_e32 v22, vcc, 0, v11, vcc
	v_mad_u64_u32 v[16:17], s[0:1], v19, v3, 0
	v_add_co_u32_e32 v3, vcc, v21, v16
	v_mad_u64_u32 v[10:11], s[0:1], v19, v15, 0
	v_addc_co_u32_e32 v3, vcc, v22, v17, vcc
	v_addc_co_u32_e32 v11, vcc, 0, v11, vcc
	v_add_co_u32_e32 v3, vcc, v3, v10
	v_addc_co_u32_e32 v15, vcc, 0, v11, vcc
	v_mul_lo_u32 v16, s47, v3
	v_mul_lo_u32 v17, s46, v15
	v_mad_u64_u32 v[10:11], s[0:1], s46, v3, 0
	v_add3_u32 v11, v11, v17, v16
	v_sub_u32_e32 v16, v19, v11
	v_mov_b32_e32 v17, s47
	v_sub_co_u32_e32 v10, vcc, v20, v10
	v_subb_co_u32_e64 v16, s[0:1], v16, v17, vcc
	v_subrev_co_u32_e64 v17, s[0:1], s46, v10
	v_subbrev_co_u32_e64 v16, s[0:1], 0, v16, s[0:1]
	v_cmp_le_u32_e64 s[0:1], s47, v16
	v_cndmask_b32_e64 v20, 0, -1, s[0:1]
	v_cmp_le_u32_e64 s[0:1], s46, v17
	v_cndmask_b32_e64 v17, 0, -1, s[0:1]
	v_cmp_eq_u32_e64 s[0:1], s47, v16
	v_cndmask_b32_e64 v16, v20, v17, s[0:1]
	v_add_co_u32_e64 v17, s[0:1], 2, v3
	v_subb_co_u32_e32 v11, vcc, v19, v11, vcc
	v_addc_co_u32_e64 v20, s[0:1], 0, v15, s[0:1]
	v_cmp_le_u32_e32 vcc, s47, v11
	v_add_co_u32_e64 v21, s[0:1], 1, v3
	v_cndmask_b32_e64 v19, 0, -1, vcc
	v_cmp_le_u32_e32 vcc, s46, v10
	v_addc_co_u32_e64 v22, s[0:1], 0, v15, s[0:1]
	v_cndmask_b32_e64 v10, 0, -1, vcc
	v_cmp_eq_u32_e32 vcc, s47, v11
	v_cmp_ne_u32_e64 s[0:1], 0, v16
	v_cndmask_b32_e32 v10, v19, v10, vcc
	v_cmp_ne_u32_e32 vcc, 0, v10
	v_cndmask_b32_e64 v11, v21, v17, s[0:1]
	v_cndmask_b32_e64 v16, v22, v20, s[0:1]
	v_cndmask_b32_e32 v3, v3, v11, vcc
	v_xor_b32_e32 v11, s44, v18
	v_cndmask_b32_e32 v10, v15, v16, vcc
	v_xor_b32_e32 v3, v3, v11
	v_xor_b32_e32 v15, v10, v11
	v_sub_co_u32_e32 v10, vcc, v3, v11
	v_subb_co_u32_e32 v11, vcc, v15, v11, vcc
.LBB86_19:                              ;   in Loop: Header=BB86_17 Depth=2
	s_andn2_saveexec_b64 s[0:1], s[42:43]
	s_cbranch_execz .LBB86_16
; %bb.20:                               ;   in Loop: Header=BB86_17 Depth=2
	v_cvt_f32_u32_e32 v3, s40
	s_sub_i32 s42, 0, s40
	v_rcp_iflag_f32_e32 v3, v3
	v_mul_f32_e32 v3, 0x4f7ffffe, v3
	v_cvt_u32_f32_e32 v3, v3
	v_mul_lo_u32 v10, s42, v3
	v_mul_hi_u32 v10, v3, v10
	v_add_u32_e32 v3, v3, v10
	v_mul_hi_u32 v3, v6, v3
	v_mul_lo_u32 v10, v3, s40
	v_sub_u32_e32 v10, v6, v10
	v_add_u32_e32 v11, 1, v3
	v_subrev_u32_e32 v15, s40, v10
	v_cmp_le_u32_e32 vcc, s40, v10
	v_cndmask_b32_e32 v10, v10, v15, vcc
	v_cndmask_b32_e32 v3, v3, v11, vcc
	v_add_u32_e32 v11, 1, v3
	v_cmp_le_u32_e32 vcc, s40, v10
	v_cndmask_b32_e32 v10, v3, v11, vcc
	v_mov_b32_e32 v11, v2
	s_branch .LBB86_16
.LBB86_21:
	s_endpgm
	.section	.rodata,"a",@progbits
	.p2align	6, 0x0
	.amdhsa_kernel _ZN2at6native16triu_tril_kernelIN3c107complexIfEElLb1ELi2ELb1EEEvNS_4cuda6detail10TensorInfoIT_T0_EENS7_IKS8_S9_EEllS9_
		.amdhsa_group_segment_fixed_size 0
		.amdhsa_private_segment_fixed_size 0
		.amdhsa_kernarg_size 1112
		.amdhsa_user_sgpr_count 6
		.amdhsa_user_sgpr_private_segment_buffer 1
		.amdhsa_user_sgpr_dispatch_ptr 0
		.amdhsa_user_sgpr_queue_ptr 0
		.amdhsa_user_sgpr_kernarg_segment_ptr 1
		.amdhsa_user_sgpr_dispatch_id 0
		.amdhsa_user_sgpr_flat_scratch_init 0
		.amdhsa_user_sgpr_kernarg_preload_length 0
		.amdhsa_user_sgpr_kernarg_preload_offset 0
		.amdhsa_user_sgpr_private_segment_size 0
		.amdhsa_uses_dynamic_stack 0
		.amdhsa_system_sgpr_private_segment_wavefront_offset 0
		.amdhsa_system_sgpr_workgroup_id_x 1
		.amdhsa_system_sgpr_workgroup_id_y 0
		.amdhsa_system_sgpr_workgroup_id_z 0
		.amdhsa_system_sgpr_workgroup_info 0
		.amdhsa_system_vgpr_workitem_id 0
		.amdhsa_next_free_vgpr 23
		.amdhsa_next_free_sgpr 49
		.amdhsa_accum_offset 24
		.amdhsa_reserve_vcc 1
		.amdhsa_reserve_flat_scratch 0
		.amdhsa_float_round_mode_32 0
		.amdhsa_float_round_mode_16_64 0
		.amdhsa_float_denorm_mode_32 3
		.amdhsa_float_denorm_mode_16_64 3
		.amdhsa_dx10_clamp 1
		.amdhsa_ieee_mode 1
		.amdhsa_fp16_overflow 0
		.amdhsa_tg_split 0
		.amdhsa_exception_fp_ieee_invalid_op 0
		.amdhsa_exception_fp_denorm_src 0
		.amdhsa_exception_fp_ieee_div_zero 0
		.amdhsa_exception_fp_ieee_overflow 0
		.amdhsa_exception_fp_ieee_underflow 0
		.amdhsa_exception_fp_ieee_inexact 0
		.amdhsa_exception_int_div_zero 0
	.end_amdhsa_kernel
	.section	.text._ZN2at6native16triu_tril_kernelIN3c107complexIfEElLb1ELi2ELb1EEEvNS_4cuda6detail10TensorInfoIT_T0_EENS7_IKS8_S9_EEllS9_,"axG",@progbits,_ZN2at6native16triu_tril_kernelIN3c107complexIfEElLb1ELi2ELb1EEEvNS_4cuda6detail10TensorInfoIT_T0_EENS7_IKS8_S9_EEllS9_,comdat
.Lfunc_end86:
	.size	_ZN2at6native16triu_tril_kernelIN3c107complexIfEElLb1ELi2ELb1EEEvNS_4cuda6detail10TensorInfoIT_T0_EENS7_IKS8_S9_EEllS9_, .Lfunc_end86-_ZN2at6native16triu_tril_kernelIN3c107complexIfEElLb1ELi2ELb1EEEvNS_4cuda6detail10TensorInfoIT_T0_EENS7_IKS8_S9_EEllS9_
                                        ; -- End function
	.section	.AMDGPU.csdata,"",@progbits
; Kernel info:
; codeLenInByte = 3192
; NumSgprs: 53
; NumVgprs: 23
; NumAgprs: 0
; TotalNumVgprs: 23
; ScratchSize: 0
; MemoryBound: 0
; FloatMode: 240
; IeeeMode: 1
; LDSByteSize: 0 bytes/workgroup (compile time only)
; SGPRBlocks: 6
; VGPRBlocks: 2
; NumSGPRsForWavesPerEU: 53
; NumVGPRsForWavesPerEU: 23
; AccumOffset: 24
; Occupancy: 8
; WaveLimiterHint : 0
; COMPUTE_PGM_RSRC2:SCRATCH_EN: 0
; COMPUTE_PGM_RSRC2:USER_SGPR: 6
; COMPUTE_PGM_RSRC2:TRAP_HANDLER: 0
; COMPUTE_PGM_RSRC2:TGID_X_EN: 1
; COMPUTE_PGM_RSRC2:TGID_Y_EN: 0
; COMPUTE_PGM_RSRC2:TGID_Z_EN: 0
; COMPUTE_PGM_RSRC2:TIDIG_COMP_CNT: 0
; COMPUTE_PGM_RSRC3_GFX90A:ACCUM_OFFSET: 5
; COMPUTE_PGM_RSRC3_GFX90A:TG_SPLIT: 0
	.section	.text._ZN2at6native16triu_tril_kernelIN3c107complexIfEElLb1ELi2ELb0EEEvNS_4cuda6detail10TensorInfoIT_T0_EENS7_IKS8_S9_EEllS9_,"axG",@progbits,_ZN2at6native16triu_tril_kernelIN3c107complexIfEElLb1ELi2ELb0EEEvNS_4cuda6detail10TensorInfoIT_T0_EENS7_IKS8_S9_EEllS9_,comdat
	.protected	_ZN2at6native16triu_tril_kernelIN3c107complexIfEElLb1ELi2ELb0EEEvNS_4cuda6detail10TensorInfoIT_T0_EENS7_IKS8_S9_EEllS9_ ; -- Begin function _ZN2at6native16triu_tril_kernelIN3c107complexIfEElLb1ELi2ELb0EEEvNS_4cuda6detail10TensorInfoIT_T0_EENS7_IKS8_S9_EEllS9_
	.globl	_ZN2at6native16triu_tril_kernelIN3c107complexIfEElLb1ELi2ELb0EEEvNS_4cuda6detail10TensorInfoIT_T0_EENS7_IKS8_S9_EEllS9_
	.p2align	8
	.type	_ZN2at6native16triu_tril_kernelIN3c107complexIfEElLb1ELi2ELb0EEEvNS_4cuda6detail10TensorInfoIT_T0_EENS7_IKS8_S9_EEllS9_,@function
_ZN2at6native16triu_tril_kernelIN3c107complexIfEElLb1ELi2ELb0EEEvNS_4cuda6detail10TensorInfoIT_T0_EENS7_IKS8_S9_EEllS9_: ; @_ZN2at6native16triu_tril_kernelIN3c107complexIfEElLb1ELi2ELb0EEEvNS_4cuda6detail10TensorInfoIT_T0_EENS7_IKS8_S9_EEllS9_
; %bb.0:
	s_load_dword s2, s[4:5], 0x364
	s_load_dwordx4 s[8:11], s[4:5], 0x340
	s_add_u32 s0, s4, 0x358
	v_mov_b32_e32 v2, 0
	s_addc_u32 s1, s5, 0
	s_waitcnt lgkmcnt(0)
	s_and_b32 s7, s2, 0xffff
	v_mov_b32_e32 v1, v2
	v_mov_b32_e32 v3, s6
	v_mad_u64_u32 v[0:1], s[2:3], s7, v3, v[0:1]
	v_lshlrev_b64 v[0:1], 1, v[0:1]
	v_cmp_gt_i64_e32 vcc, s[10:11], v[0:1]
	s_and_saveexec_b64 s[2:3], vcc
	s_cbranch_execz .LBB87_26
; %bb.1:
	s_load_dword s6, s[0:1], 0x0
	s_load_dwordx2 s[2:3], s[4:5], 0x350
	s_load_dword s26, s[4:5], 0x338
	s_add_u32 s12, s4, 0x1a0
	s_addc_u32 s13, s5, 0
	s_waitcnt lgkmcnt(0)
	s_mul_i32 s28, s6, s7
	v_cvt_f32_u32_e32 v3, s2
	s_ashr_i32 s27, s26, 31
	s_add_u32 s30, s4, 0x1a8
	s_addc_u32 s31, s5, 0
	s_lshl_b64 s[0:1], s[26:27], 3
	s_add_u32 s22, s0, -16
	s_addc_u32 s23, s1, -1
	s_add_u32 s0, s30, s22
	s_addc_u32 s1, s31, s23
	s_add_u32 s20, s12, s22
	s_addc_u32 s21, s13, s23
	v_cmp_gt_i64_e64 s[24:25], s[26:27], 2
	s_add_u32 s27, s4, 0xd0
	s_addc_u32 s34, s5, 0
	s_load_dwordx4 s[12:15], s[0:1], 0x0
	s_load_dwordx4 s[16:19], s[20:21], 0xd0
	s_add_u32 s0, s27, s22
	s_addc_u32 s1, s34, s23
	s_load_dwordx2 s[6:7], s[4:5], 0x1a0
	s_load_dwordx4 s[20:23], s[0:1], 0x0
	v_rcp_iflag_f32_e32 v3, v3
	s_load_dwordx2 s[4:5], s[4:5], 0x0
	s_add_i32 s0, s26, -3
	s_ashr_i32 s1, s0, 31
	s_lshl_b32 s33, s28, 1
	s_lshl_b64 s[28:29], s[0:1], 3
	s_add_u32 s26, s27, s28
	s_addc_u32 s27, s34, s29
	v_mul_f32_e32 v3, 0x4f7ffffe, v3
	s_add_u32 s28, s30, s28
	v_cvt_u32_f32_e32 v18, v3
	s_addc_u32 s29, s31, s29
	s_add_u32 s30, s0, 1
	s_mov_b32 s50, 0
	s_addc_u32 s31, s1, 0
	s_mov_b64 s[34:35], 0
	s_branch .LBB87_3
.LBB87_2:                               ;   in Loop: Header=BB87_3 Depth=1
	s_or_b64 exec, exec, s[0:1]
	v_mov_b32_e32 v3, s50
	v_add_co_u32_e32 v0, vcc, s33, v0
	v_addc_co_u32_e32 v1, vcc, v1, v3, vcc
	v_cmp_le_i64_e32 vcc, s[10:11], v[0:1]
	s_or_b64 s[34:35], vcc, s[34:35]
	s_andn2_b64 exec, exec, s[34:35]
	s_cbranch_execz .LBB87_26
.LBB87_3:                               ; =>This Loop Header: Depth=1
                                        ;     Child Loop BB87_22 Depth 2
	v_or_b32_e32 v3, s3, v1
	v_cmp_ne_u64_e32 vcc, 0, v[2:3]
                                        ; implicit-def: $vgpr6_vgpr7
	s_and_saveexec_b64 s[0:1], vcc
	s_xor_b64 s[36:37], exec, s[0:1]
	s_cbranch_execz .LBB87_5
; %bb.4:                                ;   in Loop: Header=BB87_3 Depth=1
	s_ashr_i32 s38, s3, 31
	s_add_u32 s0, s2, s38
	s_mov_b32 s39, s38
	s_addc_u32 s1, s3, s38
	s_xor_b64 s[40:41], s[0:1], s[38:39]
	v_cvt_f32_u32_e32 v3, s40
	v_cvt_f32_u32_e32 v4, s41
	s_sub_u32 s0, 0, s40
	s_subb_u32 s1, 0, s41
	v_mac_f32_e32 v3, 0x4f800000, v4
	v_rcp_f32_e32 v3, v3
	v_mul_f32_e32 v3, 0x5f7ffffc, v3
	v_mul_f32_e32 v4, 0x2f800000, v3
	v_trunc_f32_e32 v4, v4
	v_mac_f32_e32 v3, 0xcf800000, v4
	v_cvt_u32_f32_e32 v4, v4
	v_cvt_u32_f32_e32 v3, v3
	v_mul_lo_u32 v5, s0, v4
	v_mul_hi_u32 v7, s0, v3
	v_mul_lo_u32 v6, s1, v3
	v_add_u32_e32 v5, v7, v5
	v_mul_lo_u32 v8, s0, v3
	v_add_u32_e32 v5, v5, v6
	v_mul_lo_u32 v7, v3, v5
	v_mul_hi_u32 v9, v3, v8
	v_mul_hi_u32 v6, v3, v5
	v_add_co_u32_e32 v7, vcc, v9, v7
	v_addc_co_u32_e32 v6, vcc, 0, v6, vcc
	v_mul_hi_u32 v10, v4, v8
	v_mul_lo_u32 v8, v4, v8
	v_add_co_u32_e32 v7, vcc, v7, v8
	v_mul_hi_u32 v9, v4, v5
	v_addc_co_u32_e32 v6, vcc, v6, v10, vcc
	v_addc_co_u32_e32 v7, vcc, 0, v9, vcc
	v_mul_lo_u32 v5, v4, v5
	v_add_co_u32_e32 v5, vcc, v6, v5
	v_addc_co_u32_e32 v6, vcc, 0, v7, vcc
	v_add_co_u32_e32 v3, vcc, v3, v5
	v_addc_co_u32_e32 v4, vcc, v4, v6, vcc
	v_mul_lo_u32 v5, s0, v4
	v_mul_hi_u32 v6, s0, v3
	v_add_u32_e32 v5, v6, v5
	v_mul_lo_u32 v6, s1, v3
	v_add_u32_e32 v5, v5, v6
	v_mul_lo_u32 v7, s0, v3
	v_mul_hi_u32 v8, v4, v7
	v_mul_lo_u32 v9, v4, v7
	v_mul_lo_u32 v11, v3, v5
	v_mul_hi_u32 v7, v3, v7
	v_mul_hi_u32 v10, v3, v5
	v_add_co_u32_e32 v7, vcc, v7, v11
	v_addc_co_u32_e32 v10, vcc, 0, v10, vcc
	v_add_co_u32_e32 v7, vcc, v7, v9
	v_mul_hi_u32 v6, v4, v5
	v_addc_co_u32_e32 v7, vcc, v10, v8, vcc
	v_addc_co_u32_e32 v6, vcc, 0, v6, vcc
	v_mul_lo_u32 v5, v4, v5
	v_add_co_u32_e32 v5, vcc, v7, v5
	v_addc_co_u32_e32 v6, vcc, 0, v6, vcc
	v_add_co_u32_e32 v3, vcc, v3, v5
	v_addc_co_u32_e32 v6, vcc, v4, v6, vcc
	v_ashrrev_i32_e32 v8, 31, v1
	v_add_co_u32_e32 v4, vcc, v0, v8
	v_addc_co_u32_e32 v5, vcc, v1, v8, vcc
	v_xor_b32_e32 v10, v4, v8
	v_xor_b32_e32 v9, v5, v8
	v_mad_u64_u32 v[4:5], s[0:1], v10, v6, 0
	v_mul_hi_u32 v7, v10, v3
	v_add_co_u32_e32 v11, vcc, v7, v4
	v_addc_co_u32_e32 v12, vcc, 0, v5, vcc
	v_mad_u64_u32 v[4:5], s[0:1], v9, v6, 0
	v_mad_u64_u32 v[6:7], s[0:1], v9, v3, 0
	v_add_co_u32_e32 v3, vcc, v11, v6
	v_addc_co_u32_e32 v3, vcc, v12, v7, vcc
	v_addc_co_u32_e32 v5, vcc, 0, v5, vcc
	v_add_co_u32_e32 v3, vcc, v3, v4
	v_addc_co_u32_e32 v6, vcc, 0, v5, vcc
	v_mul_lo_u32 v7, s41, v3
	v_mul_lo_u32 v11, s40, v6
	v_mad_u64_u32 v[4:5], s[0:1], s40, v3, 0
	v_add3_u32 v5, v5, v11, v7
	v_sub_u32_e32 v7, v9, v5
	v_mov_b32_e32 v11, s41
	v_sub_co_u32_e32 v4, vcc, v10, v4
	v_subb_co_u32_e64 v7, s[0:1], v7, v11, vcc
	v_subrev_co_u32_e64 v10, s[0:1], s40, v4
	v_subbrev_co_u32_e64 v7, s[0:1], 0, v7, s[0:1]
	v_cmp_le_u32_e64 s[0:1], s41, v7
	v_cndmask_b32_e64 v11, 0, -1, s[0:1]
	v_cmp_le_u32_e64 s[0:1], s40, v10
	v_cndmask_b32_e64 v10, 0, -1, s[0:1]
	v_cmp_eq_u32_e64 s[0:1], s41, v7
	v_cndmask_b32_e64 v7, v11, v10, s[0:1]
	v_add_co_u32_e64 v10, s[0:1], 2, v3
	v_subb_co_u32_e32 v5, vcc, v9, v5, vcc
	v_addc_co_u32_e64 v11, s[0:1], 0, v6, s[0:1]
	v_cmp_le_u32_e32 vcc, s41, v5
	v_add_co_u32_e64 v12, s[0:1], 1, v3
	v_cndmask_b32_e64 v9, 0, -1, vcc
	v_cmp_le_u32_e32 vcc, s40, v4
	v_addc_co_u32_e64 v13, s[0:1], 0, v6, s[0:1]
	v_cndmask_b32_e64 v4, 0, -1, vcc
	v_cmp_eq_u32_e32 vcc, s41, v5
	v_cmp_ne_u32_e64 s[0:1], 0, v7
	v_cndmask_b32_e32 v4, v9, v4, vcc
	v_cmp_ne_u32_e32 vcc, 0, v4
	v_cndmask_b32_e64 v5, v12, v10, s[0:1]
	v_cndmask_b32_e64 v7, v13, v11, s[0:1]
	v_cndmask_b32_e32 v3, v3, v5, vcc
	v_xor_b32_e32 v5, s38, v8
	v_cndmask_b32_e32 v4, v6, v7, vcc
	v_xor_b32_e32 v3, v3, v5
	v_xor_b32_e32 v4, v4, v5
	v_sub_co_u32_e32 v6, vcc, v3, v5
	v_subb_co_u32_e32 v7, vcc, v4, v5, vcc
.LBB87_5:                               ;   in Loop: Header=BB87_3 Depth=1
	s_andn2_saveexec_b64 s[0:1], s[36:37]
	s_cbranch_execz .LBB87_7
; %bb.6:                                ;   in Loop: Header=BB87_3 Depth=1
	s_sub_i32 s36, 0, s2
	v_mul_lo_u32 v3, s36, v18
	v_mul_hi_u32 v3, v18, v3
	v_add_u32_e32 v3, v18, v3
	v_mul_hi_u32 v3, v0, v3
	v_mul_lo_u32 v4, v3, s2
	v_sub_u32_e32 v4, v0, v4
	v_subrev_u32_e32 v5, s2, v4
	v_cmp_le_u32_e32 vcc, s2, v4
	v_cndmask_b32_e32 v4, v4, v5, vcc
	v_add_u32_e32 v5, 1, v3
	v_cndmask_b32_e32 v3, v3, v5, vcc
	v_add_u32_e32 v5, 1, v3
	v_cmp_le_u32_e32 vcc, s2, v4
	v_cndmask_b32_e32 v6, v3, v5, vcc
	v_mov_b32_e32 v7, v2
.LBB87_7:                               ;   in Loop: Header=BB87_3 Depth=1
	s_or_b64 exec, exec, s[0:1]
	s_waitcnt lgkmcnt(0)
	v_or_b32_e32 v3, s13, v7
	v_cmp_ne_u64_e32 vcc, 0, v[2:3]
                                        ; implicit-def: $vgpr10_vgpr11
	s_and_saveexec_b64 s[0:1], vcc
	s_xor_b64 s[36:37], exec, s[0:1]
	s_cbranch_execz .LBB87_9
; %bb.8:                                ;   in Loop: Header=BB87_3 Depth=1
	s_ashr_i32 s38, s13, 31
	s_add_u32 s0, s12, s38
	s_mov_b32 s39, s38
	s_addc_u32 s1, s13, s38
	s_xor_b64 s[40:41], s[0:1], s[38:39]
	v_cvt_f32_u32_e32 v3, s40
	v_cvt_f32_u32_e32 v4, s41
	s_sub_u32 s0, 0, s40
	s_subb_u32 s1, 0, s41
	v_mac_f32_e32 v3, 0x4f800000, v4
	v_rcp_f32_e32 v3, v3
	v_mul_f32_e32 v3, 0x5f7ffffc, v3
	v_mul_f32_e32 v4, 0x2f800000, v3
	v_trunc_f32_e32 v4, v4
	v_mac_f32_e32 v3, 0xcf800000, v4
	v_cvt_u32_f32_e32 v4, v4
	v_cvt_u32_f32_e32 v3, v3
	v_mul_lo_u32 v5, s0, v4
	v_mul_hi_u32 v9, s0, v3
	v_mul_lo_u32 v8, s1, v3
	v_add_u32_e32 v5, v9, v5
	v_mul_lo_u32 v10, s0, v3
	v_add_u32_e32 v5, v5, v8
	v_mul_lo_u32 v9, v3, v5
	v_mul_hi_u32 v11, v3, v10
	v_mul_hi_u32 v8, v3, v5
	v_add_co_u32_e32 v9, vcc, v11, v9
	v_addc_co_u32_e32 v8, vcc, 0, v8, vcc
	v_mul_hi_u32 v12, v4, v10
	v_mul_lo_u32 v10, v4, v10
	v_add_co_u32_e32 v9, vcc, v9, v10
	v_mul_hi_u32 v11, v4, v5
	v_addc_co_u32_e32 v8, vcc, v8, v12, vcc
	v_addc_co_u32_e32 v9, vcc, 0, v11, vcc
	v_mul_lo_u32 v5, v4, v5
	v_add_co_u32_e32 v5, vcc, v8, v5
	v_addc_co_u32_e32 v8, vcc, 0, v9, vcc
	v_add_co_u32_e32 v3, vcc, v3, v5
	v_addc_co_u32_e32 v4, vcc, v4, v8, vcc
	v_mul_lo_u32 v5, s0, v4
	v_mul_hi_u32 v8, s0, v3
	v_add_u32_e32 v5, v8, v5
	v_mul_lo_u32 v8, s1, v3
	v_add_u32_e32 v5, v5, v8
	v_mul_lo_u32 v9, s0, v3
	v_mul_hi_u32 v10, v4, v9
	v_mul_lo_u32 v11, v4, v9
	v_mul_lo_u32 v13, v3, v5
	v_mul_hi_u32 v9, v3, v9
	v_mul_hi_u32 v12, v3, v5
	v_add_co_u32_e32 v9, vcc, v9, v13
	v_addc_co_u32_e32 v12, vcc, 0, v12, vcc
	v_add_co_u32_e32 v9, vcc, v9, v11
	v_mul_hi_u32 v8, v4, v5
	v_addc_co_u32_e32 v9, vcc, v12, v10, vcc
	v_addc_co_u32_e32 v8, vcc, 0, v8, vcc
	v_mul_lo_u32 v5, v4, v5
	v_add_co_u32_e32 v5, vcc, v9, v5
	v_addc_co_u32_e32 v8, vcc, 0, v8, vcc
	v_add_co_u32_e32 v3, vcc, v3, v5
	v_addc_co_u32_e32 v8, vcc, v4, v8, vcc
	v_ashrrev_i32_e32 v10, 31, v7
	v_add_co_u32_e32 v4, vcc, v6, v10
	v_addc_co_u32_e32 v5, vcc, v7, v10, vcc
	v_xor_b32_e32 v12, v4, v10
	v_xor_b32_e32 v11, v5, v10
	v_mad_u64_u32 v[4:5], s[0:1], v12, v8, 0
	v_mul_hi_u32 v9, v12, v3
	v_add_co_u32_e32 v13, vcc, v9, v4
	v_addc_co_u32_e32 v14, vcc, 0, v5, vcc
	v_mad_u64_u32 v[4:5], s[0:1], v11, v8, 0
	v_mad_u64_u32 v[8:9], s[0:1], v11, v3, 0
	v_add_co_u32_e32 v3, vcc, v13, v8
	v_addc_co_u32_e32 v3, vcc, v14, v9, vcc
	v_addc_co_u32_e32 v5, vcc, 0, v5, vcc
	v_add_co_u32_e32 v3, vcc, v3, v4
	v_addc_co_u32_e32 v8, vcc, 0, v5, vcc
	v_mul_lo_u32 v9, s41, v3
	v_mul_lo_u32 v13, s40, v8
	v_mad_u64_u32 v[4:5], s[0:1], s40, v3, 0
	v_add3_u32 v5, v5, v13, v9
	v_sub_u32_e32 v9, v11, v5
	v_mov_b32_e32 v13, s41
	v_sub_co_u32_e32 v4, vcc, v12, v4
	v_subb_co_u32_e64 v9, s[0:1], v9, v13, vcc
	v_subrev_co_u32_e64 v12, s[0:1], s40, v4
	v_subbrev_co_u32_e64 v9, s[0:1], 0, v9, s[0:1]
	v_cmp_le_u32_e64 s[0:1], s41, v9
	v_cndmask_b32_e64 v13, 0, -1, s[0:1]
	v_cmp_le_u32_e64 s[0:1], s40, v12
	v_cndmask_b32_e64 v12, 0, -1, s[0:1]
	v_cmp_eq_u32_e64 s[0:1], s41, v9
	v_cndmask_b32_e64 v9, v13, v12, s[0:1]
	v_add_co_u32_e64 v12, s[0:1], 2, v3
	v_subb_co_u32_e32 v5, vcc, v11, v5, vcc
	v_addc_co_u32_e64 v13, s[0:1], 0, v8, s[0:1]
	v_cmp_le_u32_e32 vcc, s41, v5
	v_add_co_u32_e64 v14, s[0:1], 1, v3
	v_cndmask_b32_e64 v11, 0, -1, vcc
	v_cmp_le_u32_e32 vcc, s40, v4
	v_addc_co_u32_e64 v15, s[0:1], 0, v8, s[0:1]
	v_cndmask_b32_e64 v4, 0, -1, vcc
	v_cmp_eq_u32_e32 vcc, s41, v5
	v_cmp_ne_u32_e64 s[0:1], 0, v9
	v_cndmask_b32_e32 v4, v11, v4, vcc
	v_cmp_ne_u32_e32 vcc, 0, v4
	v_cndmask_b32_e64 v5, v14, v12, s[0:1]
	v_cndmask_b32_e64 v9, v15, v13, s[0:1]
	v_cndmask_b32_e32 v3, v3, v5, vcc
	v_xor_b32_e32 v5, s38, v10
	v_cndmask_b32_e32 v4, v8, v9, vcc
	v_xor_b32_e32 v3, v3, v5
	v_xor_b32_e32 v4, v4, v5
	v_sub_co_u32_e32 v10, vcc, v3, v5
	v_subb_co_u32_e32 v11, vcc, v4, v5, vcc
.LBB87_9:                               ;   in Loop: Header=BB87_3 Depth=1
	s_andn2_saveexec_b64 s[0:1], s[36:37]
	s_cbranch_execz .LBB87_11
; %bb.10:                               ;   in Loop: Header=BB87_3 Depth=1
	v_cvt_f32_u32_e32 v3, s12
	s_sub_i32 s36, 0, s12
	v_mov_b32_e32 v11, v2
	v_rcp_iflag_f32_e32 v3, v3
	v_mul_f32_e32 v3, 0x4f7ffffe, v3
	v_cvt_u32_f32_e32 v3, v3
	v_mul_lo_u32 v4, s36, v3
	v_mul_hi_u32 v4, v3, v4
	v_add_u32_e32 v3, v3, v4
	v_mul_hi_u32 v3, v6, v3
	v_mul_lo_u32 v4, v3, s12
	v_sub_u32_e32 v4, v6, v4
	v_add_u32_e32 v5, 1, v3
	v_subrev_u32_e32 v8, s12, v4
	v_cmp_le_u32_e32 vcc, s12, v4
	v_cndmask_b32_e32 v4, v4, v8, vcc
	v_cndmask_b32_e32 v3, v3, v5, vcc
	v_add_u32_e32 v5, 1, v3
	v_cmp_le_u32_e32 vcc, s12, v4
	v_cndmask_b32_e32 v10, v3, v5, vcc
.LBB87_11:                              ;   in Loop: Header=BB87_3 Depth=1
	s_or_b64 exec, exec, s[0:1]
	v_mul_lo_u32 v3, v7, s2
	v_mul_lo_u32 v8, v6, s3
	v_mad_u64_u32 v[4:5], s[0:1], v6, s2, 0
	v_add3_u32 v3, v5, v8, v3
	v_sub_co_u32_e32 v4, vcc, v0, v4
	v_subb_co_u32_e32 v5, vcc, v1, v3, vcc
	v_mul_lo_u32 v3, v11, s12
	v_mul_lo_u32 v12, v10, s13
	v_mad_u64_u32 v[8:9], s[0:1], v10, s12, 0
	v_add3_u32 v3, v9, v12, v3
	v_sub_co_u32_e32 v14, vcc, v6, v8
	v_subb_co_u32_e32 v15, vcc, v7, v3, vcc
	v_mul_lo_u32 v3, s19, v4
	v_mul_lo_u32 v8, s18, v5
	v_mad_u64_u32 v[6:7], s[0:1], s18, v4, 0
	v_add3_u32 v7, v7, v8, v3
	v_mul_lo_u32 v3, s23, v4
	v_mul_lo_u32 v8, s22, v5
	v_mad_u64_u32 v[12:13], s[0:1], s22, v4, 0
	v_add3_u32 v13, v13, v8, v3
	v_mad_u64_u32 v[8:9], s[0:1], s16, v14, v[6:7]
	v_mul_lo_u32 v3, s16, v15
	v_mul_lo_u32 v6, s17, v14
	v_add3_u32 v9, v6, v9, v3
	v_mad_u64_u32 v[6:7], s[0:1], s20, v14, v[12:13]
	v_mul_lo_u32 v3, s20, v15
	v_mul_lo_u32 v12, s21, v14
	v_add3_u32 v7, v12, v7, v3
	s_and_b64 vcc, exec, s[24:25]
	s_mov_b64 s[36:37], s[30:31]
	s_mov_b64 s[38:39], s[28:29]
	s_mov_b64 s[40:41], s[26:27]
	s_cbranch_vccnz .LBB87_22
.LBB87_12:                              ;   in Loop: Header=BB87_3 Depth=1
	v_sub_co_u32_e32 v10, vcc, v4, v14
	v_subb_co_u32_e32 v11, vcc, v5, v15, vcc
	v_add_co_u32_e32 v12, vcc, 2, v10
	v_addc_co_u32_e32 v13, vcc, 0, v11, vcc
	v_cmp_le_i64_e32 vcc, s[8:9], v[12:13]
	v_mov_b32_e32 v12, 0
	v_mov_b32_e32 v13, 0
	;; [unrolled: 1-line block ×4, first 2 shown]
	s_and_saveexec_b64 s[0:1], vcc
	s_cbranch_execz .LBB87_18
; %bb.13:                               ;   in Loop: Header=BB87_3 Depth=1
	v_cmp_gt_i64_e32 vcc, s[14:15], v[4:5]
	v_mov_b32_e32 v12, 0
	v_mov_b32_e32 v13, 0
	;; [unrolled: 1-line block ×4, first 2 shown]
	s_and_saveexec_b64 s[36:37], vcc
	s_cbranch_execz .LBB87_17
; %bb.14:                               ;   in Loop: Header=BB87_3 Depth=1
	v_lshlrev_b64 v[8:9], 3, v[8:9]
	v_mov_b32_e32 v3, s7
	v_add_co_u32_e32 v8, vcc, s6, v8
	v_addc_co_u32_e32 v9, vcc, v3, v9, vcc
	global_load_dwordx2 v[12:13], v[8:9], off
	v_add_co_u32_e32 v14, vcc, 1, v4
	v_addc_co_u32_e32 v15, vcc, 0, v5, vcc
	v_cmp_gt_i64_e32 vcc, s[14:15], v[14:15]
	v_mov_b32_e32 v15, 0
	v_mov_b32_e32 v14, 0
	s_and_saveexec_b64 s[38:39], vcc
	s_xor_b64 s[38:39], exec, s[38:39]
	s_cbranch_execz .LBB87_16
; %bb.15:                               ;   in Loop: Header=BB87_3 Depth=1
	s_lshl_b64 s[40:41], s[18:19], 3
	v_mov_b32_e32 v3, s41
	v_add_co_u32_e32 v8, vcc, s40, v8
	v_addc_co_u32_e32 v9, vcc, v9, v3, vcc
	global_load_dwordx2 v[14:15], v[8:9], off
.LBB87_16:                              ;   in Loop: Header=BB87_3 Depth=1
	s_or_b64 exec, exec, s[38:39]
.LBB87_17:                              ;   in Loop: Header=BB87_3 Depth=1
	s_or_b64 exec, exec, s[36:37]
	v_cmp_gt_i64_e32 vcc, s[8:9], v[10:11]
	s_waitcnt vmcnt(0)
	v_cndmask_b32_e64 v16, v12, 0, vcc
	v_cndmask_b32_e64 v17, v13, 0, vcc
	v_add_co_u32_e32 v8, vcc, 1, v10
	v_addc_co_u32_e32 v9, vcc, 0, v11, vcc
	v_cmp_gt_i64_e32 vcc, s[8:9], v[8:9]
	v_cndmask_b32_e64 v12, v14, 0, vcc
	v_cndmask_b32_e64 v13, v15, 0, vcc
.LBB87_18:                              ;   in Loop: Header=BB87_3 Depth=1
	s_or_b64 exec, exec, s[0:1]
	v_cmp_gt_i64_e32 vcc, s[14:15], v[4:5]
	s_and_saveexec_b64 s[0:1], vcc
	s_cbranch_execz .LBB87_2
; %bb.19:                               ;   in Loop: Header=BB87_3 Depth=1
	v_lshlrev_b64 v[6:7], 3, v[6:7]
	v_mov_b32_e32 v3, s5
	v_add_co_u32_e32 v6, vcc, s4, v6
	v_addc_co_u32_e32 v7, vcc, v3, v7, vcc
	v_add_co_u32_e32 v4, vcc, 1, v4
	v_addc_co_u32_e32 v5, vcc, 0, v5, vcc
	v_cmp_gt_i64_e32 vcc, s[14:15], v[4:5]
	global_store_dwordx2 v[6:7], v[16:17], off
	s_and_saveexec_b64 s[36:37], vcc
	s_xor_b64 s[36:37], exec, s[36:37]
	s_cbranch_execz .LBB87_2
; %bb.20:                               ;   in Loop: Header=BB87_3 Depth=1
	s_lshl_b64 s[36:37], s[22:23], 3
	v_mov_b32_e32 v3, s37
	v_add_co_u32_e32 v4, vcc, s36, v6
	v_addc_co_u32_e32 v5, vcc, v7, v3, vcc
	global_store_dwordx2 v[4:5], v[12:13], off
	s_branch .LBB87_2
.LBB87_21:                              ;   in Loop: Header=BB87_22 Depth=2
	s_or_b64 exec, exec, s[0:1]
	v_mad_u64_u32 v[16:17], s[0:1], v12, s42, 0
	v_mul_lo_u32 v3, v13, s42
	v_mul_lo_u32 v19, v12, s43
	s_load_dwordx2 s[0:1], s[38:39], 0xc8
	s_load_dwordx2 s[42:43], s[40:41], 0x0
	s_add_u32 s40, s40, -8
	s_addc_u32 s41, s41, -1
	s_add_u32 s38, s38, -8
	v_add3_u32 v3, v17, v19, v3
	v_sub_co_u32_e32 v10, vcc, v10, v16
	s_addc_u32 s39, s39, -1
	v_subb_co_u32_e32 v3, vcc, v11, v3, vcc
	s_add_u32 s36, s36, -1
	s_waitcnt lgkmcnt(0)
	v_mul_lo_u32 v11, s0, v3
	v_mul_lo_u32 v16, s1, v10
	v_mad_u64_u32 v[8:9], s[0:1], s0, v10, v[8:9]
	v_mad_u64_u32 v[6:7], s[0:1], s42, v10, v[6:7]
	s_addc_u32 s37, s37, -1
	v_add3_u32 v9, v16, v9, v11
	v_mul_lo_u32 v3, s42, v3
	v_mul_lo_u32 v11, s43, v10
	v_cmp_lt_i64_e64 s[0:1], s[36:37], 1
	v_add3_u32 v7, v11, v7, v3
	s_and_b64 vcc, exec, s[0:1]
	v_pk_mov_b32 v[10:11], v[12:13], v[12:13] op_sel:[0,1]
	s_cbranch_vccnz .LBB87_12
.LBB87_22:                              ;   Parent Loop BB87_3 Depth=1
                                        ; =>  This Inner Loop Header: Depth=2
	s_load_dwordx2 s[42:43], s[38:39], 0x0
                                        ; implicit-def: $vgpr12_vgpr13
	s_waitcnt lgkmcnt(0)
	v_or_b32_e32 v3, s43, v11
	v_cmp_ne_u64_e32 vcc, 0, v[2:3]
	s_and_saveexec_b64 s[0:1], vcc
	s_xor_b64 s[44:45], exec, s[0:1]
	s_cbranch_execz .LBB87_24
; %bb.23:                               ;   in Loop: Header=BB87_22 Depth=2
	s_ashr_i32 s46, s43, 31
	s_add_u32 s0, s42, s46
	s_mov_b32 s47, s46
	s_addc_u32 s1, s43, s46
	s_xor_b64 s[48:49], s[0:1], s[46:47]
	v_cvt_f32_u32_e32 v3, s48
	v_cvt_f32_u32_e32 v12, s49
	s_sub_u32 s0, 0, s48
	s_subb_u32 s1, 0, s49
	v_mac_f32_e32 v3, 0x4f800000, v12
	v_rcp_f32_e32 v3, v3
	v_mul_f32_e32 v3, 0x5f7ffffc, v3
	v_mul_f32_e32 v12, 0x2f800000, v3
	v_trunc_f32_e32 v12, v12
	v_mac_f32_e32 v3, 0xcf800000, v12
	v_cvt_u32_f32_e32 v12, v12
	v_cvt_u32_f32_e32 v3, v3
	v_mul_lo_u32 v13, s0, v12
	v_mul_hi_u32 v17, s0, v3
	v_mul_lo_u32 v16, s1, v3
	v_add_u32_e32 v13, v17, v13
	v_mul_lo_u32 v19, s0, v3
	v_add_u32_e32 v13, v13, v16
	v_mul_lo_u32 v17, v3, v13
	v_mul_hi_u32 v20, v3, v19
	v_mul_hi_u32 v16, v3, v13
	v_add_co_u32_e32 v17, vcc, v20, v17
	v_addc_co_u32_e32 v16, vcc, 0, v16, vcc
	v_mul_hi_u32 v21, v12, v19
	v_mul_lo_u32 v19, v12, v19
	v_add_co_u32_e32 v17, vcc, v17, v19
	v_mul_hi_u32 v20, v12, v13
	v_addc_co_u32_e32 v16, vcc, v16, v21, vcc
	v_addc_co_u32_e32 v17, vcc, 0, v20, vcc
	v_mul_lo_u32 v13, v12, v13
	v_add_co_u32_e32 v13, vcc, v16, v13
	v_addc_co_u32_e32 v16, vcc, 0, v17, vcc
	v_add_co_u32_e32 v3, vcc, v3, v13
	v_addc_co_u32_e32 v12, vcc, v12, v16, vcc
	v_mul_lo_u32 v13, s0, v12
	v_mul_hi_u32 v16, s0, v3
	v_add_u32_e32 v13, v16, v13
	v_mul_lo_u32 v16, s1, v3
	v_add_u32_e32 v13, v13, v16
	v_mul_lo_u32 v17, s0, v3
	v_mul_hi_u32 v19, v12, v17
	v_mul_lo_u32 v20, v12, v17
	v_mul_lo_u32 v22, v3, v13
	v_mul_hi_u32 v17, v3, v17
	v_mul_hi_u32 v21, v3, v13
	v_add_co_u32_e32 v17, vcc, v17, v22
	v_addc_co_u32_e32 v21, vcc, 0, v21, vcc
	v_add_co_u32_e32 v17, vcc, v17, v20
	v_mul_hi_u32 v16, v12, v13
	v_addc_co_u32_e32 v17, vcc, v21, v19, vcc
	v_addc_co_u32_e32 v16, vcc, 0, v16, vcc
	v_mul_lo_u32 v13, v12, v13
	v_add_co_u32_e32 v13, vcc, v17, v13
	v_addc_co_u32_e32 v16, vcc, 0, v16, vcc
	v_add_co_u32_e32 v3, vcc, v3, v13
	v_addc_co_u32_e32 v16, vcc, v12, v16, vcc
	v_ashrrev_i32_e32 v19, 31, v11
	v_add_co_u32_e32 v12, vcc, v10, v19
	v_addc_co_u32_e32 v13, vcc, v11, v19, vcc
	v_xor_b32_e32 v21, v12, v19
	v_xor_b32_e32 v20, v13, v19
	v_mad_u64_u32 v[12:13], s[0:1], v21, v16, 0
	v_mul_hi_u32 v17, v21, v3
	v_add_co_u32_e32 v22, vcc, v17, v12
	v_addc_co_u32_e32 v23, vcc, 0, v13, vcc
	v_mad_u64_u32 v[12:13], s[0:1], v20, v16, 0
	v_mad_u64_u32 v[16:17], s[0:1], v20, v3, 0
	v_add_co_u32_e32 v3, vcc, v22, v16
	v_addc_co_u32_e32 v3, vcc, v23, v17, vcc
	v_addc_co_u32_e32 v13, vcc, 0, v13, vcc
	v_add_co_u32_e32 v3, vcc, v3, v12
	v_addc_co_u32_e32 v16, vcc, 0, v13, vcc
	v_mul_lo_u32 v17, s49, v3
	v_mul_lo_u32 v22, s48, v16
	v_mad_u64_u32 v[12:13], s[0:1], s48, v3, 0
	v_add3_u32 v13, v13, v22, v17
	v_sub_u32_e32 v17, v20, v13
	v_mov_b32_e32 v22, s49
	v_sub_co_u32_e32 v12, vcc, v21, v12
	v_subb_co_u32_e64 v17, s[0:1], v17, v22, vcc
	v_subrev_co_u32_e64 v21, s[0:1], s48, v12
	v_subbrev_co_u32_e64 v17, s[0:1], 0, v17, s[0:1]
	v_cmp_le_u32_e64 s[0:1], s49, v17
	v_cndmask_b32_e64 v22, 0, -1, s[0:1]
	v_cmp_le_u32_e64 s[0:1], s48, v21
	v_cndmask_b32_e64 v21, 0, -1, s[0:1]
	v_cmp_eq_u32_e64 s[0:1], s49, v17
	v_cndmask_b32_e64 v17, v22, v21, s[0:1]
	v_add_co_u32_e64 v21, s[0:1], 2, v3
	v_subb_co_u32_e32 v13, vcc, v20, v13, vcc
	v_addc_co_u32_e64 v22, s[0:1], 0, v16, s[0:1]
	v_cmp_le_u32_e32 vcc, s49, v13
	v_add_co_u32_e64 v23, s[0:1], 1, v3
	v_cndmask_b32_e64 v20, 0, -1, vcc
	v_cmp_le_u32_e32 vcc, s48, v12
	v_addc_co_u32_e64 v24, s[0:1], 0, v16, s[0:1]
	v_cndmask_b32_e64 v12, 0, -1, vcc
	v_cmp_eq_u32_e32 vcc, s49, v13
	v_cmp_ne_u32_e64 s[0:1], 0, v17
	v_cndmask_b32_e32 v12, v20, v12, vcc
	v_cmp_ne_u32_e32 vcc, 0, v12
	v_cndmask_b32_e64 v13, v23, v21, s[0:1]
	v_cndmask_b32_e64 v17, v24, v22, s[0:1]
	v_cndmask_b32_e32 v3, v3, v13, vcc
	v_xor_b32_e32 v13, s46, v19
	v_cndmask_b32_e32 v12, v16, v17, vcc
	v_xor_b32_e32 v3, v3, v13
	v_xor_b32_e32 v16, v12, v13
	v_sub_co_u32_e32 v12, vcc, v3, v13
	v_subb_co_u32_e32 v13, vcc, v16, v13, vcc
.LBB87_24:                              ;   in Loop: Header=BB87_22 Depth=2
	s_andn2_saveexec_b64 s[0:1], s[44:45]
	s_cbranch_execz .LBB87_21
; %bb.25:                               ;   in Loop: Header=BB87_22 Depth=2
	v_cvt_f32_u32_e32 v3, s42
	s_sub_i32 s44, 0, s42
	v_rcp_iflag_f32_e32 v3, v3
	v_mul_f32_e32 v3, 0x4f7ffffe, v3
	v_cvt_u32_f32_e32 v3, v3
	v_mul_lo_u32 v12, s44, v3
	v_mul_hi_u32 v12, v3, v12
	v_add_u32_e32 v3, v3, v12
	v_mul_hi_u32 v3, v10, v3
	v_mul_lo_u32 v12, v3, s42
	v_sub_u32_e32 v12, v10, v12
	v_add_u32_e32 v13, 1, v3
	v_subrev_u32_e32 v16, s42, v12
	v_cmp_le_u32_e32 vcc, s42, v12
	v_cndmask_b32_e32 v12, v12, v16, vcc
	v_cndmask_b32_e32 v3, v3, v13, vcc
	v_add_u32_e32 v13, 1, v3
	v_cmp_le_u32_e32 vcc, s42, v12
	v_cndmask_b32_e32 v12, v3, v13, vcc
	v_mov_b32_e32 v13, v2
	s_branch .LBB87_21
.LBB87_26:
	s_endpgm
	.section	.rodata,"a",@progbits
	.p2align	6, 0x0
	.amdhsa_kernel _ZN2at6native16triu_tril_kernelIN3c107complexIfEElLb1ELi2ELb0EEEvNS_4cuda6detail10TensorInfoIT_T0_EENS7_IKS8_S9_EEllS9_
		.amdhsa_group_segment_fixed_size 0
		.amdhsa_private_segment_fixed_size 0
		.amdhsa_kernarg_size 1112
		.amdhsa_user_sgpr_count 6
		.amdhsa_user_sgpr_private_segment_buffer 1
		.amdhsa_user_sgpr_dispatch_ptr 0
		.amdhsa_user_sgpr_queue_ptr 0
		.amdhsa_user_sgpr_kernarg_segment_ptr 1
		.amdhsa_user_sgpr_dispatch_id 0
		.amdhsa_user_sgpr_flat_scratch_init 0
		.amdhsa_user_sgpr_kernarg_preload_length 0
		.amdhsa_user_sgpr_kernarg_preload_offset 0
		.amdhsa_user_sgpr_private_segment_size 0
		.amdhsa_uses_dynamic_stack 0
		.amdhsa_system_sgpr_private_segment_wavefront_offset 0
		.amdhsa_system_sgpr_workgroup_id_x 1
		.amdhsa_system_sgpr_workgroup_id_y 0
		.amdhsa_system_sgpr_workgroup_id_z 0
		.amdhsa_system_sgpr_workgroup_info 0
		.amdhsa_system_vgpr_workitem_id 0
		.amdhsa_next_free_vgpr 25
		.amdhsa_next_free_sgpr 51
		.amdhsa_accum_offset 28
		.amdhsa_reserve_vcc 1
		.amdhsa_reserve_flat_scratch 0
		.amdhsa_float_round_mode_32 0
		.amdhsa_float_round_mode_16_64 0
		.amdhsa_float_denorm_mode_32 3
		.amdhsa_float_denorm_mode_16_64 3
		.amdhsa_dx10_clamp 1
		.amdhsa_ieee_mode 1
		.amdhsa_fp16_overflow 0
		.amdhsa_tg_split 0
		.amdhsa_exception_fp_ieee_invalid_op 0
		.amdhsa_exception_fp_denorm_src 0
		.amdhsa_exception_fp_ieee_div_zero 0
		.amdhsa_exception_fp_ieee_overflow 0
		.amdhsa_exception_fp_ieee_underflow 0
		.amdhsa_exception_fp_ieee_inexact 0
		.amdhsa_exception_int_div_zero 0
	.end_amdhsa_kernel
	.section	.text._ZN2at6native16triu_tril_kernelIN3c107complexIfEElLb1ELi2ELb0EEEvNS_4cuda6detail10TensorInfoIT_T0_EENS7_IKS8_S9_EEllS9_,"axG",@progbits,_ZN2at6native16triu_tril_kernelIN3c107complexIfEElLb1ELi2ELb0EEEvNS_4cuda6detail10TensorInfoIT_T0_EENS7_IKS8_S9_EEllS9_,comdat
.Lfunc_end87:
	.size	_ZN2at6native16triu_tril_kernelIN3c107complexIfEElLb1ELi2ELb0EEEvNS_4cuda6detail10TensorInfoIT_T0_EENS7_IKS8_S9_EEllS9_, .Lfunc_end87-_ZN2at6native16triu_tril_kernelIN3c107complexIfEElLb1ELi2ELb0EEEvNS_4cuda6detail10TensorInfoIT_T0_EENS7_IKS8_S9_EEllS9_
                                        ; -- End function
	.section	.AMDGPU.csdata,"",@progbits
; Kernel info:
; codeLenInByte = 3456
; NumSgprs: 55
; NumVgprs: 25
; NumAgprs: 0
; TotalNumVgprs: 25
; ScratchSize: 0
; MemoryBound: 0
; FloatMode: 240
; IeeeMode: 1
; LDSByteSize: 0 bytes/workgroup (compile time only)
; SGPRBlocks: 6
; VGPRBlocks: 3
; NumSGPRsForWavesPerEU: 55
; NumVGPRsForWavesPerEU: 25
; AccumOffset: 28
; Occupancy: 8
; WaveLimiterHint : 0
; COMPUTE_PGM_RSRC2:SCRATCH_EN: 0
; COMPUTE_PGM_RSRC2:USER_SGPR: 6
; COMPUTE_PGM_RSRC2:TRAP_HANDLER: 0
; COMPUTE_PGM_RSRC2:TGID_X_EN: 1
; COMPUTE_PGM_RSRC2:TGID_Y_EN: 0
; COMPUTE_PGM_RSRC2:TGID_Z_EN: 0
; COMPUTE_PGM_RSRC2:TIDIG_COMP_CNT: 0
; COMPUTE_PGM_RSRC3_GFX90A:ACCUM_OFFSET: 6
; COMPUTE_PGM_RSRC3_GFX90A:TG_SPLIT: 0
	.section	.text._ZN2at6native16triu_tril_kernelIN3c107complexINS2_4HalfEEEiLb1ELi2ELb1EEEvNS_4cuda6detail10TensorInfoIT_T0_EENS8_IKS9_SA_EEllSA_,"axG",@progbits,_ZN2at6native16triu_tril_kernelIN3c107complexINS2_4HalfEEEiLb1ELi2ELb1EEEvNS_4cuda6detail10TensorInfoIT_T0_EENS8_IKS9_SA_EEllSA_,comdat
	.protected	_ZN2at6native16triu_tril_kernelIN3c107complexINS2_4HalfEEEiLb1ELi2ELb1EEEvNS_4cuda6detail10TensorInfoIT_T0_EENS8_IKS9_SA_EEllSA_ ; -- Begin function _ZN2at6native16triu_tril_kernelIN3c107complexINS2_4HalfEEEiLb1ELi2ELb1EEEvNS_4cuda6detail10TensorInfoIT_T0_EENS8_IKS9_SA_EEllSA_
	.globl	_ZN2at6native16triu_tril_kernelIN3c107complexINS2_4HalfEEEiLb1ELi2ELb1EEEvNS_4cuda6detail10TensorInfoIT_T0_EENS8_IKS9_SA_EEllSA_
	.p2align	8
	.type	_ZN2at6native16triu_tril_kernelIN3c107complexINS2_4HalfEEEiLb1ELi2ELb1EEEvNS_4cuda6detail10TensorInfoIT_T0_EENS8_IKS9_SA_EEllSA_,@function
_ZN2at6native16triu_tril_kernelIN3c107complexINS2_4HalfEEEiLb1ELi2ELb1EEEvNS_4cuda6detail10TensorInfoIT_T0_EENS8_IKS9_SA_EEllSA_: ; @_ZN2at6native16triu_tril_kernelIN3c107complexINS2_4HalfEEEiLb1ELi2ELb1EEEvNS_4cuda6detail10TensorInfoIT_T0_EENS8_IKS9_SA_EEllSA_
; %bb.0:
	s_load_dword s2, s[4:5], 0x1d4
	s_load_dwordx4 s[8:11], s[4:5], 0x1b0
	s_add_u32 s0, s4, 0x1c8
	v_mov_b32_e32 v2, 0
	s_addc_u32 s1, s5, 0
	s_waitcnt lgkmcnt(0)
	s_and_b32 s7, s2, 0xffff
	v_mov_b32_e32 v1, v2
	v_mov_b32_e32 v3, s6
	v_mad_u64_u32 v[0:1], s[2:3], s7, v3, v[0:1]
	v_lshlrev_b64 v[0:1], 1, v[0:1]
	v_cmp_gt_i64_e32 vcc, s[10:11], v[0:1]
	s_and_saveexec_b64 s[2:3], vcc
	s_cbranch_execz .LBB88_61
; %bb.1:
	s_load_dword s33, s[4:5], 0x1c0
	s_load_dword s16, s[4:5], 0x1a8
	;; [unrolled: 1-line block ×3, first 2 shown]
	s_load_dwordx2 s[2:3], s[4:5], 0x0
	s_mov_b64 s[22:23], 0
	s_waitcnt lgkmcnt(0)
	s_ashr_i32 s38, s33, 31
	s_ashr_i32 s17, s16, 31
	s_add_u32 s39, s4, 0xe0
	s_addc_u32 s40, s5, 0
	s_lshl_b64 s[0:1], s[16:17], 2
	s_add_u32 s14, s0, -8
	s_addc_u32 s15, s1, -1
	s_add_u32 s12, s39, s14
	s_addc_u32 s13, s40, s15
	s_load_dword s41, s[12:13], 0x0
	v_cvt_f32_u32_e32 v3, s33
	s_mul_i32 s18, s6, s7
	v_cmp_gt_i64_e64 s[6:7], s[16:17], 2
	s_mov_b32 s17, 0
	s_waitcnt lgkmcnt(0)
	s_ashr_i32 s42, s41, 31
	s_add_u32 s0, s0, -4
	s_addc_u32 s1, s1, -1
	s_add_u32 s43, s4, 0x6c
	s_addc_u32 s44, s5, 0
	s_add_u32 s4, s43, s0
	s_addc_u32 s5, s44, s1
	v_rcp_iflag_f32_e32 v3, v3
	s_add_u32 s12, s43, s14
	s_addc_u32 s13, s44, s15
	s_add_i32 s45, s16, -3
	s_add_u32 s14, s39, s0
	s_addc_u32 s15, s40, s1
	s_add_i32 s0, s16, 6
	v_mul_f32_e32 v3, 0x4f7ffffe, v3
	s_lshl_b32 s46, s18, 1
	s_and_b32 s48, s0, 7
	v_cvt_u32_f32_e32 v24, v3
	s_cmp_lg_u32 s48, 0
	s_cselect_b64 s[18:19], -1, 0
	s_cmp_gt_u32 s45, 6
	s_mov_b32 s47, s17
	s_cselect_b64 s[20:21], -1, 0
	s_branch .LBB88_3
.LBB88_2:                               ;   in Loop: Header=BB88_3 Depth=1
	s_or_b64 exec, exec, s[24:25]
	v_mov_b32_e32 v3, s47
	v_add_co_u32_e32 v0, vcc, s46, v0
	v_addc_co_u32_e32 v1, vcc, v1, v3, vcc
	v_cmp_le_i64_e32 vcc, s[10:11], v[0:1]
	s_or_b64 s[22:23], vcc, s[22:23]
	s_andn2_b64 exec, exec, s[22:23]
	s_cbranch_execz .LBB88_61
.LBB88_3:                               ; =>This Loop Header: Depth=1
                                        ;     Child Loop BB88_16 Depth 2
                                        ;     Child Loop BB88_23 Depth 2
	v_or_b32_e32 v3, s38, v1
	v_cmp_ne_u64_e32 vcc, 0, v[2:3]
                                        ; implicit-def: $vgpr4_vgpr5
	s_and_saveexec_b64 s[0:1], vcc
	s_xor_b64 s[24:25], exec, s[0:1]
	s_cbranch_execz .LBB88_5
; %bb.4:                                ;   in Loop: Header=BB88_3 Depth=1
	s_add_u32 s0, s33, s38
	s_mov_b32 s26, s38
	s_mov_b32 s27, s38
	s_addc_u32 s1, s38, s38
	s_xor_b64 s[28:29], s[0:1], s[26:27]
	v_cvt_f32_u32_e32 v3, s28
	v_cvt_f32_u32_e32 v4, s29
	s_sub_u32 s0, 0, s28
	s_subb_u32 s1, 0, s29
	v_mac_f32_e32 v3, 0x4f800000, v4
	v_rcp_f32_e32 v3, v3
	v_mul_f32_e32 v3, 0x5f7ffffc, v3
	v_mul_f32_e32 v4, 0x2f800000, v3
	v_trunc_f32_e32 v4, v4
	v_mac_f32_e32 v3, 0xcf800000, v4
	v_cvt_u32_f32_e32 v4, v4
	v_cvt_u32_f32_e32 v3, v3
	v_mul_lo_u32 v5, s0, v4
	v_mul_hi_u32 v7, s0, v3
	v_mul_lo_u32 v6, s1, v3
	v_add_u32_e32 v5, v7, v5
	v_mul_lo_u32 v8, s0, v3
	v_add_u32_e32 v5, v5, v6
	v_mul_lo_u32 v7, v3, v5
	v_mul_hi_u32 v9, v3, v8
	v_mul_hi_u32 v6, v3, v5
	v_add_co_u32_e32 v7, vcc, v9, v7
	v_addc_co_u32_e32 v6, vcc, 0, v6, vcc
	v_mul_hi_u32 v10, v4, v8
	v_mul_lo_u32 v8, v4, v8
	v_add_co_u32_e32 v7, vcc, v7, v8
	v_mul_hi_u32 v9, v4, v5
	v_addc_co_u32_e32 v6, vcc, v6, v10, vcc
	v_addc_co_u32_e32 v7, vcc, 0, v9, vcc
	v_mul_lo_u32 v5, v4, v5
	v_add_co_u32_e32 v5, vcc, v6, v5
	v_addc_co_u32_e32 v6, vcc, 0, v7, vcc
	v_add_co_u32_e32 v3, vcc, v3, v5
	v_addc_co_u32_e32 v4, vcc, v4, v6, vcc
	v_mul_lo_u32 v5, s0, v4
	v_mul_hi_u32 v6, s0, v3
	v_add_u32_e32 v5, v6, v5
	v_mul_lo_u32 v6, s1, v3
	v_add_u32_e32 v5, v5, v6
	v_mul_lo_u32 v7, s0, v3
	v_mul_hi_u32 v8, v4, v7
	v_mul_lo_u32 v9, v4, v7
	v_mul_lo_u32 v11, v3, v5
	v_mul_hi_u32 v7, v3, v7
	v_mul_hi_u32 v10, v3, v5
	v_add_co_u32_e32 v7, vcc, v7, v11
	v_addc_co_u32_e32 v10, vcc, 0, v10, vcc
	v_add_co_u32_e32 v7, vcc, v7, v9
	v_mul_hi_u32 v6, v4, v5
	v_addc_co_u32_e32 v7, vcc, v10, v8, vcc
	v_addc_co_u32_e32 v6, vcc, 0, v6, vcc
	v_mul_lo_u32 v5, v4, v5
	v_add_co_u32_e32 v5, vcc, v7, v5
	v_addc_co_u32_e32 v6, vcc, 0, v6, vcc
	v_add_co_u32_e32 v3, vcc, v3, v5
	v_addc_co_u32_e32 v6, vcc, v4, v6, vcc
	v_ashrrev_i32_e32 v8, 31, v1
	v_add_co_u32_e32 v4, vcc, v0, v8
	v_addc_co_u32_e32 v5, vcc, v1, v8, vcc
	v_xor_b32_e32 v10, v4, v8
	v_xor_b32_e32 v9, v5, v8
	v_mad_u64_u32 v[4:5], s[0:1], v10, v6, 0
	v_mul_hi_u32 v7, v10, v3
	v_add_co_u32_e32 v11, vcc, v7, v4
	v_addc_co_u32_e32 v12, vcc, 0, v5, vcc
	v_mad_u64_u32 v[4:5], s[0:1], v9, v6, 0
	v_mad_u64_u32 v[6:7], s[0:1], v9, v3, 0
	v_add_co_u32_e32 v3, vcc, v11, v6
	v_addc_co_u32_e32 v3, vcc, v12, v7, vcc
	v_addc_co_u32_e32 v5, vcc, 0, v5, vcc
	v_add_co_u32_e32 v3, vcc, v3, v4
	v_addc_co_u32_e32 v6, vcc, 0, v5, vcc
	v_mul_lo_u32 v7, s29, v3
	v_mul_lo_u32 v11, s28, v6
	v_mad_u64_u32 v[4:5], s[0:1], s28, v3, 0
	v_add3_u32 v5, v5, v11, v7
	v_sub_u32_e32 v7, v9, v5
	v_mov_b32_e32 v11, s29
	v_sub_co_u32_e32 v4, vcc, v10, v4
	v_subb_co_u32_e64 v7, s[0:1], v7, v11, vcc
	v_subrev_co_u32_e64 v10, s[0:1], s28, v4
	v_subbrev_co_u32_e64 v7, s[0:1], 0, v7, s[0:1]
	v_cmp_le_u32_e64 s[0:1], s29, v7
	v_cndmask_b32_e64 v11, 0, -1, s[0:1]
	v_cmp_le_u32_e64 s[0:1], s28, v10
	v_cndmask_b32_e64 v10, 0, -1, s[0:1]
	v_cmp_eq_u32_e64 s[0:1], s29, v7
	v_cndmask_b32_e64 v7, v11, v10, s[0:1]
	v_add_co_u32_e64 v10, s[0:1], 2, v3
	v_subb_co_u32_e32 v5, vcc, v9, v5, vcc
	v_addc_co_u32_e64 v11, s[0:1], 0, v6, s[0:1]
	v_cmp_le_u32_e32 vcc, s29, v5
	v_add_co_u32_e64 v12, s[0:1], 1, v3
	v_cndmask_b32_e64 v9, 0, -1, vcc
	v_cmp_le_u32_e32 vcc, s28, v4
	v_addc_co_u32_e64 v13, s[0:1], 0, v6, s[0:1]
	v_cndmask_b32_e64 v4, 0, -1, vcc
	v_cmp_eq_u32_e32 vcc, s29, v5
	v_cmp_ne_u32_e64 s[0:1], 0, v7
	v_cndmask_b32_e32 v4, v9, v4, vcc
	v_cndmask_b32_e64 v7, v13, v11, s[0:1]
	v_cmp_ne_u32_e32 vcc, 0, v4
	v_cndmask_b32_e64 v5, v12, v10, s[0:1]
	v_cndmask_b32_e32 v4, v6, v7, vcc
	v_cndmask_b32_e32 v3, v3, v5, vcc
	v_xor_b32_e32 v6, s26, v8
	v_xor_b32_e32 v5, s27, v8
	;; [unrolled: 1-line block ×4, first 2 shown]
	v_sub_co_u32_e32 v4, vcc, v3, v6
	v_subb_co_u32_e32 v5, vcc, v7, v5, vcc
.LBB88_5:                               ;   in Loop: Header=BB88_3 Depth=1
	s_andn2_saveexec_b64 s[0:1], s[24:25]
	s_cbranch_execz .LBB88_7
; %bb.6:                                ;   in Loop: Header=BB88_3 Depth=1
	s_sub_i32 s16, 0, s33
	v_mul_lo_u32 v3, s16, v24
	v_mul_hi_u32 v3, v24, v3
	v_add_u32_e32 v3, v24, v3
	v_mul_hi_u32 v3, v0, v3
	v_mul_lo_u32 v4, v3, s33
	v_sub_u32_e32 v4, v0, v4
	v_subrev_u32_e32 v5, s33, v4
	v_cmp_le_u32_e32 vcc, s33, v4
	v_cndmask_b32_e32 v4, v4, v5, vcc
	v_add_u32_e32 v5, 1, v3
	v_cndmask_b32_e32 v3, v3, v5, vcc
	v_add_u32_e32 v5, 1, v3
	v_cmp_le_u32_e32 vcc, s33, v4
	v_cndmask_b32_e32 v4, v3, v5, vcc
	v_mov_b32_e32 v5, v2
.LBB88_7:                               ;   in Loop: Header=BB88_3 Depth=1
	s_or_b64 exec, exec, s[0:1]
	v_or_b32_e32 v3, s42, v5
	v_cmp_ne_u64_e32 vcc, 0, v[2:3]
                                        ; implicit-def: $vgpr6_vgpr7
	s_and_saveexec_b64 s[0:1], vcc
	s_xor_b64 s[24:25], exec, s[0:1]
	s_cbranch_execz .LBB88_9
; %bb.8:                                ;   in Loop: Header=BB88_3 Depth=1
	s_add_u32 s0, s41, s42
	s_mov_b32 s26, s42
	s_mov_b32 s27, s42
	s_addc_u32 s1, s42, s42
	s_xor_b64 s[28:29], s[0:1], s[26:27]
	v_cvt_f32_u32_e32 v3, s28
	v_cvt_f32_u32_e32 v6, s29
	s_sub_u32 s0, 0, s28
	s_subb_u32 s1, 0, s29
	v_mac_f32_e32 v3, 0x4f800000, v6
	v_rcp_f32_e32 v3, v3
	v_mul_f32_e32 v3, 0x5f7ffffc, v3
	v_mul_f32_e32 v6, 0x2f800000, v3
	v_trunc_f32_e32 v6, v6
	v_mac_f32_e32 v3, 0xcf800000, v6
	v_cvt_u32_f32_e32 v6, v6
	v_cvt_u32_f32_e32 v3, v3
	v_mul_lo_u32 v7, s0, v6
	v_mul_hi_u32 v9, s0, v3
	v_mul_lo_u32 v8, s1, v3
	v_add_u32_e32 v7, v9, v7
	v_mul_lo_u32 v10, s0, v3
	v_add_u32_e32 v7, v7, v8
	v_mul_lo_u32 v9, v3, v7
	v_mul_hi_u32 v11, v3, v10
	v_mul_hi_u32 v8, v3, v7
	v_add_co_u32_e32 v9, vcc, v11, v9
	v_addc_co_u32_e32 v8, vcc, 0, v8, vcc
	v_mul_hi_u32 v12, v6, v10
	v_mul_lo_u32 v10, v6, v10
	v_add_co_u32_e32 v9, vcc, v9, v10
	v_mul_hi_u32 v11, v6, v7
	v_addc_co_u32_e32 v8, vcc, v8, v12, vcc
	v_addc_co_u32_e32 v9, vcc, 0, v11, vcc
	v_mul_lo_u32 v7, v6, v7
	v_add_co_u32_e32 v7, vcc, v8, v7
	v_addc_co_u32_e32 v8, vcc, 0, v9, vcc
	v_add_co_u32_e32 v3, vcc, v3, v7
	v_addc_co_u32_e32 v6, vcc, v6, v8, vcc
	v_mul_lo_u32 v7, s0, v6
	v_mul_hi_u32 v8, s0, v3
	v_add_u32_e32 v7, v8, v7
	v_mul_lo_u32 v8, s1, v3
	v_add_u32_e32 v7, v7, v8
	v_mul_lo_u32 v9, s0, v3
	v_mul_hi_u32 v10, v6, v9
	v_mul_lo_u32 v11, v6, v9
	v_mul_lo_u32 v13, v3, v7
	v_mul_hi_u32 v9, v3, v9
	v_mul_hi_u32 v12, v3, v7
	v_add_co_u32_e32 v9, vcc, v9, v13
	v_addc_co_u32_e32 v12, vcc, 0, v12, vcc
	v_add_co_u32_e32 v9, vcc, v9, v11
	v_mul_hi_u32 v8, v6, v7
	v_addc_co_u32_e32 v9, vcc, v12, v10, vcc
	v_addc_co_u32_e32 v8, vcc, 0, v8, vcc
	v_mul_lo_u32 v7, v6, v7
	v_add_co_u32_e32 v7, vcc, v9, v7
	v_addc_co_u32_e32 v8, vcc, 0, v8, vcc
	v_add_co_u32_e32 v3, vcc, v3, v7
	v_addc_co_u32_e32 v8, vcc, v6, v8, vcc
	v_ashrrev_i32_e32 v10, 31, v5
	v_add_co_u32_e32 v6, vcc, v4, v10
	v_xor_b32_e32 v11, v6, v10
	v_addc_co_u32_e32 v5, vcc, v5, v10, vcc
	v_mad_u64_u32 v[6:7], s[0:1], v11, v8, 0
	v_mul_hi_u32 v9, v11, v3
	v_xor_b32_e32 v5, v5, v10
	v_add_co_u32_e32 v12, vcc, v9, v6
	v_addc_co_u32_e32 v13, vcc, 0, v7, vcc
	v_mad_u64_u32 v[6:7], s[0:1], v5, v8, 0
	v_mad_u64_u32 v[8:9], s[0:1], v5, v3, 0
	v_add_co_u32_e32 v3, vcc, v12, v8
	v_addc_co_u32_e32 v3, vcc, v13, v9, vcc
	v_addc_co_u32_e32 v7, vcc, 0, v7, vcc
	v_add_co_u32_e32 v3, vcc, v3, v6
	v_addc_co_u32_e32 v8, vcc, 0, v7, vcc
	v_mul_lo_u32 v9, s29, v3
	v_mul_lo_u32 v12, s28, v8
	v_mad_u64_u32 v[6:7], s[0:1], s28, v3, 0
	v_add3_u32 v7, v7, v12, v9
	v_sub_u32_e32 v9, v5, v7
	v_mov_b32_e32 v12, s29
	v_sub_co_u32_e32 v6, vcc, v11, v6
	v_subb_co_u32_e64 v9, s[0:1], v9, v12, vcc
	v_subrev_co_u32_e64 v11, s[0:1], s28, v6
	v_subbrev_co_u32_e64 v9, s[0:1], 0, v9, s[0:1]
	v_cmp_le_u32_e64 s[0:1], s29, v9
	v_cndmask_b32_e64 v12, 0, -1, s[0:1]
	v_cmp_le_u32_e64 s[0:1], s28, v11
	v_cndmask_b32_e64 v11, 0, -1, s[0:1]
	v_cmp_eq_u32_e64 s[0:1], s29, v9
	v_cndmask_b32_e64 v9, v12, v11, s[0:1]
	v_add_co_u32_e64 v11, s[0:1], 2, v3
	v_subb_co_u32_e32 v5, vcc, v5, v7, vcc
	v_addc_co_u32_e64 v12, s[0:1], 0, v8, s[0:1]
	v_cmp_le_u32_e32 vcc, s29, v5
	v_add_co_u32_e64 v13, s[0:1], 1, v3
	v_cndmask_b32_e64 v7, 0, -1, vcc
	v_cmp_le_u32_e32 vcc, s28, v6
	v_addc_co_u32_e64 v14, s[0:1], 0, v8, s[0:1]
	v_cndmask_b32_e64 v6, 0, -1, vcc
	v_cmp_eq_u32_e32 vcc, s29, v5
	v_cmp_ne_u32_e64 s[0:1], 0, v9
	v_cndmask_b32_e32 v5, v7, v6, vcc
	v_cmp_ne_u32_e32 vcc, 0, v5
	v_cndmask_b32_e64 v6, v13, v11, s[0:1]
	v_cndmask_b32_e64 v9, v14, v12, s[0:1]
	v_cndmask_b32_e32 v3, v3, v6, vcc
	v_xor_b32_e32 v6, s26, v10
	v_cndmask_b32_e32 v5, v8, v9, vcc
	v_xor_b32_e32 v7, s27, v10
	v_xor_b32_e32 v3, v3, v6
	;; [unrolled: 1-line block ×3, first 2 shown]
	v_sub_co_u32_e32 v6, vcc, v3, v6
	v_subb_co_u32_e32 v7, vcc, v5, v7, vcc
.LBB88_9:                               ;   in Loop: Header=BB88_3 Depth=1
	s_andn2_saveexec_b64 s[0:1], s[24:25]
	s_cbranch_execz .LBB88_11
; %bb.10:                               ;   in Loop: Header=BB88_3 Depth=1
	v_cvt_f32_u32_e32 v3, s41
	s_sub_i32 s16, 0, s41
	v_rcp_iflag_f32_e32 v3, v3
	v_mul_f32_e32 v3, 0x4f7ffffe, v3
	v_cvt_u32_f32_e32 v3, v3
	v_mul_lo_u32 v5, s16, v3
	v_mul_hi_u32 v5, v3, v5
	v_add_u32_e32 v3, v3, v5
	v_mul_hi_u32 v3, v4, v3
	v_mul_lo_u32 v5, v3, s41
	v_sub_u32_e32 v5, v4, v5
	v_add_u32_e32 v6, 1, v3
	v_subrev_u32_e32 v7, s41, v5
	v_cmp_le_u32_e32 vcc, s41, v5
	v_cndmask_b32_e32 v5, v5, v7, vcc
	v_cndmask_b32_e32 v3, v3, v6, vcc
	v_add_u32_e32 v6, 1, v3
	v_cmp_le_u32_e32 vcc, s41, v5
	v_cndmask_b32_e32 v6, v3, v6, vcc
	v_mov_b32_e32 v7, v2
.LBB88_11:                              ;   in Loop: Header=BB88_3 Depth=1
	s_or_b64 exec, exec, s[0:1]
	v_mad_u64_u32 v[8:9], s[0:1], v4, s33, 0
	v_sub_co_u32_e32 v26, vcc, v0, v8
	v_mad_u64_u32 v[8:9], s[0:1], v6, s41, 0
	v_sub_co_u32_e32 v25, vcc, v4, v8
	v_sub_u32_e32 v4, v26, v25
	v_ashrrev_i32_e32 v5, 31, v4
	v_cmp_gt_i64_e32 vcc, s[8:9], v[4:5]
	s_and_saveexec_b64 s[24:25], vcc
	s_cbranch_execz .LBB88_2
; %bb.12:                               ;   in Loop: Header=BB88_3 Depth=1
	s_load_dword s49, s[4:5], 0x0
	s_load_dword s0, s[12:13], 0x0
	s_andn2_b64 vcc, exec, s[6:7]
	s_waitcnt lgkmcnt(0)
	v_mul_lo_u32 v4, s49, v26
	v_mad_u64_u32 v[4:5], s[0:1], s0, v25, v[4:5]
	s_cbranch_vccnz .LBB88_57
; %bb.13:                               ;   in Loop: Header=BB88_3 Depth=1
	s_andn2_b64 vcc, exec, s[18:19]
	s_cbranch_vccnz .LBB88_20
; %bb.14:                               ;   in Loop: Header=BB88_3 Depth=1
	s_mov_b32 s36, s48
	s_mov_b32 s16, s45
	s_branch .LBB88_16
.LBB88_15:                              ;   in Loop: Header=BB88_16 Depth=2
	s_or_b64 exec, exec, s[0:1]
	s_add_u32 s0, s43, s26
	s_addc_u32 s1, s44, s27
	s_load_dword s0, s[0:1], 0x0
	v_mul_lo_u32 v3, v6, s37
	v_sub_u32_e32 v3, v8, v3
	s_add_i32 s16, s16, -1
	s_add_i32 s36, s36, -1
	s_cmp_lg_u32 s36, 0
	s_waitcnt lgkmcnt(0)
	v_mad_u64_u32 v[4:5], s[0:1], s0, v3, v[4:5]
	s_cbranch_scc0 .LBB88_21
.LBB88_16:                              ;   Parent Loop BB88_3 Depth=1
                                        ; =>  This Inner Loop Header: Depth=2
	s_lshl_b64 s[26:27], s[16:17], 2
	s_add_u32 s0, s39, s26
	s_addc_u32 s1, s40, s27
	s_load_dword s37, s[0:1], 0x0
	v_pk_mov_b32 v[8:9], v[6:7], v[6:7] op_sel:[0,1]
                                        ; implicit-def: $vgpr6_vgpr7
	s_waitcnt lgkmcnt(0)
	s_ashr_i32 s0, s37, 31
	v_or_b32_e32 v3, s0, v9
	v_cmp_ne_u64_e32 vcc, 0, v[2:3]
	s_and_saveexec_b64 s[28:29], vcc
	s_xor_b64 s[28:29], exec, s[28:29]
	s_cbranch_execz .LBB88_18
; %bb.17:                               ;   in Loop: Header=BB88_16 Depth=2
	s_add_u32 s34, s37, s0
	s_mov_b32 s30, s0
	s_mov_b32 s31, s0
	s_addc_u32 s35, s0, s0
	s_xor_b64 s[34:35], s[34:35], s[30:31]
	v_cvt_f32_u32_e32 v3, s34
	v_cvt_f32_u32_e32 v5, s35
	s_sub_u32 s0, 0, s34
	s_subb_u32 s1, 0, s35
	v_mac_f32_e32 v3, 0x4f800000, v5
	v_rcp_f32_e32 v3, v3
	v_mul_f32_e32 v3, 0x5f7ffffc, v3
	v_mul_f32_e32 v5, 0x2f800000, v3
	v_trunc_f32_e32 v5, v5
	v_mac_f32_e32 v3, 0xcf800000, v5
	v_cvt_u32_f32_e32 v5, v5
	v_cvt_u32_f32_e32 v3, v3
	v_mul_lo_u32 v6, s0, v5
	v_mul_hi_u32 v10, s0, v3
	v_mul_lo_u32 v7, s1, v3
	v_add_u32_e32 v6, v10, v6
	v_mul_lo_u32 v11, s0, v3
	v_add_u32_e32 v6, v6, v7
	v_mul_lo_u32 v10, v3, v6
	v_mul_hi_u32 v12, v3, v11
	v_mul_hi_u32 v7, v3, v6
	v_add_co_u32_e32 v10, vcc, v12, v10
	v_addc_co_u32_e32 v7, vcc, 0, v7, vcc
	v_mul_hi_u32 v13, v5, v11
	v_mul_lo_u32 v11, v5, v11
	v_add_co_u32_e32 v10, vcc, v10, v11
	v_mul_hi_u32 v12, v5, v6
	v_addc_co_u32_e32 v7, vcc, v7, v13, vcc
	v_addc_co_u32_e32 v10, vcc, 0, v12, vcc
	v_mul_lo_u32 v6, v5, v6
	v_add_co_u32_e32 v6, vcc, v7, v6
	v_addc_co_u32_e32 v7, vcc, 0, v10, vcc
	v_add_co_u32_e32 v3, vcc, v3, v6
	v_addc_co_u32_e32 v5, vcc, v5, v7, vcc
	v_mul_lo_u32 v6, s0, v5
	v_mul_hi_u32 v7, s0, v3
	v_add_u32_e32 v6, v7, v6
	v_mul_lo_u32 v7, s1, v3
	v_add_u32_e32 v6, v6, v7
	v_mul_lo_u32 v10, s0, v3
	v_mul_hi_u32 v11, v5, v10
	v_mul_lo_u32 v12, v5, v10
	v_mul_lo_u32 v14, v3, v6
	v_mul_hi_u32 v10, v3, v10
	v_mul_hi_u32 v13, v3, v6
	v_add_co_u32_e32 v10, vcc, v10, v14
	v_addc_co_u32_e32 v13, vcc, 0, v13, vcc
	v_add_co_u32_e32 v10, vcc, v10, v12
	v_mul_hi_u32 v7, v5, v6
	v_addc_co_u32_e32 v10, vcc, v13, v11, vcc
	v_addc_co_u32_e32 v7, vcc, 0, v7, vcc
	v_mul_lo_u32 v6, v5, v6
	v_add_co_u32_e32 v6, vcc, v10, v6
	v_addc_co_u32_e32 v7, vcc, 0, v7, vcc
	v_add_co_u32_e32 v3, vcc, v3, v6
	v_addc_co_u32_e32 v5, vcc, v5, v7, vcc
	v_ashrrev_i32_e32 v12, 31, v9
	v_add_co_u32_e32 v6, vcc, v8, v12
	v_addc_co_u32_e32 v7, vcc, v9, v12, vcc
	v_xor_b32_e32 v13, v6, v12
	v_xor_b32_e32 v9, v7, v12
	v_mad_u64_u32 v[6:7], s[0:1], v13, v5, 0
	v_mul_hi_u32 v10, v13, v3
	v_add_co_u32_e32 v14, vcc, v10, v6
	v_addc_co_u32_e32 v15, vcc, 0, v7, vcc
	v_mad_u64_u32 v[10:11], s[0:1], v9, v3, 0
	v_add_co_u32_e32 v3, vcc, v14, v10
	v_mad_u64_u32 v[6:7], s[0:1], v9, v5, 0
	v_addc_co_u32_e32 v3, vcc, v15, v11, vcc
	v_addc_co_u32_e32 v5, vcc, 0, v7, vcc
	v_add_co_u32_e32 v3, vcc, v3, v6
	v_addc_co_u32_e32 v5, vcc, 0, v5, vcc
	v_mul_lo_u32 v10, s35, v3
	v_mul_lo_u32 v11, s34, v5
	v_mad_u64_u32 v[6:7], s[0:1], s34, v3, 0
	v_add3_u32 v7, v7, v11, v10
	v_sub_u32_e32 v10, v9, v7
	v_mov_b32_e32 v11, s35
	v_sub_co_u32_e32 v6, vcc, v13, v6
	v_subb_co_u32_e64 v10, s[0:1], v10, v11, vcc
	v_subrev_co_u32_e64 v11, s[0:1], s34, v6
	v_subbrev_co_u32_e64 v10, s[0:1], 0, v10, s[0:1]
	v_cmp_le_u32_e64 s[0:1], s35, v10
	v_cndmask_b32_e64 v13, 0, -1, s[0:1]
	v_cmp_le_u32_e64 s[0:1], s34, v11
	v_cndmask_b32_e64 v11, 0, -1, s[0:1]
	v_cmp_eq_u32_e64 s[0:1], s35, v10
	v_cndmask_b32_e64 v10, v13, v11, s[0:1]
	v_add_co_u32_e64 v11, s[0:1], 2, v3
	v_subb_co_u32_e32 v7, vcc, v9, v7, vcc
	v_addc_co_u32_e64 v13, s[0:1], 0, v5, s[0:1]
	v_cmp_le_u32_e32 vcc, s35, v7
	v_add_co_u32_e64 v14, s[0:1], 1, v3
	v_cndmask_b32_e64 v9, 0, -1, vcc
	v_cmp_le_u32_e32 vcc, s34, v6
	v_addc_co_u32_e64 v15, s[0:1], 0, v5, s[0:1]
	v_cndmask_b32_e64 v6, 0, -1, vcc
	v_cmp_eq_u32_e32 vcc, s35, v7
	v_cmp_ne_u32_e64 s[0:1], 0, v10
	v_cndmask_b32_e32 v6, v9, v6, vcc
	v_cmp_ne_u32_e32 vcc, 0, v6
	v_cndmask_b32_e64 v6, v14, v11, s[0:1]
	v_cndmask_b32_e64 v10, v15, v13, s[0:1]
	v_cndmask_b32_e32 v3, v3, v6, vcc
	v_xor_b32_e32 v6, s30, v12
	v_cndmask_b32_e32 v5, v5, v10, vcc
	v_xor_b32_e32 v7, s31, v12
	v_xor_b32_e32 v3, v3, v6
	;; [unrolled: 1-line block ×3, first 2 shown]
	v_sub_co_u32_e32 v6, vcc, v3, v6
	v_subb_co_u32_e32 v7, vcc, v5, v7, vcc
.LBB88_18:                              ;   in Loop: Header=BB88_16 Depth=2
	s_andn2_saveexec_b64 s[0:1], s[28:29]
	s_cbranch_execz .LBB88_15
; %bb.19:                               ;   in Loop: Header=BB88_16 Depth=2
	v_cvt_f32_u32_e32 v3, s37
	s_sub_i32 s28, 0, s37
	v_rcp_iflag_f32_e32 v3, v3
	v_mul_f32_e32 v3, 0x4f7ffffe, v3
	v_cvt_u32_f32_e32 v3, v3
	v_mul_lo_u32 v5, s28, v3
	v_mul_hi_u32 v5, v3, v5
	v_add_u32_e32 v3, v3, v5
	v_mul_hi_u32 v3, v8, v3
	v_mul_lo_u32 v5, v3, s37
	v_sub_u32_e32 v5, v8, v5
	v_add_u32_e32 v6, 1, v3
	v_subrev_u32_e32 v7, s37, v5
	v_cmp_le_u32_e32 vcc, s37, v5
	v_cndmask_b32_e32 v5, v5, v7, vcc
	v_cndmask_b32_e32 v3, v3, v6, vcc
	v_add_u32_e32 v6, 1, v3
	v_cmp_le_u32_e32 vcc, s37, v5
	v_cndmask_b32_e32 v6, v3, v6, vcc
	v_mov_b32_e32 v7, v2
	s_branch .LBB88_15
.LBB88_20:                              ;   in Loop: Header=BB88_3 Depth=1
	s_mov_b32 s16, s45
.LBB88_21:                              ;   in Loop: Header=BB88_3 Depth=1
	s_andn2_b64 vcc, exec, s[20:21]
	s_cbranch_vccnz .LBB88_57
; %bb.22:                               ;   in Loop: Header=BB88_3 Depth=1
	s_add_i32 s26, s16, -7
.LBB88_23:                              ;   Parent Loop BB88_3 Depth=1
                                        ; =>  This Inner Loop Header: Depth=2
	s_add_i32 s16, s26, 7
	s_lshl_b64 s[28:29], s[16:17], 2
	s_add_u32 s0, s39, s28
	s_addc_u32 s1, s40, s29
	s_load_dword s50, s[0:1], 0x0
                                        ; implicit-def: $vgpr8_vgpr9
	s_waitcnt lgkmcnt(0)
	s_ashr_i32 s0, s50, 31
	v_or_b32_e32 v3, s0, v7
	v_cmp_ne_u64_e32 vcc, 0, v[2:3]
	s_and_saveexec_b64 s[30:31], vcc
	s_xor_b64 s[30:31], exec, s[30:31]
	s_cbranch_execz .LBB88_25
; %bb.24:                               ;   in Loop: Header=BB88_23 Depth=2
	s_add_u32 s36, s50, s0
	s_mov_b32 s34, s0
	s_mov_b32 s35, s0
	s_addc_u32 s37, s0, s0
	s_xor_b64 s[36:37], s[36:37], s[34:35]
	v_cvt_f32_u32_e32 v3, s36
	v_cvt_f32_u32_e32 v5, s37
	s_sub_u32 s0, 0, s36
	s_subb_u32 s1, 0, s37
	v_mac_f32_e32 v3, 0x4f800000, v5
	v_rcp_f32_e32 v3, v3
	v_mul_f32_e32 v3, 0x5f7ffffc, v3
	v_mul_f32_e32 v5, 0x2f800000, v3
	v_trunc_f32_e32 v5, v5
	v_mac_f32_e32 v3, 0xcf800000, v5
	v_cvt_u32_f32_e32 v5, v5
	v_cvt_u32_f32_e32 v3, v3
	v_mul_lo_u32 v8, s0, v5
	v_mul_hi_u32 v10, s0, v3
	v_mul_lo_u32 v9, s1, v3
	v_add_u32_e32 v8, v10, v8
	v_mul_lo_u32 v11, s0, v3
	v_add_u32_e32 v8, v8, v9
	v_mul_lo_u32 v10, v3, v8
	v_mul_hi_u32 v12, v3, v11
	v_mul_hi_u32 v9, v3, v8
	v_add_co_u32_e32 v10, vcc, v12, v10
	v_addc_co_u32_e32 v9, vcc, 0, v9, vcc
	v_mul_hi_u32 v13, v5, v11
	v_mul_lo_u32 v11, v5, v11
	v_add_co_u32_e32 v10, vcc, v10, v11
	v_mul_hi_u32 v12, v5, v8
	v_addc_co_u32_e32 v9, vcc, v9, v13, vcc
	v_addc_co_u32_e32 v10, vcc, 0, v12, vcc
	v_mul_lo_u32 v8, v5, v8
	v_add_co_u32_e32 v8, vcc, v9, v8
	v_addc_co_u32_e32 v9, vcc, 0, v10, vcc
	v_add_co_u32_e32 v3, vcc, v3, v8
	v_addc_co_u32_e32 v5, vcc, v5, v9, vcc
	v_mul_lo_u32 v8, s0, v5
	v_mul_hi_u32 v9, s0, v3
	v_add_u32_e32 v8, v9, v8
	v_mul_lo_u32 v9, s1, v3
	v_add_u32_e32 v8, v8, v9
	v_mul_lo_u32 v10, s0, v3
	v_mul_hi_u32 v11, v5, v10
	v_mul_lo_u32 v12, v5, v10
	v_mul_lo_u32 v14, v3, v8
	v_mul_hi_u32 v10, v3, v10
	v_mul_hi_u32 v13, v3, v8
	v_add_co_u32_e32 v10, vcc, v10, v14
	v_addc_co_u32_e32 v13, vcc, 0, v13, vcc
	v_add_co_u32_e32 v10, vcc, v10, v12
	v_mul_hi_u32 v9, v5, v8
	v_addc_co_u32_e32 v10, vcc, v13, v11, vcc
	v_addc_co_u32_e32 v9, vcc, 0, v9, vcc
	v_mul_lo_u32 v8, v5, v8
	v_add_co_u32_e32 v8, vcc, v10, v8
	v_addc_co_u32_e32 v9, vcc, 0, v9, vcc
	v_add_co_u32_e32 v3, vcc, v3, v8
	v_addc_co_u32_e32 v5, vcc, v5, v9, vcc
	v_ashrrev_i32_e32 v12, 31, v7
	v_add_co_u32_e32 v8, vcc, v6, v12
	v_xor_b32_e32 v13, v8, v12
	v_addc_co_u32_e32 v7, vcc, v7, v12, vcc
	v_mad_u64_u32 v[8:9], s[0:1], v13, v5, 0
	v_mul_hi_u32 v10, v13, v3
	v_xor_b32_e32 v7, v7, v12
	v_add_co_u32_e32 v14, vcc, v10, v8
	v_addc_co_u32_e32 v15, vcc, 0, v9, vcc
	v_mad_u64_u32 v[10:11], s[0:1], v7, v3, 0
	v_add_co_u32_e32 v3, vcc, v14, v10
	v_mad_u64_u32 v[8:9], s[0:1], v7, v5, 0
	v_addc_co_u32_e32 v3, vcc, v15, v11, vcc
	v_addc_co_u32_e32 v5, vcc, 0, v9, vcc
	v_add_co_u32_e32 v3, vcc, v3, v8
	v_addc_co_u32_e32 v5, vcc, 0, v5, vcc
	v_mul_lo_u32 v10, s37, v3
	v_mul_lo_u32 v11, s36, v5
	v_mad_u64_u32 v[8:9], s[0:1], s36, v3, 0
	v_add3_u32 v9, v9, v11, v10
	v_sub_u32_e32 v10, v7, v9
	v_mov_b32_e32 v11, s37
	v_sub_co_u32_e32 v8, vcc, v13, v8
	v_subb_co_u32_e64 v10, s[0:1], v10, v11, vcc
	v_subrev_co_u32_e64 v11, s[0:1], s36, v8
	v_subbrev_co_u32_e64 v10, s[0:1], 0, v10, s[0:1]
	v_cmp_le_u32_e64 s[0:1], s37, v10
	v_cndmask_b32_e64 v13, 0, -1, s[0:1]
	v_cmp_le_u32_e64 s[0:1], s36, v11
	v_cndmask_b32_e64 v11, 0, -1, s[0:1]
	v_cmp_eq_u32_e64 s[0:1], s37, v10
	v_cndmask_b32_e64 v10, v13, v11, s[0:1]
	v_add_co_u32_e64 v11, s[0:1], 2, v3
	v_subb_co_u32_e32 v7, vcc, v7, v9, vcc
	v_addc_co_u32_e64 v13, s[0:1], 0, v5, s[0:1]
	v_cmp_le_u32_e32 vcc, s37, v7
	v_add_co_u32_e64 v14, s[0:1], 1, v3
	v_cndmask_b32_e64 v9, 0, -1, vcc
	v_cmp_le_u32_e32 vcc, s36, v8
	v_addc_co_u32_e64 v15, s[0:1], 0, v5, s[0:1]
	v_cndmask_b32_e64 v8, 0, -1, vcc
	v_cmp_eq_u32_e32 vcc, s37, v7
	v_cmp_ne_u32_e64 s[0:1], 0, v10
	v_cndmask_b32_e32 v7, v9, v8, vcc
	v_cmp_ne_u32_e32 vcc, 0, v7
	v_cndmask_b32_e64 v7, v14, v11, s[0:1]
	v_cndmask_b32_e64 v10, v15, v13, s[0:1]
	v_cndmask_b32_e32 v3, v3, v7, vcc
	v_xor_b32_e32 v8, s34, v12
	v_cndmask_b32_e32 v5, v5, v10, vcc
	v_xor_b32_e32 v7, s35, v12
	v_xor_b32_e32 v3, v3, v8
	;; [unrolled: 1-line block ×3, first 2 shown]
	v_sub_co_u32_e32 v8, vcc, v3, v8
	v_subb_co_u32_e32 v9, vcc, v5, v7, vcc
.LBB88_25:                              ;   in Loop: Header=BB88_23 Depth=2
	s_andn2_saveexec_b64 s[0:1], s[30:31]
	s_cbranch_execz .LBB88_27
; %bb.26:                               ;   in Loop: Header=BB88_23 Depth=2
	v_cvt_f32_u32_e32 v3, s50
	s_sub_i32 s16, 0, s50
	v_mov_b32_e32 v9, v2
	v_rcp_iflag_f32_e32 v3, v3
	v_mul_f32_e32 v3, 0x4f7ffffe, v3
	v_cvt_u32_f32_e32 v3, v3
	v_mul_lo_u32 v5, s16, v3
	v_mul_hi_u32 v5, v3, v5
	v_add_u32_e32 v3, v3, v5
	v_mul_hi_u32 v3, v6, v3
	v_mul_lo_u32 v5, v3, s50
	v_sub_u32_e32 v5, v6, v5
	v_add_u32_e32 v7, 1, v3
	v_subrev_u32_e32 v8, s50, v5
	v_cmp_le_u32_e32 vcc, s50, v5
	v_cndmask_b32_e32 v5, v5, v8, vcc
	v_cndmask_b32_e32 v3, v3, v7, vcc
	v_add_u32_e32 v7, 1, v3
	v_cmp_le_u32_e32 vcc, s50, v5
	v_cndmask_b32_e32 v8, v3, v7, vcc
.LBB88_27:                              ;   in Loop: Header=BB88_23 Depth=2
	s_or_b64 exec, exec, s[0:1]
	s_add_u32 s0, s43, s28
	s_addc_u32 s1, s44, s29
	s_add_i32 s16, s26, 6
	s_lshl_b64 s[28:29], s[16:17], 2
	s_add_u32 s30, s39, s28
	s_addc_u32 s31, s40, s29
	s_load_dword s51, s[30:31], 0x0
	s_load_dword s52, s[0:1], 0x0
                                        ; implicit-def: $vgpr10_vgpr11
	s_waitcnt lgkmcnt(0)
	s_ashr_i32 s0, s51, 31
	v_or_b32_e32 v3, s0, v9
	v_cmp_ne_u64_e32 vcc, 0, v[2:3]
	s_and_saveexec_b64 s[30:31], vcc
	s_xor_b64 s[30:31], exec, s[30:31]
	s_cbranch_execz .LBB88_29
; %bb.28:                               ;   in Loop: Header=BB88_23 Depth=2
	s_add_u32 s36, s51, s0
	s_mov_b32 s34, s0
	s_mov_b32 s35, s0
	s_addc_u32 s37, s0, s0
	s_xor_b64 s[36:37], s[36:37], s[34:35]
	v_cvt_f32_u32_e32 v3, s36
	v_cvt_f32_u32_e32 v5, s37
	s_sub_u32 s0, 0, s36
	s_subb_u32 s1, 0, s37
	v_mac_f32_e32 v3, 0x4f800000, v5
	v_rcp_f32_e32 v3, v3
	v_mul_f32_e32 v3, 0x5f7ffffc, v3
	v_mul_f32_e32 v5, 0x2f800000, v3
	v_trunc_f32_e32 v5, v5
	v_mac_f32_e32 v3, 0xcf800000, v5
	v_cvt_u32_f32_e32 v5, v5
	v_cvt_u32_f32_e32 v3, v3
	v_mul_lo_u32 v7, s0, v5
	v_mul_hi_u32 v11, s0, v3
	v_mul_lo_u32 v10, s1, v3
	v_add_u32_e32 v7, v11, v7
	v_mul_lo_u32 v12, s0, v3
	v_add_u32_e32 v7, v7, v10
	v_mul_lo_u32 v11, v3, v7
	v_mul_hi_u32 v13, v3, v12
	v_mul_hi_u32 v10, v3, v7
	v_add_co_u32_e32 v11, vcc, v13, v11
	v_addc_co_u32_e32 v10, vcc, 0, v10, vcc
	v_mul_hi_u32 v14, v5, v12
	v_mul_lo_u32 v12, v5, v12
	v_add_co_u32_e32 v11, vcc, v11, v12
	v_mul_hi_u32 v13, v5, v7
	v_addc_co_u32_e32 v10, vcc, v10, v14, vcc
	v_addc_co_u32_e32 v11, vcc, 0, v13, vcc
	v_mul_lo_u32 v7, v5, v7
	v_add_co_u32_e32 v7, vcc, v10, v7
	v_addc_co_u32_e32 v10, vcc, 0, v11, vcc
	v_add_co_u32_e32 v3, vcc, v3, v7
	v_addc_co_u32_e32 v5, vcc, v5, v10, vcc
	v_mul_lo_u32 v7, s0, v5
	v_mul_hi_u32 v10, s0, v3
	v_add_u32_e32 v7, v10, v7
	v_mul_lo_u32 v10, s1, v3
	v_add_u32_e32 v7, v7, v10
	v_mul_lo_u32 v11, s0, v3
	v_mul_hi_u32 v12, v5, v11
	v_mul_lo_u32 v13, v5, v11
	v_mul_lo_u32 v15, v3, v7
	v_mul_hi_u32 v11, v3, v11
	v_mul_hi_u32 v14, v3, v7
	v_add_co_u32_e32 v11, vcc, v11, v15
	v_addc_co_u32_e32 v14, vcc, 0, v14, vcc
	v_add_co_u32_e32 v11, vcc, v11, v13
	v_mul_hi_u32 v10, v5, v7
	v_addc_co_u32_e32 v11, vcc, v14, v12, vcc
	v_addc_co_u32_e32 v10, vcc, 0, v10, vcc
	v_mul_lo_u32 v7, v5, v7
	v_add_co_u32_e32 v7, vcc, v11, v7
	v_addc_co_u32_e32 v10, vcc, 0, v10, vcc
	v_add_co_u32_e32 v3, vcc, v3, v7
	v_addc_co_u32_e32 v5, vcc, v5, v10, vcc
	v_ashrrev_i32_e32 v7, 31, v9
	v_add_co_u32_e32 v10, vcc, v8, v7
	v_xor_b32_e32 v14, v10, v7
	v_addc_co_u32_e32 v9, vcc, v9, v7, vcc
	v_mad_u64_u32 v[10:11], s[0:1], v14, v5, 0
	v_mul_hi_u32 v12, v14, v3
	v_xor_b32_e32 v9, v9, v7
	v_add_co_u32_e32 v15, vcc, v12, v10
	v_addc_co_u32_e32 v16, vcc, 0, v11, vcc
	v_mad_u64_u32 v[12:13], s[0:1], v9, v3, 0
	v_add_co_u32_e32 v3, vcc, v15, v12
	v_mad_u64_u32 v[10:11], s[0:1], v9, v5, 0
	v_addc_co_u32_e32 v3, vcc, v16, v13, vcc
	v_addc_co_u32_e32 v5, vcc, 0, v11, vcc
	v_add_co_u32_e32 v3, vcc, v3, v10
	v_addc_co_u32_e32 v5, vcc, 0, v5, vcc
	v_mul_lo_u32 v12, s37, v3
	v_mul_lo_u32 v13, s36, v5
	v_mad_u64_u32 v[10:11], s[0:1], s36, v3, 0
	v_add3_u32 v11, v11, v13, v12
	v_sub_u32_e32 v12, v9, v11
	v_mov_b32_e32 v13, s37
	v_sub_co_u32_e32 v10, vcc, v14, v10
	v_subb_co_u32_e64 v12, s[0:1], v12, v13, vcc
	v_subrev_co_u32_e64 v13, s[0:1], s36, v10
	v_subbrev_co_u32_e64 v12, s[0:1], 0, v12, s[0:1]
	v_cmp_le_u32_e64 s[0:1], s37, v12
	v_cndmask_b32_e64 v14, 0, -1, s[0:1]
	v_cmp_le_u32_e64 s[0:1], s36, v13
	v_cndmask_b32_e64 v13, 0, -1, s[0:1]
	v_cmp_eq_u32_e64 s[0:1], s37, v12
	v_cndmask_b32_e64 v12, v14, v13, s[0:1]
	v_add_co_u32_e64 v13, s[0:1], 2, v3
	v_subb_co_u32_e32 v9, vcc, v9, v11, vcc
	v_addc_co_u32_e64 v14, s[0:1], 0, v5, s[0:1]
	v_cmp_le_u32_e32 vcc, s37, v9
	v_add_co_u32_e64 v15, s[0:1], 1, v3
	v_cndmask_b32_e64 v11, 0, -1, vcc
	v_cmp_le_u32_e32 vcc, s36, v10
	v_addc_co_u32_e64 v16, s[0:1], 0, v5, s[0:1]
	v_cndmask_b32_e64 v10, 0, -1, vcc
	v_cmp_eq_u32_e32 vcc, s37, v9
	v_cmp_ne_u32_e64 s[0:1], 0, v12
	v_cndmask_b32_e32 v9, v11, v10, vcc
	v_cmp_ne_u32_e32 vcc, 0, v9
	v_cndmask_b32_e64 v9, v15, v13, s[0:1]
	v_cndmask_b32_e64 v12, v16, v14, s[0:1]
	v_cndmask_b32_e32 v3, v3, v9, vcc
	v_xor_b32_e32 v9, s35, v7
	v_xor_b32_e32 v7, s34, v7
	v_cndmask_b32_e32 v5, v5, v12, vcc
	v_xor_b32_e32 v3, v3, v7
	v_xor_b32_e32 v5, v5, v9
	v_sub_co_u32_e32 v10, vcc, v3, v7
	v_subb_co_u32_e32 v11, vcc, v5, v9, vcc
.LBB88_29:                              ;   in Loop: Header=BB88_23 Depth=2
	s_andn2_saveexec_b64 s[0:1], s[30:31]
	s_cbranch_execz .LBB88_31
; %bb.30:                               ;   in Loop: Header=BB88_23 Depth=2
	v_cvt_f32_u32_e32 v3, s51
	s_sub_i32 s16, 0, s51
	v_mov_b32_e32 v11, v2
	v_rcp_iflag_f32_e32 v3, v3
	v_mul_f32_e32 v3, 0x4f7ffffe, v3
	v_cvt_u32_f32_e32 v3, v3
	v_mul_lo_u32 v5, s16, v3
	v_mul_hi_u32 v5, v3, v5
	v_add_u32_e32 v3, v3, v5
	v_mul_hi_u32 v3, v8, v3
	v_mul_lo_u32 v5, v3, s51
	v_sub_u32_e32 v5, v8, v5
	v_add_u32_e32 v7, 1, v3
	v_subrev_u32_e32 v9, s51, v5
	v_cmp_le_u32_e32 vcc, s51, v5
	v_cndmask_b32_e32 v5, v5, v9, vcc
	v_cndmask_b32_e32 v3, v3, v7, vcc
	v_add_u32_e32 v7, 1, v3
	v_cmp_le_u32_e32 vcc, s51, v5
	v_cndmask_b32_e32 v10, v3, v7, vcc
.LBB88_31:                              ;   in Loop: Header=BB88_23 Depth=2
	s_or_b64 exec, exec, s[0:1]
	s_add_u32 s0, s43, s28
	s_addc_u32 s1, s44, s29
	s_add_i32 s16, s26, 5
	s_lshl_b64 s[28:29], s[16:17], 2
	s_add_u32 s30, s39, s28
	s_addc_u32 s31, s40, s29
	s_load_dword s53, s[30:31], 0x0
	s_load_dword s54, s[0:1], 0x0
                                        ; implicit-def: $vgpr12_vgpr13
	s_waitcnt lgkmcnt(0)
	s_ashr_i32 s0, s53, 31
	v_or_b32_e32 v3, s0, v11
	v_cmp_ne_u64_e32 vcc, 0, v[2:3]
	s_and_saveexec_b64 s[30:31], vcc
	s_xor_b64 s[30:31], exec, s[30:31]
	s_cbranch_execz .LBB88_33
; %bb.32:                               ;   in Loop: Header=BB88_23 Depth=2
	s_add_u32 s36, s53, s0
	s_mov_b32 s34, s0
	s_mov_b32 s35, s0
	s_addc_u32 s37, s0, s0
	s_xor_b64 s[36:37], s[36:37], s[34:35]
	v_cvt_f32_u32_e32 v3, s36
	v_cvt_f32_u32_e32 v5, s37
	s_sub_u32 s0, 0, s36
	s_subb_u32 s1, 0, s37
	v_mac_f32_e32 v3, 0x4f800000, v5
	v_rcp_f32_e32 v3, v3
	v_mul_f32_e32 v3, 0x5f7ffffc, v3
	v_mul_f32_e32 v5, 0x2f800000, v3
	v_trunc_f32_e32 v5, v5
	v_mac_f32_e32 v3, 0xcf800000, v5
	v_cvt_u32_f32_e32 v5, v5
	v_cvt_u32_f32_e32 v3, v3
	v_mul_lo_u32 v7, s0, v5
	v_mul_hi_u32 v12, s0, v3
	v_mul_lo_u32 v9, s1, v3
	v_add_u32_e32 v7, v12, v7
	v_mul_lo_u32 v13, s0, v3
	v_add_u32_e32 v7, v7, v9
	v_mul_lo_u32 v12, v3, v7
	v_mul_hi_u32 v14, v3, v13
	v_mul_hi_u32 v9, v3, v7
	v_add_co_u32_e32 v12, vcc, v14, v12
	v_addc_co_u32_e32 v9, vcc, 0, v9, vcc
	v_mul_hi_u32 v15, v5, v13
	v_mul_lo_u32 v13, v5, v13
	v_add_co_u32_e32 v12, vcc, v12, v13
	v_mul_hi_u32 v14, v5, v7
	v_addc_co_u32_e32 v9, vcc, v9, v15, vcc
	v_addc_co_u32_e32 v12, vcc, 0, v14, vcc
	v_mul_lo_u32 v7, v5, v7
	v_add_co_u32_e32 v7, vcc, v9, v7
	v_addc_co_u32_e32 v9, vcc, 0, v12, vcc
	v_add_co_u32_e32 v3, vcc, v3, v7
	v_addc_co_u32_e32 v5, vcc, v5, v9, vcc
	v_mul_lo_u32 v7, s0, v5
	v_mul_hi_u32 v9, s0, v3
	v_add_u32_e32 v7, v9, v7
	v_mul_lo_u32 v9, s1, v3
	v_add_u32_e32 v7, v7, v9
	v_mul_lo_u32 v12, s0, v3
	v_mul_hi_u32 v13, v5, v12
	v_mul_lo_u32 v14, v5, v12
	v_mul_lo_u32 v16, v3, v7
	v_mul_hi_u32 v12, v3, v12
	v_mul_hi_u32 v15, v3, v7
	v_add_co_u32_e32 v12, vcc, v12, v16
	v_addc_co_u32_e32 v15, vcc, 0, v15, vcc
	v_add_co_u32_e32 v12, vcc, v12, v14
	v_mul_hi_u32 v9, v5, v7
	v_addc_co_u32_e32 v12, vcc, v15, v13, vcc
	v_addc_co_u32_e32 v9, vcc, 0, v9, vcc
	v_mul_lo_u32 v7, v5, v7
	v_add_co_u32_e32 v7, vcc, v12, v7
	v_addc_co_u32_e32 v9, vcc, 0, v9, vcc
	v_add_co_u32_e32 v3, vcc, v3, v7
	v_addc_co_u32_e32 v5, vcc, v5, v9, vcc
	v_ashrrev_i32_e32 v7, 31, v11
	v_add_co_u32_e32 v9, vcc, v10, v7
	v_xor_b32_e32 v9, v9, v7
	v_addc_co_u32_e32 v11, vcc, v11, v7, vcc
	v_mad_u64_u32 v[12:13], s[0:1], v9, v5, 0
	v_mul_hi_u32 v14, v9, v3
	v_xor_b32_e32 v11, v11, v7
	v_add_co_u32_e32 v16, vcc, v14, v12
	v_addc_co_u32_e32 v17, vcc, 0, v13, vcc
	v_mad_u64_u32 v[14:15], s[0:1], v11, v3, 0
	v_add_co_u32_e32 v3, vcc, v16, v14
	v_mad_u64_u32 v[12:13], s[0:1], v11, v5, 0
	v_addc_co_u32_e32 v3, vcc, v17, v15, vcc
	v_addc_co_u32_e32 v5, vcc, 0, v13, vcc
	v_add_co_u32_e32 v3, vcc, v3, v12
	v_addc_co_u32_e32 v5, vcc, 0, v5, vcc
	v_mul_lo_u32 v14, s37, v3
	v_mul_lo_u32 v15, s36, v5
	v_mad_u64_u32 v[12:13], s[0:1], s36, v3, 0
	v_add3_u32 v13, v13, v15, v14
	v_sub_u32_e32 v14, v11, v13
	v_mov_b32_e32 v15, s37
	v_sub_co_u32_e32 v9, vcc, v9, v12
	v_subb_co_u32_e64 v12, s[0:1], v14, v15, vcc
	v_subrev_co_u32_e64 v14, s[0:1], s36, v9
	v_subbrev_co_u32_e64 v12, s[0:1], 0, v12, s[0:1]
	v_cmp_le_u32_e64 s[0:1], s37, v12
	v_cndmask_b32_e64 v15, 0, -1, s[0:1]
	v_cmp_le_u32_e64 s[0:1], s36, v14
	v_cndmask_b32_e64 v14, 0, -1, s[0:1]
	v_cmp_eq_u32_e64 s[0:1], s37, v12
	v_cndmask_b32_e64 v12, v15, v14, s[0:1]
	v_add_co_u32_e64 v14, s[0:1], 2, v3
	v_subb_co_u32_e32 v11, vcc, v11, v13, vcc
	v_addc_co_u32_e64 v15, s[0:1], 0, v5, s[0:1]
	v_cmp_le_u32_e32 vcc, s37, v11
	v_add_co_u32_e64 v16, s[0:1], 1, v3
	v_cndmask_b32_e64 v13, 0, -1, vcc
	v_cmp_le_u32_e32 vcc, s36, v9
	v_addc_co_u32_e64 v17, s[0:1], 0, v5, s[0:1]
	v_cndmask_b32_e64 v9, 0, -1, vcc
	v_cmp_eq_u32_e32 vcc, s37, v11
	v_cmp_ne_u32_e64 s[0:1], 0, v12
	v_cndmask_b32_e32 v9, v13, v9, vcc
	v_cmp_ne_u32_e32 vcc, 0, v9
	v_cndmask_b32_e64 v9, v16, v14, s[0:1]
	v_cndmask_b32_e64 v12, v17, v15, s[0:1]
	v_cndmask_b32_e32 v3, v3, v9, vcc
	v_xor_b32_e32 v9, s35, v7
	v_xor_b32_e32 v7, s34, v7
	v_cndmask_b32_e32 v5, v5, v12, vcc
	v_xor_b32_e32 v3, v3, v7
	v_xor_b32_e32 v5, v5, v9
	v_sub_co_u32_e32 v12, vcc, v3, v7
	v_subb_co_u32_e32 v13, vcc, v5, v9, vcc
.LBB88_33:                              ;   in Loop: Header=BB88_23 Depth=2
	s_andn2_saveexec_b64 s[0:1], s[30:31]
	s_cbranch_execz .LBB88_35
; %bb.34:                               ;   in Loop: Header=BB88_23 Depth=2
	v_cvt_f32_u32_e32 v3, s53
	s_sub_i32 s16, 0, s53
	v_mov_b32_e32 v13, v2
	v_rcp_iflag_f32_e32 v3, v3
	v_mul_f32_e32 v3, 0x4f7ffffe, v3
	v_cvt_u32_f32_e32 v3, v3
	v_mul_lo_u32 v5, s16, v3
	v_mul_hi_u32 v5, v3, v5
	v_add_u32_e32 v3, v3, v5
	v_mul_hi_u32 v3, v10, v3
	v_mul_lo_u32 v5, v3, s53
	v_sub_u32_e32 v5, v10, v5
	v_add_u32_e32 v7, 1, v3
	v_subrev_u32_e32 v9, s53, v5
	v_cmp_le_u32_e32 vcc, s53, v5
	v_cndmask_b32_e32 v5, v5, v9, vcc
	v_cndmask_b32_e32 v3, v3, v7, vcc
	v_add_u32_e32 v7, 1, v3
	v_cmp_le_u32_e32 vcc, s53, v5
	v_cndmask_b32_e32 v12, v3, v7, vcc
.LBB88_35:                              ;   in Loop: Header=BB88_23 Depth=2
	s_or_b64 exec, exec, s[0:1]
	s_add_u32 s0, s43, s28
	s_addc_u32 s1, s44, s29
	s_add_i32 s16, s26, 4
	s_lshl_b64 s[28:29], s[16:17], 2
	s_add_u32 s30, s39, s28
	s_addc_u32 s31, s40, s29
	s_load_dword s55, s[30:31], 0x0
	s_load_dword s56, s[0:1], 0x0
                                        ; implicit-def: $vgpr14_vgpr15
	s_waitcnt lgkmcnt(0)
	s_ashr_i32 s0, s55, 31
	v_or_b32_e32 v3, s0, v13
	v_cmp_ne_u64_e32 vcc, 0, v[2:3]
	s_and_saveexec_b64 s[30:31], vcc
	s_xor_b64 s[30:31], exec, s[30:31]
	s_cbranch_execz .LBB88_37
; %bb.36:                               ;   in Loop: Header=BB88_23 Depth=2
	s_add_u32 s36, s55, s0
	s_mov_b32 s34, s0
	s_mov_b32 s35, s0
	s_addc_u32 s37, s0, s0
	s_xor_b64 s[36:37], s[36:37], s[34:35]
	v_cvt_f32_u32_e32 v3, s36
	v_cvt_f32_u32_e32 v5, s37
	s_sub_u32 s0, 0, s36
	s_subb_u32 s1, 0, s37
	v_mac_f32_e32 v3, 0x4f800000, v5
	v_rcp_f32_e32 v3, v3
	v_mul_f32_e32 v3, 0x5f7ffffc, v3
	v_mul_f32_e32 v5, 0x2f800000, v3
	v_trunc_f32_e32 v5, v5
	v_mac_f32_e32 v3, 0xcf800000, v5
	v_cvt_u32_f32_e32 v5, v5
	v_cvt_u32_f32_e32 v3, v3
	v_mul_lo_u32 v7, s0, v5
	v_mul_hi_u32 v11, s0, v3
	v_mul_lo_u32 v9, s1, v3
	v_add_u32_e32 v7, v11, v7
	v_mul_lo_u32 v14, s0, v3
	v_add_u32_e32 v7, v7, v9
	v_mul_lo_u32 v11, v3, v7
	v_mul_hi_u32 v15, v3, v14
	v_mul_hi_u32 v9, v3, v7
	v_add_co_u32_e32 v11, vcc, v15, v11
	v_addc_co_u32_e32 v9, vcc, 0, v9, vcc
	v_mul_hi_u32 v16, v5, v14
	v_mul_lo_u32 v14, v5, v14
	v_add_co_u32_e32 v11, vcc, v11, v14
	v_mul_hi_u32 v15, v5, v7
	v_addc_co_u32_e32 v9, vcc, v9, v16, vcc
	v_addc_co_u32_e32 v11, vcc, 0, v15, vcc
	v_mul_lo_u32 v7, v5, v7
	v_add_co_u32_e32 v7, vcc, v9, v7
	v_addc_co_u32_e32 v9, vcc, 0, v11, vcc
	v_add_co_u32_e32 v3, vcc, v3, v7
	v_addc_co_u32_e32 v5, vcc, v5, v9, vcc
	v_mul_lo_u32 v7, s0, v5
	v_mul_hi_u32 v9, s0, v3
	v_add_u32_e32 v7, v9, v7
	v_mul_lo_u32 v9, s1, v3
	v_add_u32_e32 v7, v7, v9
	v_mul_lo_u32 v11, s0, v3
	v_mul_hi_u32 v14, v5, v11
	v_mul_lo_u32 v15, v5, v11
	v_mul_lo_u32 v17, v3, v7
	v_mul_hi_u32 v11, v3, v11
	v_mul_hi_u32 v16, v3, v7
	v_add_co_u32_e32 v11, vcc, v11, v17
	v_addc_co_u32_e32 v16, vcc, 0, v16, vcc
	v_add_co_u32_e32 v11, vcc, v11, v15
	v_mul_hi_u32 v9, v5, v7
	v_addc_co_u32_e32 v11, vcc, v16, v14, vcc
	v_addc_co_u32_e32 v9, vcc, 0, v9, vcc
	v_mul_lo_u32 v7, v5, v7
	v_add_co_u32_e32 v7, vcc, v11, v7
	v_addc_co_u32_e32 v9, vcc, 0, v9, vcc
	v_add_co_u32_e32 v3, vcc, v3, v7
	v_addc_co_u32_e32 v5, vcc, v5, v9, vcc
	v_ashrrev_i32_e32 v7, 31, v13
	v_add_co_u32_e32 v9, vcc, v12, v7
	v_xor_b32_e32 v9, v9, v7
	v_addc_co_u32_e32 v11, vcc, v13, v7, vcc
	v_mad_u64_u32 v[14:15], s[0:1], v9, v5, 0
	v_mul_hi_u32 v13, v9, v3
	v_xor_b32_e32 v11, v11, v7
	v_add_co_u32_e32 v13, vcc, v13, v14
	v_addc_co_u32_e32 v18, vcc, 0, v15, vcc
	v_mad_u64_u32 v[16:17], s[0:1], v11, v3, 0
	v_add_co_u32_e32 v3, vcc, v13, v16
	v_mad_u64_u32 v[14:15], s[0:1], v11, v5, 0
	v_addc_co_u32_e32 v3, vcc, v18, v17, vcc
	v_addc_co_u32_e32 v5, vcc, 0, v15, vcc
	v_add_co_u32_e32 v3, vcc, v3, v14
	v_addc_co_u32_e32 v5, vcc, 0, v5, vcc
	v_mul_lo_u32 v13, s37, v3
	v_mul_lo_u32 v16, s36, v5
	v_mad_u64_u32 v[14:15], s[0:1], s36, v3, 0
	v_add3_u32 v13, v15, v16, v13
	v_sub_u32_e32 v15, v11, v13
	v_mov_b32_e32 v16, s37
	v_sub_co_u32_e32 v9, vcc, v9, v14
	v_subb_co_u32_e64 v14, s[0:1], v15, v16, vcc
	v_subrev_co_u32_e64 v15, s[0:1], s36, v9
	v_subbrev_co_u32_e64 v14, s[0:1], 0, v14, s[0:1]
	v_cmp_le_u32_e64 s[0:1], s37, v14
	v_cndmask_b32_e64 v16, 0, -1, s[0:1]
	v_cmp_le_u32_e64 s[0:1], s36, v15
	v_cndmask_b32_e64 v15, 0, -1, s[0:1]
	v_cmp_eq_u32_e64 s[0:1], s37, v14
	v_cndmask_b32_e64 v14, v16, v15, s[0:1]
	v_add_co_u32_e64 v15, s[0:1], 2, v3
	v_subb_co_u32_e32 v11, vcc, v11, v13, vcc
	v_addc_co_u32_e64 v16, s[0:1], 0, v5, s[0:1]
	v_cmp_le_u32_e32 vcc, s37, v11
	v_add_co_u32_e64 v17, s[0:1], 1, v3
	v_cndmask_b32_e64 v13, 0, -1, vcc
	v_cmp_le_u32_e32 vcc, s36, v9
	v_addc_co_u32_e64 v18, s[0:1], 0, v5, s[0:1]
	v_cndmask_b32_e64 v9, 0, -1, vcc
	v_cmp_eq_u32_e32 vcc, s37, v11
	v_cmp_ne_u32_e64 s[0:1], 0, v14
	v_cndmask_b32_e32 v9, v13, v9, vcc
	v_cmp_ne_u32_e32 vcc, 0, v9
	v_cndmask_b32_e64 v9, v17, v15, s[0:1]
	v_cndmask_b32_e64 v14, v18, v16, s[0:1]
	v_cndmask_b32_e32 v3, v3, v9, vcc
	v_xor_b32_e32 v9, s35, v7
	v_xor_b32_e32 v7, s34, v7
	v_cndmask_b32_e32 v5, v5, v14, vcc
	v_xor_b32_e32 v3, v3, v7
	v_xor_b32_e32 v5, v5, v9
	v_sub_co_u32_e32 v14, vcc, v3, v7
	v_subb_co_u32_e32 v15, vcc, v5, v9, vcc
.LBB88_37:                              ;   in Loop: Header=BB88_23 Depth=2
	s_andn2_saveexec_b64 s[0:1], s[30:31]
	s_cbranch_execz .LBB88_39
; %bb.38:                               ;   in Loop: Header=BB88_23 Depth=2
	v_cvt_f32_u32_e32 v3, s55
	s_sub_i32 s16, 0, s55
	v_mov_b32_e32 v15, v2
	v_rcp_iflag_f32_e32 v3, v3
	v_mul_f32_e32 v3, 0x4f7ffffe, v3
	v_cvt_u32_f32_e32 v3, v3
	v_mul_lo_u32 v5, s16, v3
	v_mul_hi_u32 v5, v3, v5
	v_add_u32_e32 v3, v3, v5
	v_mul_hi_u32 v3, v12, v3
	v_mul_lo_u32 v5, v3, s55
	v_sub_u32_e32 v5, v12, v5
	v_add_u32_e32 v7, 1, v3
	v_subrev_u32_e32 v9, s55, v5
	v_cmp_le_u32_e32 vcc, s55, v5
	v_cndmask_b32_e32 v5, v5, v9, vcc
	v_cndmask_b32_e32 v3, v3, v7, vcc
	v_add_u32_e32 v7, 1, v3
	v_cmp_le_u32_e32 vcc, s55, v5
	v_cndmask_b32_e32 v14, v3, v7, vcc
.LBB88_39:                              ;   in Loop: Header=BB88_23 Depth=2
	s_or_b64 exec, exec, s[0:1]
	s_add_u32 s0, s43, s28
	s_addc_u32 s1, s44, s29
	s_add_i32 s16, s26, 3
	s_lshl_b64 s[28:29], s[16:17], 2
	s_add_u32 s30, s39, s28
	s_addc_u32 s31, s40, s29
	s_load_dword s57, s[30:31], 0x0
	s_load_dword s58, s[0:1], 0x0
                                        ; implicit-def: $vgpr16_vgpr17
	s_waitcnt lgkmcnt(0)
	s_ashr_i32 s0, s57, 31
	v_or_b32_e32 v3, s0, v15
	v_cmp_ne_u64_e32 vcc, 0, v[2:3]
	s_and_saveexec_b64 s[30:31], vcc
	s_xor_b64 s[30:31], exec, s[30:31]
	s_cbranch_execz .LBB88_41
; %bb.40:                               ;   in Loop: Header=BB88_23 Depth=2
	s_add_u32 s36, s57, s0
	s_mov_b32 s34, s0
	s_mov_b32 s35, s0
	s_addc_u32 s37, s0, s0
	s_xor_b64 s[36:37], s[36:37], s[34:35]
	v_cvt_f32_u32_e32 v3, s36
	v_cvt_f32_u32_e32 v5, s37
	s_sub_u32 s0, 0, s36
	s_subb_u32 s1, 0, s37
	v_mac_f32_e32 v3, 0x4f800000, v5
	v_rcp_f32_e32 v3, v3
	v_mul_f32_e32 v3, 0x5f7ffffc, v3
	v_mul_f32_e32 v5, 0x2f800000, v3
	v_trunc_f32_e32 v5, v5
	v_mac_f32_e32 v3, 0xcf800000, v5
	v_cvt_u32_f32_e32 v5, v5
	v_cvt_u32_f32_e32 v3, v3
	v_mul_lo_u32 v7, s0, v5
	v_mul_hi_u32 v11, s0, v3
	v_mul_lo_u32 v9, s1, v3
	v_add_u32_e32 v7, v11, v7
	v_mul_lo_u32 v13, s0, v3
	v_add_u32_e32 v7, v7, v9
	v_mul_lo_u32 v11, v3, v7
	v_mul_hi_u32 v16, v3, v13
	v_mul_hi_u32 v9, v3, v7
	v_add_co_u32_e32 v11, vcc, v16, v11
	v_addc_co_u32_e32 v9, vcc, 0, v9, vcc
	v_mul_hi_u32 v17, v5, v13
	v_mul_lo_u32 v13, v5, v13
	v_add_co_u32_e32 v11, vcc, v11, v13
	v_mul_hi_u32 v16, v5, v7
	v_addc_co_u32_e32 v9, vcc, v9, v17, vcc
	v_addc_co_u32_e32 v11, vcc, 0, v16, vcc
	v_mul_lo_u32 v7, v5, v7
	v_add_co_u32_e32 v7, vcc, v9, v7
	v_addc_co_u32_e32 v9, vcc, 0, v11, vcc
	v_add_co_u32_e32 v3, vcc, v3, v7
	v_addc_co_u32_e32 v5, vcc, v5, v9, vcc
	v_mul_lo_u32 v7, s0, v5
	v_mul_hi_u32 v9, s0, v3
	v_add_u32_e32 v7, v9, v7
	v_mul_lo_u32 v9, s1, v3
	v_add_u32_e32 v7, v7, v9
	v_mul_lo_u32 v11, s0, v3
	v_mul_hi_u32 v13, v5, v11
	v_mul_lo_u32 v16, v5, v11
	v_mul_lo_u32 v18, v3, v7
	v_mul_hi_u32 v11, v3, v11
	v_mul_hi_u32 v17, v3, v7
	v_add_co_u32_e32 v11, vcc, v11, v18
	v_addc_co_u32_e32 v17, vcc, 0, v17, vcc
	v_add_co_u32_e32 v11, vcc, v11, v16
	v_mul_hi_u32 v9, v5, v7
	v_addc_co_u32_e32 v11, vcc, v17, v13, vcc
	v_addc_co_u32_e32 v9, vcc, 0, v9, vcc
	v_mul_lo_u32 v7, v5, v7
	v_add_co_u32_e32 v7, vcc, v11, v7
	v_addc_co_u32_e32 v9, vcc, 0, v9, vcc
	v_add_co_u32_e32 v3, vcc, v3, v7
	v_addc_co_u32_e32 v5, vcc, v5, v9, vcc
	v_ashrrev_i32_e32 v7, 31, v15
	v_add_co_u32_e32 v9, vcc, v14, v7
	v_xor_b32_e32 v9, v9, v7
	v_addc_co_u32_e32 v11, vcc, v15, v7, vcc
	v_mad_u64_u32 v[16:17], s[0:1], v9, v5, 0
	v_mul_hi_u32 v13, v9, v3
	v_xor_b32_e32 v11, v11, v7
	v_add_co_u32_e32 v13, vcc, v13, v16
	v_addc_co_u32_e32 v15, vcc, 0, v17, vcc
	v_mad_u64_u32 v[18:19], s[0:1], v11, v3, 0
	v_add_co_u32_e32 v3, vcc, v13, v18
	v_mad_u64_u32 v[16:17], s[0:1], v11, v5, 0
	v_addc_co_u32_e32 v3, vcc, v15, v19, vcc
	v_addc_co_u32_e32 v5, vcc, 0, v17, vcc
	v_add_co_u32_e32 v3, vcc, v3, v16
	v_addc_co_u32_e32 v5, vcc, 0, v5, vcc
	v_mul_lo_u32 v13, s37, v3
	v_mul_lo_u32 v15, s36, v5
	v_mad_u64_u32 v[16:17], s[0:1], s36, v3, 0
	v_add3_u32 v13, v17, v15, v13
	v_sub_u32_e32 v15, v11, v13
	v_mov_b32_e32 v17, s37
	v_sub_co_u32_e32 v9, vcc, v9, v16
	v_subb_co_u32_e64 v15, s[0:1], v15, v17, vcc
	v_subrev_co_u32_e64 v16, s[0:1], s36, v9
	v_subbrev_co_u32_e64 v15, s[0:1], 0, v15, s[0:1]
	v_cmp_le_u32_e64 s[0:1], s37, v15
	v_cndmask_b32_e64 v17, 0, -1, s[0:1]
	v_cmp_le_u32_e64 s[0:1], s36, v16
	v_cndmask_b32_e64 v16, 0, -1, s[0:1]
	v_cmp_eq_u32_e64 s[0:1], s37, v15
	v_cndmask_b32_e64 v15, v17, v16, s[0:1]
	v_add_co_u32_e64 v16, s[0:1], 2, v3
	v_subb_co_u32_e32 v11, vcc, v11, v13, vcc
	v_addc_co_u32_e64 v17, s[0:1], 0, v5, s[0:1]
	v_cmp_le_u32_e32 vcc, s37, v11
	v_add_co_u32_e64 v18, s[0:1], 1, v3
	v_cndmask_b32_e64 v13, 0, -1, vcc
	v_cmp_le_u32_e32 vcc, s36, v9
	v_addc_co_u32_e64 v19, s[0:1], 0, v5, s[0:1]
	v_cndmask_b32_e64 v9, 0, -1, vcc
	v_cmp_eq_u32_e32 vcc, s37, v11
	v_cmp_ne_u32_e64 s[0:1], 0, v15
	v_cndmask_b32_e32 v9, v13, v9, vcc
	v_cmp_ne_u32_e32 vcc, 0, v9
	v_cndmask_b32_e64 v9, v18, v16, s[0:1]
	v_cndmask_b32_e64 v15, v19, v17, s[0:1]
	v_cndmask_b32_e32 v3, v3, v9, vcc
	v_xor_b32_e32 v9, s35, v7
	v_xor_b32_e32 v7, s34, v7
	v_cndmask_b32_e32 v5, v5, v15, vcc
	v_xor_b32_e32 v3, v3, v7
	v_xor_b32_e32 v5, v5, v9
	v_sub_co_u32_e32 v16, vcc, v3, v7
	v_subb_co_u32_e32 v17, vcc, v5, v9, vcc
.LBB88_41:                              ;   in Loop: Header=BB88_23 Depth=2
	s_andn2_saveexec_b64 s[0:1], s[30:31]
	s_cbranch_execz .LBB88_43
; %bb.42:                               ;   in Loop: Header=BB88_23 Depth=2
	v_cvt_f32_u32_e32 v3, s57
	s_sub_i32 s16, 0, s57
	v_mov_b32_e32 v17, v2
	v_rcp_iflag_f32_e32 v3, v3
	v_mul_f32_e32 v3, 0x4f7ffffe, v3
	v_cvt_u32_f32_e32 v3, v3
	v_mul_lo_u32 v5, s16, v3
	v_mul_hi_u32 v5, v3, v5
	v_add_u32_e32 v3, v3, v5
	v_mul_hi_u32 v3, v14, v3
	v_mul_lo_u32 v5, v3, s57
	v_sub_u32_e32 v5, v14, v5
	v_add_u32_e32 v7, 1, v3
	v_subrev_u32_e32 v9, s57, v5
	v_cmp_le_u32_e32 vcc, s57, v5
	v_cndmask_b32_e32 v5, v5, v9, vcc
	v_cndmask_b32_e32 v3, v3, v7, vcc
	v_add_u32_e32 v7, 1, v3
	v_cmp_le_u32_e32 vcc, s57, v5
	v_cndmask_b32_e32 v16, v3, v7, vcc
.LBB88_43:                              ;   in Loop: Header=BB88_23 Depth=2
	s_or_b64 exec, exec, s[0:1]
	s_add_u32 s0, s43, s28
	s_addc_u32 s1, s44, s29
	s_add_i32 s16, s26, 2
	s_lshl_b64 s[28:29], s[16:17], 2
	s_add_u32 s30, s39, s28
	s_addc_u32 s31, s40, s29
	s_load_dword s59, s[30:31], 0x0
	s_load_dword s60, s[0:1], 0x0
                                        ; implicit-def: $vgpr18_vgpr19
	s_waitcnt lgkmcnt(0)
	s_ashr_i32 s0, s59, 31
	v_or_b32_e32 v3, s0, v17
	v_cmp_ne_u64_e32 vcc, 0, v[2:3]
	s_and_saveexec_b64 s[30:31], vcc
	s_xor_b64 s[30:31], exec, s[30:31]
	s_cbranch_execz .LBB88_45
; %bb.44:                               ;   in Loop: Header=BB88_23 Depth=2
	s_add_u32 s36, s59, s0
	s_mov_b32 s34, s0
	s_mov_b32 s35, s0
	s_addc_u32 s37, s0, s0
	s_xor_b64 s[36:37], s[36:37], s[34:35]
	v_cvt_f32_u32_e32 v3, s36
	v_cvt_f32_u32_e32 v5, s37
	s_sub_u32 s0, 0, s36
	s_subb_u32 s1, 0, s37
	v_mac_f32_e32 v3, 0x4f800000, v5
	v_rcp_f32_e32 v3, v3
	v_mul_f32_e32 v3, 0x5f7ffffc, v3
	v_mul_f32_e32 v5, 0x2f800000, v3
	v_trunc_f32_e32 v5, v5
	v_mac_f32_e32 v3, 0xcf800000, v5
	v_cvt_u32_f32_e32 v5, v5
	v_cvt_u32_f32_e32 v3, v3
	v_mul_lo_u32 v7, s0, v5
	v_mul_hi_u32 v11, s0, v3
	v_mul_lo_u32 v9, s1, v3
	v_add_u32_e32 v7, v11, v7
	v_mul_lo_u32 v13, s0, v3
	v_add_u32_e32 v7, v7, v9
	v_mul_lo_u32 v11, v3, v7
	v_mul_hi_u32 v15, v3, v13
	v_mul_hi_u32 v9, v3, v7
	v_add_co_u32_e32 v11, vcc, v15, v11
	v_addc_co_u32_e32 v9, vcc, 0, v9, vcc
	v_mul_hi_u32 v18, v5, v13
	v_mul_lo_u32 v13, v5, v13
	v_add_co_u32_e32 v11, vcc, v11, v13
	v_mul_hi_u32 v15, v5, v7
	v_addc_co_u32_e32 v9, vcc, v9, v18, vcc
	v_addc_co_u32_e32 v11, vcc, 0, v15, vcc
	v_mul_lo_u32 v7, v5, v7
	v_add_co_u32_e32 v7, vcc, v9, v7
	v_addc_co_u32_e32 v9, vcc, 0, v11, vcc
	v_add_co_u32_e32 v3, vcc, v3, v7
	v_addc_co_u32_e32 v5, vcc, v5, v9, vcc
	v_mul_lo_u32 v7, s0, v5
	v_mul_hi_u32 v9, s0, v3
	v_add_u32_e32 v7, v9, v7
	v_mul_lo_u32 v9, s1, v3
	v_add_u32_e32 v7, v7, v9
	v_mul_lo_u32 v11, s0, v3
	v_mul_hi_u32 v13, v5, v11
	v_mul_lo_u32 v15, v5, v11
	v_mul_lo_u32 v19, v3, v7
	v_mul_hi_u32 v11, v3, v11
	v_mul_hi_u32 v18, v3, v7
	v_add_co_u32_e32 v11, vcc, v11, v19
	v_addc_co_u32_e32 v18, vcc, 0, v18, vcc
	v_add_co_u32_e32 v11, vcc, v11, v15
	v_mul_hi_u32 v9, v5, v7
	v_addc_co_u32_e32 v11, vcc, v18, v13, vcc
	v_addc_co_u32_e32 v9, vcc, 0, v9, vcc
	v_mul_lo_u32 v7, v5, v7
	v_add_co_u32_e32 v7, vcc, v11, v7
	v_addc_co_u32_e32 v9, vcc, 0, v9, vcc
	v_add_co_u32_e32 v3, vcc, v3, v7
	v_addc_co_u32_e32 v5, vcc, v5, v9, vcc
	v_ashrrev_i32_e32 v7, 31, v17
	v_add_co_u32_e32 v9, vcc, v16, v7
	v_xor_b32_e32 v9, v9, v7
	v_addc_co_u32_e32 v11, vcc, v17, v7, vcc
	v_mad_u64_u32 v[18:19], s[0:1], v9, v5, 0
	v_mul_hi_u32 v13, v9, v3
	v_xor_b32_e32 v11, v11, v7
	v_add_co_u32_e32 v13, vcc, v13, v18
	v_addc_co_u32_e32 v15, vcc, 0, v19, vcc
	v_mad_u64_u32 v[20:21], s[0:1], v11, v3, 0
	v_add_co_u32_e32 v3, vcc, v13, v20
	v_mad_u64_u32 v[18:19], s[0:1], v11, v5, 0
	v_addc_co_u32_e32 v3, vcc, v15, v21, vcc
	v_addc_co_u32_e32 v5, vcc, 0, v19, vcc
	v_add_co_u32_e32 v3, vcc, v3, v18
	v_addc_co_u32_e32 v5, vcc, 0, v5, vcc
	v_mul_lo_u32 v13, s37, v3
	v_mul_lo_u32 v15, s36, v5
	v_mad_u64_u32 v[18:19], s[0:1], s36, v3, 0
	v_add3_u32 v13, v19, v15, v13
	v_sub_u32_e32 v15, v11, v13
	v_mov_b32_e32 v17, s37
	v_sub_co_u32_e32 v9, vcc, v9, v18
	v_subb_co_u32_e64 v15, s[0:1], v15, v17, vcc
	v_subrev_co_u32_e64 v17, s[0:1], s36, v9
	v_subbrev_co_u32_e64 v15, s[0:1], 0, v15, s[0:1]
	v_cmp_le_u32_e64 s[0:1], s37, v15
	v_cndmask_b32_e64 v18, 0, -1, s[0:1]
	v_cmp_le_u32_e64 s[0:1], s36, v17
	v_cndmask_b32_e64 v17, 0, -1, s[0:1]
	v_cmp_eq_u32_e64 s[0:1], s37, v15
	v_cndmask_b32_e64 v15, v18, v17, s[0:1]
	v_add_co_u32_e64 v17, s[0:1], 2, v3
	v_subb_co_u32_e32 v11, vcc, v11, v13, vcc
	v_addc_co_u32_e64 v18, s[0:1], 0, v5, s[0:1]
	v_cmp_le_u32_e32 vcc, s37, v11
	v_add_co_u32_e64 v19, s[0:1], 1, v3
	v_cndmask_b32_e64 v13, 0, -1, vcc
	v_cmp_le_u32_e32 vcc, s36, v9
	v_addc_co_u32_e64 v20, s[0:1], 0, v5, s[0:1]
	v_cndmask_b32_e64 v9, 0, -1, vcc
	v_cmp_eq_u32_e32 vcc, s37, v11
	v_cmp_ne_u32_e64 s[0:1], 0, v15
	v_cndmask_b32_e32 v9, v13, v9, vcc
	v_cmp_ne_u32_e32 vcc, 0, v9
	v_cndmask_b32_e64 v9, v19, v17, s[0:1]
	v_cndmask_b32_e64 v15, v20, v18, s[0:1]
	v_cndmask_b32_e32 v3, v3, v9, vcc
	v_xor_b32_e32 v9, s35, v7
	v_xor_b32_e32 v7, s34, v7
	v_cndmask_b32_e32 v5, v5, v15, vcc
	v_xor_b32_e32 v3, v3, v7
	v_xor_b32_e32 v5, v5, v9
	v_sub_co_u32_e32 v18, vcc, v3, v7
	v_subb_co_u32_e32 v19, vcc, v5, v9, vcc
.LBB88_45:                              ;   in Loop: Header=BB88_23 Depth=2
	s_andn2_saveexec_b64 s[0:1], s[30:31]
	s_cbranch_execz .LBB88_47
; %bb.46:                               ;   in Loop: Header=BB88_23 Depth=2
	v_cvt_f32_u32_e32 v3, s59
	s_sub_i32 s16, 0, s59
	v_mov_b32_e32 v19, v2
	v_rcp_iflag_f32_e32 v3, v3
	v_mul_f32_e32 v3, 0x4f7ffffe, v3
	v_cvt_u32_f32_e32 v3, v3
	v_mul_lo_u32 v5, s16, v3
	v_mul_hi_u32 v5, v3, v5
	v_add_u32_e32 v3, v3, v5
	v_mul_hi_u32 v3, v16, v3
	v_mul_lo_u32 v5, v3, s59
	v_sub_u32_e32 v5, v16, v5
	v_add_u32_e32 v7, 1, v3
	v_subrev_u32_e32 v9, s59, v5
	v_cmp_le_u32_e32 vcc, s59, v5
	v_cndmask_b32_e32 v5, v5, v9, vcc
	v_cndmask_b32_e32 v3, v3, v7, vcc
	v_add_u32_e32 v7, 1, v3
	v_cmp_le_u32_e32 vcc, s59, v5
	v_cndmask_b32_e32 v18, v3, v7, vcc
.LBB88_47:                              ;   in Loop: Header=BB88_23 Depth=2
	s_or_b64 exec, exec, s[0:1]
	s_add_u32 s0, s43, s28
	s_addc_u32 s1, s44, s29
	s_add_i32 s16, s26, 1
	s_lshl_b64 s[28:29], s[16:17], 2
	s_add_u32 s30, s39, s28
	s_addc_u32 s31, s40, s29
	s_load_dword s16, s[30:31], 0x0
	s_load_dword s61, s[0:1], 0x0
                                        ; implicit-def: $vgpr20_vgpr21
	s_waitcnt lgkmcnt(0)
	s_ashr_i32 s0, s16, 31
	v_or_b32_e32 v3, s0, v19
	v_cmp_ne_u64_e32 vcc, 0, v[2:3]
	s_and_saveexec_b64 s[30:31], vcc
	s_xor_b64 s[30:31], exec, s[30:31]
	s_cbranch_execz .LBB88_49
; %bb.48:                               ;   in Loop: Header=BB88_23 Depth=2
	s_add_u32 s36, s16, s0
	s_mov_b32 s34, s0
	s_mov_b32 s35, s0
	s_addc_u32 s37, s0, s0
	s_xor_b64 s[36:37], s[36:37], s[34:35]
	v_cvt_f32_u32_e32 v3, s36
	v_cvt_f32_u32_e32 v5, s37
	s_sub_u32 s0, 0, s36
	s_subb_u32 s1, 0, s37
	v_mac_f32_e32 v3, 0x4f800000, v5
	v_rcp_f32_e32 v3, v3
	v_mul_f32_e32 v3, 0x5f7ffffc, v3
	v_mul_f32_e32 v5, 0x2f800000, v3
	v_trunc_f32_e32 v5, v5
	v_mac_f32_e32 v3, 0xcf800000, v5
	v_cvt_u32_f32_e32 v5, v5
	v_cvt_u32_f32_e32 v3, v3
	v_mul_lo_u32 v7, s0, v5
	v_mul_hi_u32 v11, s0, v3
	v_mul_lo_u32 v9, s1, v3
	v_add_u32_e32 v7, v11, v7
	v_mul_lo_u32 v13, s0, v3
	v_add_u32_e32 v7, v7, v9
	v_mul_lo_u32 v11, v3, v7
	v_mul_hi_u32 v15, v3, v13
	v_mul_hi_u32 v9, v3, v7
	v_add_co_u32_e32 v11, vcc, v15, v11
	v_addc_co_u32_e32 v9, vcc, 0, v9, vcc
	v_mul_hi_u32 v17, v5, v13
	v_mul_lo_u32 v13, v5, v13
	v_add_co_u32_e32 v11, vcc, v11, v13
	v_mul_hi_u32 v15, v5, v7
	v_addc_co_u32_e32 v9, vcc, v9, v17, vcc
	v_addc_co_u32_e32 v11, vcc, 0, v15, vcc
	v_mul_lo_u32 v7, v5, v7
	v_add_co_u32_e32 v7, vcc, v9, v7
	v_addc_co_u32_e32 v9, vcc, 0, v11, vcc
	v_add_co_u32_e32 v3, vcc, v3, v7
	v_addc_co_u32_e32 v5, vcc, v5, v9, vcc
	v_mul_lo_u32 v7, s0, v5
	v_mul_hi_u32 v9, s0, v3
	v_add_u32_e32 v7, v9, v7
	v_mul_lo_u32 v9, s1, v3
	v_add_u32_e32 v7, v7, v9
	v_mul_lo_u32 v11, s0, v3
	v_mul_hi_u32 v13, v5, v11
	v_mul_lo_u32 v15, v5, v11
	v_mul_lo_u32 v20, v3, v7
	v_mul_hi_u32 v11, v3, v11
	v_mul_hi_u32 v17, v3, v7
	v_add_co_u32_e32 v11, vcc, v11, v20
	v_addc_co_u32_e32 v17, vcc, 0, v17, vcc
	v_add_co_u32_e32 v11, vcc, v11, v15
	v_mul_hi_u32 v9, v5, v7
	v_addc_co_u32_e32 v11, vcc, v17, v13, vcc
	v_addc_co_u32_e32 v9, vcc, 0, v9, vcc
	v_mul_lo_u32 v7, v5, v7
	v_add_co_u32_e32 v7, vcc, v11, v7
	v_addc_co_u32_e32 v9, vcc, 0, v9, vcc
	v_add_co_u32_e32 v3, vcc, v3, v7
	v_addc_co_u32_e32 v5, vcc, v5, v9, vcc
	v_ashrrev_i32_e32 v7, 31, v19
	v_add_co_u32_e32 v9, vcc, v18, v7
	v_xor_b32_e32 v9, v9, v7
	v_addc_co_u32_e32 v11, vcc, v19, v7, vcc
	v_mad_u64_u32 v[20:21], s[0:1], v9, v5, 0
	v_mul_hi_u32 v13, v9, v3
	v_xor_b32_e32 v11, v11, v7
	v_add_co_u32_e32 v13, vcc, v13, v20
	v_addc_co_u32_e32 v15, vcc, 0, v21, vcc
	v_mad_u64_u32 v[22:23], s[0:1], v11, v3, 0
	v_add_co_u32_e32 v3, vcc, v13, v22
	v_mad_u64_u32 v[20:21], s[0:1], v11, v5, 0
	v_addc_co_u32_e32 v3, vcc, v15, v23, vcc
	v_addc_co_u32_e32 v5, vcc, 0, v21, vcc
	v_add_co_u32_e32 v3, vcc, v3, v20
	v_addc_co_u32_e32 v5, vcc, 0, v5, vcc
	v_mul_lo_u32 v13, s37, v3
	v_mul_lo_u32 v15, s36, v5
	v_mad_u64_u32 v[20:21], s[0:1], s36, v3, 0
	v_add3_u32 v13, v21, v15, v13
	v_sub_u32_e32 v15, v11, v13
	v_mov_b32_e32 v17, s37
	v_sub_co_u32_e32 v9, vcc, v9, v20
	v_subb_co_u32_e64 v15, s[0:1], v15, v17, vcc
	v_subrev_co_u32_e64 v17, s[0:1], s36, v9
	v_subbrev_co_u32_e64 v15, s[0:1], 0, v15, s[0:1]
	v_cmp_le_u32_e64 s[0:1], s37, v15
	v_cndmask_b32_e64 v19, 0, -1, s[0:1]
	v_cmp_le_u32_e64 s[0:1], s36, v17
	v_cndmask_b32_e64 v17, 0, -1, s[0:1]
	v_cmp_eq_u32_e64 s[0:1], s37, v15
	v_cndmask_b32_e64 v15, v19, v17, s[0:1]
	v_add_co_u32_e64 v17, s[0:1], 2, v3
	v_subb_co_u32_e32 v11, vcc, v11, v13, vcc
	v_addc_co_u32_e64 v19, s[0:1], 0, v5, s[0:1]
	v_cmp_le_u32_e32 vcc, s37, v11
	v_add_co_u32_e64 v20, s[0:1], 1, v3
	v_cndmask_b32_e64 v13, 0, -1, vcc
	v_cmp_le_u32_e32 vcc, s36, v9
	v_addc_co_u32_e64 v21, s[0:1], 0, v5, s[0:1]
	v_cndmask_b32_e64 v9, 0, -1, vcc
	v_cmp_eq_u32_e32 vcc, s37, v11
	v_cmp_ne_u32_e64 s[0:1], 0, v15
	v_cndmask_b32_e32 v9, v13, v9, vcc
	v_cmp_ne_u32_e32 vcc, 0, v9
	v_cndmask_b32_e64 v9, v20, v17, s[0:1]
	v_cndmask_b32_e64 v15, v21, v19, s[0:1]
	v_cndmask_b32_e32 v3, v3, v9, vcc
	v_xor_b32_e32 v9, s35, v7
	v_xor_b32_e32 v7, s34, v7
	v_cndmask_b32_e32 v5, v5, v15, vcc
	v_xor_b32_e32 v3, v3, v7
	v_xor_b32_e32 v5, v5, v9
	v_sub_co_u32_e32 v20, vcc, v3, v7
	v_subb_co_u32_e32 v21, vcc, v5, v9, vcc
.LBB88_49:                              ;   in Loop: Header=BB88_23 Depth=2
	s_andn2_saveexec_b64 s[0:1], s[30:31]
	s_cbranch_execz .LBB88_51
; %bb.50:                               ;   in Loop: Header=BB88_23 Depth=2
	v_cvt_f32_u32_e32 v3, s16
	s_sub_i32 s27, 0, s16
	v_mov_b32_e32 v21, v2
	v_rcp_iflag_f32_e32 v3, v3
	v_mul_f32_e32 v3, 0x4f7ffffe, v3
	v_cvt_u32_f32_e32 v3, v3
	v_mul_lo_u32 v5, s27, v3
	v_mul_hi_u32 v5, v3, v5
	v_add_u32_e32 v3, v3, v5
	v_mul_hi_u32 v3, v18, v3
	v_mul_lo_u32 v5, v3, s16
	v_sub_u32_e32 v5, v18, v5
	v_add_u32_e32 v7, 1, v3
	v_subrev_u32_e32 v9, s16, v5
	v_cmp_le_u32_e32 vcc, s16, v5
	v_cndmask_b32_e32 v5, v5, v9, vcc
	v_cndmask_b32_e32 v3, v3, v7, vcc
	v_add_u32_e32 v7, 1, v3
	v_cmp_le_u32_e32 vcc, s16, v5
	v_cndmask_b32_e32 v20, v3, v7, vcc
.LBB88_51:                              ;   in Loop: Header=BB88_23 Depth=2
	s_or_b64 exec, exec, s[0:1]
	s_add_u32 s0, s43, s28
	s_mov_b32 s27, s17
	s_addc_u32 s1, s44, s29
	s_lshl_b64 s[28:29], s[26:27], 2
	s_add_u32 s30, s39, s28
	s_addc_u32 s31, s40, s29
	s_load_dword s27, s[30:31], 0x0
	s_load_dword s62, s[0:1], 0x0
                                        ; implicit-def: $vgpr22_vgpr23
	s_waitcnt lgkmcnt(0)
	s_ashr_i32 s0, s27, 31
	v_or_b32_e32 v3, s0, v21
	v_cmp_ne_u64_e32 vcc, 0, v[2:3]
	s_and_saveexec_b64 s[30:31], vcc
	s_xor_b64 s[30:31], exec, s[30:31]
	s_cbranch_execz .LBB88_53
; %bb.52:                               ;   in Loop: Header=BB88_23 Depth=2
	s_add_u32 s36, s27, s0
	s_mov_b32 s34, s0
	s_mov_b32 s35, s0
	s_addc_u32 s37, s0, s0
	s_xor_b64 s[36:37], s[36:37], s[34:35]
	v_cvt_f32_u32_e32 v3, s36
	v_cvt_f32_u32_e32 v5, s37
	s_sub_u32 s0, 0, s36
	s_subb_u32 s1, 0, s37
	v_mac_f32_e32 v3, 0x4f800000, v5
	v_rcp_f32_e32 v3, v3
	v_mul_f32_e32 v3, 0x5f7ffffc, v3
	v_mul_f32_e32 v5, 0x2f800000, v3
	v_trunc_f32_e32 v5, v5
	v_mac_f32_e32 v3, 0xcf800000, v5
	v_cvt_u32_f32_e32 v5, v5
	v_cvt_u32_f32_e32 v3, v3
	v_mul_lo_u32 v7, s0, v5
	v_mul_hi_u32 v11, s0, v3
	v_mul_lo_u32 v9, s1, v3
	v_add_u32_e32 v7, v11, v7
	v_mul_lo_u32 v13, s0, v3
	v_add_u32_e32 v7, v7, v9
	v_mul_lo_u32 v11, v3, v7
	v_mul_hi_u32 v15, v3, v13
	v_mul_hi_u32 v9, v3, v7
	v_add_co_u32_e32 v11, vcc, v15, v11
	v_addc_co_u32_e32 v9, vcc, 0, v9, vcc
	v_mul_hi_u32 v17, v5, v13
	v_mul_lo_u32 v13, v5, v13
	v_add_co_u32_e32 v11, vcc, v11, v13
	v_mul_hi_u32 v15, v5, v7
	v_addc_co_u32_e32 v9, vcc, v9, v17, vcc
	v_addc_co_u32_e32 v11, vcc, 0, v15, vcc
	v_mul_lo_u32 v7, v5, v7
	v_add_co_u32_e32 v7, vcc, v9, v7
	v_addc_co_u32_e32 v9, vcc, 0, v11, vcc
	v_add_co_u32_e32 v3, vcc, v3, v7
	v_addc_co_u32_e32 v5, vcc, v5, v9, vcc
	v_mul_lo_u32 v7, s0, v5
	v_mul_hi_u32 v9, s0, v3
	v_add_u32_e32 v7, v9, v7
	v_mul_lo_u32 v9, s1, v3
	v_add_u32_e32 v7, v7, v9
	v_mul_lo_u32 v11, s0, v3
	v_mul_hi_u32 v13, v5, v11
	v_mul_lo_u32 v15, v5, v11
	v_mul_lo_u32 v19, v3, v7
	v_mul_hi_u32 v11, v3, v11
	v_mul_hi_u32 v17, v3, v7
	v_add_co_u32_e32 v11, vcc, v11, v19
	v_addc_co_u32_e32 v17, vcc, 0, v17, vcc
	v_add_co_u32_e32 v11, vcc, v11, v15
	v_mul_hi_u32 v9, v5, v7
	v_addc_co_u32_e32 v11, vcc, v17, v13, vcc
	v_addc_co_u32_e32 v9, vcc, 0, v9, vcc
	v_mul_lo_u32 v7, v5, v7
	v_add_co_u32_e32 v7, vcc, v11, v7
	v_addc_co_u32_e32 v9, vcc, 0, v9, vcc
	v_add_co_u32_e32 v3, vcc, v3, v7
	v_addc_co_u32_e32 v5, vcc, v5, v9, vcc
	v_ashrrev_i32_e32 v7, 31, v21
	v_add_co_u32_e32 v9, vcc, v20, v7
	v_xor_b32_e32 v9, v9, v7
	v_addc_co_u32_e32 v11, vcc, v21, v7, vcc
	v_mad_u64_u32 v[22:23], s[0:1], v9, v5, 0
	v_mul_hi_u32 v13, v9, v3
	v_xor_b32_e32 v11, v11, v7
	v_add_co_u32_e32 v13, vcc, v13, v22
	v_addc_co_u32_e32 v15, vcc, 0, v23, vcc
	v_mad_u64_u32 v[28:29], s[0:1], v11, v3, 0
	v_add_co_u32_e32 v3, vcc, v13, v28
	v_mad_u64_u32 v[22:23], s[0:1], v11, v5, 0
	v_addc_co_u32_e32 v3, vcc, v15, v29, vcc
	v_addc_co_u32_e32 v5, vcc, 0, v23, vcc
	v_add_co_u32_e32 v3, vcc, v3, v22
	v_addc_co_u32_e32 v5, vcc, 0, v5, vcc
	v_mul_lo_u32 v13, s37, v3
	v_mul_lo_u32 v15, s36, v5
	v_mad_u64_u32 v[22:23], s[0:1], s36, v3, 0
	v_add3_u32 v13, v23, v15, v13
	v_sub_u32_e32 v15, v11, v13
	v_mov_b32_e32 v17, s37
	v_sub_co_u32_e32 v9, vcc, v9, v22
	v_subb_co_u32_e64 v15, s[0:1], v15, v17, vcc
	v_subrev_co_u32_e64 v17, s[0:1], s36, v9
	v_subbrev_co_u32_e64 v15, s[0:1], 0, v15, s[0:1]
	v_cmp_le_u32_e64 s[0:1], s37, v15
	v_cndmask_b32_e64 v19, 0, -1, s[0:1]
	v_cmp_le_u32_e64 s[0:1], s36, v17
	v_cndmask_b32_e64 v17, 0, -1, s[0:1]
	v_cmp_eq_u32_e64 s[0:1], s37, v15
	v_cndmask_b32_e64 v15, v19, v17, s[0:1]
	v_add_co_u32_e64 v17, s[0:1], 2, v3
	v_subb_co_u32_e32 v11, vcc, v11, v13, vcc
	v_addc_co_u32_e64 v19, s[0:1], 0, v5, s[0:1]
	v_cmp_le_u32_e32 vcc, s37, v11
	v_add_co_u32_e64 v21, s[0:1], 1, v3
	v_cndmask_b32_e64 v13, 0, -1, vcc
	v_cmp_le_u32_e32 vcc, s36, v9
	v_addc_co_u32_e64 v22, s[0:1], 0, v5, s[0:1]
	v_cndmask_b32_e64 v9, 0, -1, vcc
	v_cmp_eq_u32_e32 vcc, s37, v11
	v_cmp_ne_u32_e64 s[0:1], 0, v15
	v_cndmask_b32_e32 v9, v13, v9, vcc
	v_cmp_ne_u32_e32 vcc, 0, v9
	v_cndmask_b32_e64 v9, v21, v17, s[0:1]
	v_cndmask_b32_e64 v15, v22, v19, s[0:1]
	v_cndmask_b32_e32 v3, v3, v9, vcc
	v_xor_b32_e32 v9, s35, v7
	v_xor_b32_e32 v7, s34, v7
	v_cndmask_b32_e32 v5, v5, v15, vcc
	v_xor_b32_e32 v3, v3, v7
	v_xor_b32_e32 v5, v5, v9
	v_sub_co_u32_e32 v22, vcc, v3, v7
	v_subb_co_u32_e32 v23, vcc, v5, v9, vcc
.LBB88_53:                              ;   in Loop: Header=BB88_23 Depth=2
	s_andn2_saveexec_b64 s[0:1], s[30:31]
	s_cbranch_execz .LBB88_55
; %bb.54:                               ;   in Loop: Header=BB88_23 Depth=2
	v_cvt_f32_u32_e32 v3, s27
	s_sub_i32 s30, 0, s27
	v_mov_b32_e32 v23, v2
	v_rcp_iflag_f32_e32 v3, v3
	v_mul_f32_e32 v3, 0x4f7ffffe, v3
	v_cvt_u32_f32_e32 v3, v3
	v_mul_lo_u32 v5, s30, v3
	v_mul_hi_u32 v5, v3, v5
	v_add_u32_e32 v3, v3, v5
	v_mul_hi_u32 v3, v20, v3
	v_mul_lo_u32 v5, v3, s27
	v_sub_u32_e32 v5, v20, v5
	v_add_u32_e32 v7, 1, v3
	v_subrev_u32_e32 v9, s27, v5
	v_cmp_le_u32_e32 vcc, s27, v5
	v_cndmask_b32_e32 v5, v5, v9, vcc
	v_cndmask_b32_e32 v3, v3, v7, vcc
	v_add_u32_e32 v7, 1, v3
	v_cmp_le_u32_e32 vcc, s27, v5
	v_cndmask_b32_e32 v22, v3, v7, vcc
.LBB88_55:                              ;   in Loop: Header=BB88_23 Depth=2
	s_or_b64 exec, exec, s[0:1]
	v_mul_lo_u32 v3, v8, s50
	v_mul_lo_u32 v5, v10, s51
	v_sub_u32_e32 v3, v6, v3
	v_sub_u32_e32 v5, v8, v5
	v_mul_lo_u32 v3, s52, v3
	v_mul_lo_u32 v5, s54, v5
	v_add3_u32 v3, v3, v4, v5
	v_mul_lo_u32 v4, v12, s53
	v_mul_lo_u32 v5, v14, s55
	v_sub_u32_e32 v4, v10, v4
	v_sub_u32_e32 v5, v12, v5
	s_add_u32 s0, s43, s28
	v_mul_lo_u32 v4, s56, v4
	v_mul_lo_u32 v5, s58, v5
	s_addc_u32 s1, s44, s29
	v_add3_u32 v3, v4, v3, v5
	v_mul_lo_u32 v4, v16, s57
	v_mul_lo_u32 v5, v18, s59
	s_load_dword s0, s[0:1], 0x0
	v_sub_u32_e32 v4, v14, v4
	v_sub_u32_e32 v5, v16, v5
	v_mul_lo_u32 v4, s60, v4
	v_mul_lo_u32 v5, s61, v5
	v_add3_u32 v3, v4, v3, v5
	v_mul_lo_u32 v4, v20, s16
	v_mul_lo_u32 v5, v22, s27
	v_sub_u32_e32 v4, v18, v4
	v_sub_u32_e32 v5, v20, v5
	v_mul_lo_u32 v4, s62, v4
	s_waitcnt lgkmcnt(0)
	v_mul_lo_u32 v5, s0, v5
	s_add_i32 s26, s26, -8
	s_cmp_eq_u32 s26, -8
	v_add3_u32 v4, v4, v3, v5
	s_cbranch_scc1 .LBB88_57
; %bb.56:                               ;   in Loop: Header=BB88_23 Depth=2
	v_pk_mov_b32 v[6:7], v[22:23], v[22:23] op_sel:[0,1]
	s_branch .LBB88_23
.LBB88_57:                              ;   in Loop: Header=BB88_3 Depth=1
	s_load_dword s0, s[14:15], 0x0
	s_waitcnt lgkmcnt(0)
	v_cmp_gt_i32_e32 vcc, s0, v26
	s_and_b64 exec, exec, vcc
	s_cbranch_execz .LBB88_2
; %bb.58:                               ;   in Loop: Header=BB88_3 Depth=1
	v_ashrrev_i32_e32 v5, 31, v4
	v_lshlrev_b64 v[6:7], 2, v[4:5]
	v_mov_b32_e32 v3, s3
	v_add_co_u32_e32 v6, vcc, s2, v6
	v_addc_co_u32_e32 v7, vcc, v3, v7, vcc
	v_add_u32_e32 v3, 1, v26
	v_cmp_gt_i32_e32 vcc, s0, v3
	global_store_dword v[6:7], v2, off
	s_and_b64 exec, exec, vcc
	s_cbranch_execz .LBB88_2
; %bb.59:                               ;   in Loop: Header=BB88_3 Depth=1
	v_sub_u32_e32 v6, v3, v25
	v_ashrrev_i32_e32 v7, 31, v6
	v_cmp_gt_i64_e32 vcc, s[8:9], v[6:7]
	s_and_b64 exec, exec, vcc
	s_cbranch_execz .LBB88_2
; %bb.60:                               ;   in Loop: Header=BB88_3 Depth=1
	v_add_u32_e32 v4, s49, v4
	v_ashrrev_i32_e32 v5, 31, v4
	v_lshlrev_b64 v[4:5], 2, v[4:5]
	v_mov_b32_e32 v3, s3
	v_add_co_u32_e32 v4, vcc, s2, v4
	v_addc_co_u32_e32 v5, vcc, v3, v5, vcc
	global_store_dword v[4:5], v2, off
	s_branch .LBB88_2
.LBB88_61:
	s_endpgm
	.section	.rodata,"a",@progbits
	.p2align	6, 0x0
	.amdhsa_kernel _ZN2at6native16triu_tril_kernelIN3c107complexINS2_4HalfEEEiLb1ELi2ELb1EEEvNS_4cuda6detail10TensorInfoIT_T0_EENS8_IKS9_SA_EEllSA_
		.amdhsa_group_segment_fixed_size 0
		.amdhsa_private_segment_fixed_size 0
		.amdhsa_kernarg_size 712
		.amdhsa_user_sgpr_count 6
		.amdhsa_user_sgpr_private_segment_buffer 1
		.amdhsa_user_sgpr_dispatch_ptr 0
		.amdhsa_user_sgpr_queue_ptr 0
		.amdhsa_user_sgpr_kernarg_segment_ptr 1
		.amdhsa_user_sgpr_dispatch_id 0
		.amdhsa_user_sgpr_flat_scratch_init 0
		.amdhsa_user_sgpr_kernarg_preload_length 0
		.amdhsa_user_sgpr_kernarg_preload_offset 0
		.amdhsa_user_sgpr_private_segment_size 0
		.amdhsa_uses_dynamic_stack 0
		.amdhsa_system_sgpr_private_segment_wavefront_offset 0
		.amdhsa_system_sgpr_workgroup_id_x 1
		.amdhsa_system_sgpr_workgroup_id_y 0
		.amdhsa_system_sgpr_workgroup_id_z 0
		.amdhsa_system_sgpr_workgroup_info 0
		.amdhsa_system_vgpr_workitem_id 0
		.amdhsa_next_free_vgpr 30
		.amdhsa_next_free_sgpr 63
		.amdhsa_accum_offset 32
		.amdhsa_reserve_vcc 1
		.amdhsa_reserve_flat_scratch 0
		.amdhsa_float_round_mode_32 0
		.amdhsa_float_round_mode_16_64 0
		.amdhsa_float_denorm_mode_32 3
		.amdhsa_float_denorm_mode_16_64 3
		.amdhsa_dx10_clamp 1
		.amdhsa_ieee_mode 1
		.amdhsa_fp16_overflow 0
		.amdhsa_tg_split 0
		.amdhsa_exception_fp_ieee_invalid_op 0
		.amdhsa_exception_fp_denorm_src 0
		.amdhsa_exception_fp_ieee_div_zero 0
		.amdhsa_exception_fp_ieee_overflow 0
		.amdhsa_exception_fp_ieee_underflow 0
		.amdhsa_exception_fp_ieee_inexact 0
		.amdhsa_exception_int_div_zero 0
	.end_amdhsa_kernel
	.section	.text._ZN2at6native16triu_tril_kernelIN3c107complexINS2_4HalfEEEiLb1ELi2ELb1EEEvNS_4cuda6detail10TensorInfoIT_T0_EENS8_IKS9_SA_EEllSA_,"axG",@progbits,_ZN2at6native16triu_tril_kernelIN3c107complexINS2_4HalfEEEiLb1ELi2ELb1EEEvNS_4cuda6detail10TensorInfoIT_T0_EENS8_IKS9_SA_EEllSA_,comdat
.Lfunc_end88:
	.size	_ZN2at6native16triu_tril_kernelIN3c107complexINS2_4HalfEEEiLb1ELi2ELb1EEEvNS_4cuda6detail10TensorInfoIT_T0_EENS8_IKS9_SA_EEllSA_, .Lfunc_end88-_ZN2at6native16triu_tril_kernelIN3c107complexINS2_4HalfEEEiLb1ELi2ELb1EEEvNS_4cuda6detail10TensorInfoIT_T0_EENS8_IKS9_SA_EEllSA_
                                        ; -- End function
	.section	.AMDGPU.csdata,"",@progbits
; Kernel info:
; codeLenInByte = 10112
; NumSgprs: 67
; NumVgprs: 30
; NumAgprs: 0
; TotalNumVgprs: 30
; ScratchSize: 0
; MemoryBound: 0
; FloatMode: 240
; IeeeMode: 1
; LDSByteSize: 0 bytes/workgroup (compile time only)
; SGPRBlocks: 8
; VGPRBlocks: 3
; NumSGPRsForWavesPerEU: 67
; NumVGPRsForWavesPerEU: 30
; AccumOffset: 32
; Occupancy: 8
; WaveLimiterHint : 0
; COMPUTE_PGM_RSRC2:SCRATCH_EN: 0
; COMPUTE_PGM_RSRC2:USER_SGPR: 6
; COMPUTE_PGM_RSRC2:TRAP_HANDLER: 0
; COMPUTE_PGM_RSRC2:TGID_X_EN: 1
; COMPUTE_PGM_RSRC2:TGID_Y_EN: 0
; COMPUTE_PGM_RSRC2:TGID_Z_EN: 0
; COMPUTE_PGM_RSRC2:TIDIG_COMP_CNT: 0
; COMPUTE_PGM_RSRC3_GFX90A:ACCUM_OFFSET: 7
; COMPUTE_PGM_RSRC3_GFX90A:TG_SPLIT: 0
	.section	.text._ZN2at6native16triu_tril_kernelIN3c107complexINS2_4HalfEEEiLb1ELi2ELb0EEEvNS_4cuda6detail10TensorInfoIT_T0_EENS8_IKS9_SA_EEllSA_,"axG",@progbits,_ZN2at6native16triu_tril_kernelIN3c107complexINS2_4HalfEEEiLb1ELi2ELb0EEEvNS_4cuda6detail10TensorInfoIT_T0_EENS8_IKS9_SA_EEllSA_,comdat
	.protected	_ZN2at6native16triu_tril_kernelIN3c107complexINS2_4HalfEEEiLb1ELi2ELb0EEEvNS_4cuda6detail10TensorInfoIT_T0_EENS8_IKS9_SA_EEllSA_ ; -- Begin function _ZN2at6native16triu_tril_kernelIN3c107complexINS2_4HalfEEEiLb1ELi2ELb0EEEvNS_4cuda6detail10TensorInfoIT_T0_EENS8_IKS9_SA_EEllSA_
	.globl	_ZN2at6native16triu_tril_kernelIN3c107complexINS2_4HalfEEEiLb1ELi2ELb0EEEvNS_4cuda6detail10TensorInfoIT_T0_EENS8_IKS9_SA_EEllSA_
	.p2align	8
	.type	_ZN2at6native16triu_tril_kernelIN3c107complexINS2_4HalfEEEiLb1ELi2ELb0EEEvNS_4cuda6detail10TensorInfoIT_T0_EENS8_IKS9_SA_EEllSA_,@function
_ZN2at6native16triu_tril_kernelIN3c107complexINS2_4HalfEEEiLb1ELi2ELb0EEEvNS_4cuda6detail10TensorInfoIT_T0_EENS8_IKS9_SA_EEllSA_: ; @_ZN2at6native16triu_tril_kernelIN3c107complexINS2_4HalfEEEiLb1ELi2ELb0EEEvNS_4cuda6detail10TensorInfoIT_T0_EENS8_IKS9_SA_EEllSA_
; %bb.0:
	s_load_dword s2, s[4:5], 0x1d4
	s_load_dwordx4 s[8:11], s[4:5], 0x1b0
	s_add_u32 s0, s4, 0x1c8
	v_mov_b32_e32 v2, 0
	s_addc_u32 s1, s5, 0
	s_waitcnt lgkmcnt(0)
	s_and_b32 s2, s2, 0xffff
	v_mov_b32_e32 v1, v2
	v_mov_b32_e32 v3, s6
	v_mad_u64_u32 v[0:1], s[6:7], s2, v3, v[0:1]
	v_lshlrev_b64 v[0:1], 1, v[0:1]
	v_cmp_gt_i64_e32 vcc, s[10:11], v[0:1]
	s_and_saveexec_b64 s[6:7], vcc
	s_cbranch_execz .LBB89_52
; %bb.1:
	s_load_dword s20, s[4:5], 0x1a8
	s_add_u32 s33, s4, 0xd8
	s_addc_u32 s42, s5, 0
	s_load_dword s3, s[0:1], 0x0
	s_load_dwordx2 s[6:7], s[4:5], 0xd8
	s_mov_b64 s[26:27], 0
	s_waitcnt lgkmcnt(0)
	s_ashr_i32 s21, s20, 31
	s_lshl_b64 s[0:1], s[20:21], 2
	s_add_u32 s18, s0, -8
	s_addc_u32 s19, s1, -1
	s_add_u32 s0, s33, s18
	s_addc_u32 s1, s42, s19
	s_load_dwordx2 s[12:13], s[0:1], 0x8
	s_load_dword s43, s[4:5], 0x1c0
	s_load_dwordx2 s[16:17], s[0:1], 0x6c
	s_mul_i32 s3, s3, s2
	v_cmp_gt_i64_e64 s[14:15], s[20:21], 2
	s_waitcnt lgkmcnt(0)
	s_ashr_i32 s44, s12, 31
	v_cvt_f32_u32_e32 v3, s43
	s_ashr_i32 s45, s43, 31
	s_add_u32 s46, s4, 0x6c
	s_addc_u32 s47, s5, 0
	s_add_u32 s0, s46, s18
	v_rcp_iflag_f32_e32 v3, v3
	s_addc_u32 s1, s47, s19
	s_load_dwordx2 s[18:19], s[0:1], 0x0
	s_add_i32 s48, s20, -3
	s_load_dwordx2 s[4:5], s[4:5], 0x0
	s_lshl_b32 s49, s3, 1
	s_and_b32 s51, s20, 3
	v_mul_f32_e32 v3, 0x4f7ffffe, v3
	s_cmp_lg_u32 s51, 2
	v_cvt_u32_f32_e32 v22, v3
	s_cselect_b64 s[22:23], -1, 0
	s_cmp_gt_u32 s48, 2
	s_mov_b32 s21, 0
	s_cselect_b64 s[24:25], -1, 0
	s_ashr_i32 s1, s17, 31
	s_mov_b32 s0, s17
	s_waitcnt lgkmcnt(0)
	s_ashr_i32 s3, s19, 31
	s_mov_b32 s2, s19
	s_mov_b32 s50, s21
	s_lshl_b64 s[28:29], s[0:1], 2
	s_mov_b32 s52, 0xffff0000
	s_lshl_b64 s[30:31], s[2:3], 2
	s_branch .LBB89_3
.LBB89_2:                               ;   in Loop: Header=BB89_3 Depth=1
	s_or_b64 exec, exec, s[0:1]
	v_mov_b32_e32 v3, s50
	v_add_co_u32_e32 v0, vcc, s49, v0
	v_addc_co_u32_e32 v1, vcc, v1, v3, vcc
	v_cmp_le_i64_e32 vcc, s[10:11], v[0:1]
	s_or_b64 s[26:27], vcc, s[26:27]
	s_andn2_b64 exec, exec, s[26:27]
	s_cbranch_execz .LBB89_52
.LBB89_3:                               ; =>This Loop Header: Depth=1
                                        ;     Child Loop BB89_37 Depth 2
                                        ;     Child Loop BB89_18 Depth 2
	v_or_b32_e32 v3, s45, v1
	v_cmp_ne_u64_e32 vcc, 0, v[2:3]
                                        ; implicit-def: $vgpr4_vgpr5
                                        ; implicit-def: $vgpr14_vgpr15
	s_and_saveexec_b64 s[0:1], vcc
	s_xor_b64 s[34:35], exec, s[0:1]
	s_cbranch_execz .LBB89_5
; %bb.4:                                ;   in Loop: Header=BB89_3 Depth=1
	s_add_u32 s0, s43, s45
	s_mov_b32 s2, s45
	s_mov_b32 s3, s45
	s_addc_u32 s1, s45, s45
	s_xor_b64 s[36:37], s[0:1], s[2:3]
	v_cvt_f32_u32_e32 v3, s36
	v_cvt_f32_u32_e32 v4, s37
	s_sub_u32 s0, 0, s36
	s_subb_u32 s1, 0, s37
	v_mac_f32_e32 v3, 0x4f800000, v4
	v_rcp_f32_e32 v3, v3
	v_mul_f32_e32 v3, 0x5f7ffffc, v3
	v_mul_f32_e32 v4, 0x2f800000, v3
	v_trunc_f32_e32 v4, v4
	v_mac_f32_e32 v3, 0xcf800000, v4
	v_cvt_u32_f32_e32 v4, v4
	v_cvt_u32_f32_e32 v3, v3
	v_mul_lo_u32 v5, s0, v4
	v_mul_hi_u32 v7, s0, v3
	v_mul_lo_u32 v6, s1, v3
	v_add_u32_e32 v5, v7, v5
	v_mul_lo_u32 v8, s0, v3
	v_add_u32_e32 v5, v5, v6
	v_mul_lo_u32 v7, v3, v5
	v_mul_hi_u32 v9, v3, v8
	v_mul_hi_u32 v6, v3, v5
	v_add_co_u32_e32 v7, vcc, v9, v7
	v_addc_co_u32_e32 v6, vcc, 0, v6, vcc
	v_mul_hi_u32 v10, v4, v8
	v_mul_lo_u32 v8, v4, v8
	v_add_co_u32_e32 v7, vcc, v7, v8
	v_mul_hi_u32 v9, v4, v5
	v_addc_co_u32_e32 v6, vcc, v6, v10, vcc
	v_addc_co_u32_e32 v7, vcc, 0, v9, vcc
	v_mul_lo_u32 v5, v4, v5
	v_add_co_u32_e32 v5, vcc, v6, v5
	v_addc_co_u32_e32 v6, vcc, 0, v7, vcc
	v_add_co_u32_e32 v3, vcc, v3, v5
	v_addc_co_u32_e32 v4, vcc, v4, v6, vcc
	v_mul_lo_u32 v5, s0, v4
	v_mul_hi_u32 v6, s0, v3
	v_add_u32_e32 v5, v6, v5
	v_mul_lo_u32 v6, s1, v3
	v_add_u32_e32 v5, v5, v6
	v_mul_lo_u32 v7, s0, v3
	v_mul_hi_u32 v8, v4, v7
	v_mul_lo_u32 v9, v4, v7
	v_mul_lo_u32 v11, v3, v5
	v_mul_hi_u32 v7, v3, v7
	v_mul_hi_u32 v10, v3, v5
	v_add_co_u32_e32 v7, vcc, v7, v11
	v_addc_co_u32_e32 v10, vcc, 0, v10, vcc
	v_add_co_u32_e32 v7, vcc, v7, v9
	v_mul_hi_u32 v6, v4, v5
	v_addc_co_u32_e32 v7, vcc, v10, v8, vcc
	v_addc_co_u32_e32 v6, vcc, 0, v6, vcc
	v_mul_lo_u32 v5, v4, v5
	v_add_co_u32_e32 v5, vcc, v7, v5
	v_addc_co_u32_e32 v6, vcc, 0, v6, vcc
	v_add_co_u32_e32 v3, vcc, v3, v5
	v_addc_co_u32_e32 v6, vcc, v4, v6, vcc
	v_ashrrev_i32_e32 v8, 31, v1
	v_add_co_u32_e32 v4, vcc, v0, v8
	v_addc_co_u32_e32 v5, vcc, v1, v8, vcc
	v_xor_b32_e32 v10, v4, v8
	v_xor_b32_e32 v9, v5, v8
	v_mad_u64_u32 v[4:5], s[0:1], v10, v6, 0
	v_mul_hi_u32 v7, v10, v3
	v_add_co_u32_e32 v11, vcc, v7, v4
	v_addc_co_u32_e32 v12, vcc, 0, v5, vcc
	v_mad_u64_u32 v[4:5], s[0:1], v9, v6, 0
	v_mad_u64_u32 v[6:7], s[0:1], v9, v3, 0
	v_add_co_u32_e32 v3, vcc, v11, v6
	v_addc_co_u32_e32 v3, vcc, v12, v7, vcc
	v_addc_co_u32_e32 v5, vcc, 0, v5, vcc
	v_add_co_u32_e32 v3, vcc, v3, v4
	v_addc_co_u32_e32 v6, vcc, 0, v5, vcc
	v_mul_lo_u32 v7, s37, v3
	v_mul_lo_u32 v11, s36, v6
	v_mad_u64_u32 v[4:5], s[0:1], s36, v3, 0
	v_add3_u32 v5, v5, v11, v7
	v_sub_u32_e32 v7, v9, v5
	v_mov_b32_e32 v11, s37
	v_sub_co_u32_e32 v4, vcc, v10, v4
	v_subb_co_u32_e64 v7, s[0:1], v7, v11, vcc
	v_subrev_co_u32_e64 v10, s[0:1], s36, v4
	v_subbrev_co_u32_e64 v7, s[0:1], 0, v7, s[0:1]
	v_cmp_le_u32_e64 s[0:1], s37, v7
	v_cndmask_b32_e64 v11, 0, -1, s[0:1]
	v_cmp_le_u32_e64 s[0:1], s36, v10
	v_cndmask_b32_e64 v12, 0, -1, s[0:1]
	v_cmp_eq_u32_e64 s[0:1], s37, v7
	v_cndmask_b32_e64 v7, v11, v12, s[0:1]
	v_add_co_u32_e64 v11, s[0:1], 2, v3
	v_addc_co_u32_e64 v12, s[0:1], 0, v6, s[0:1]
	v_add_co_u32_e64 v13, s[0:1], 1, v3
	v_subb_co_u32_e32 v5, vcc, v9, v5, vcc
	v_addc_co_u32_e64 v14, s[0:1], 0, v6, s[0:1]
	v_cmp_le_u32_e32 vcc, s37, v5
	v_cmp_ne_u32_e64 s[0:1], 0, v7
	v_cndmask_b32_e64 v9, 0, -1, vcc
	v_cmp_le_u32_e32 vcc, s36, v4
	v_cndmask_b32_e64 v7, v14, v12, s[0:1]
	v_cndmask_b32_e64 v12, 0, -1, vcc
	v_cmp_eq_u32_e32 vcc, s37, v5
	v_cndmask_b32_e32 v5, v9, v12, vcc
	v_cmp_ne_u32_e32 vcc, 0, v5
	v_cndmask_b32_e32 v5, v6, v7, vcc
	v_cndmask_b32_e64 v6, v13, v11, s[0:1]
	v_cndmask_b32_e32 v3, v3, v6, vcc
	v_xor_b32_e32 v7, s2, v8
	v_xor_b32_e32 v6, s3, v8
	;; [unrolled: 1-line block ×4, first 2 shown]
	v_sub_co_u32_e64 v14, s[2:3], v3, v7
	v_subb_co_u32_e64 v15, s[2:3], v5, v6, s[2:3]
	v_subrev_co_u32_e64 v3, s[2:3], s36, v10
	v_cndmask_b32_e64 v3, v10, v3, s[0:1]
	v_cndmask_b32_e32 v3, v4, v3, vcc
	v_xor_b32_e32 v3, v3, v8
	v_sub_co_u32_e32 v4, vcc, v3, v8
.LBB89_5:                               ;   in Loop: Header=BB89_3 Depth=1
	s_andn2_saveexec_b64 s[2:3], s[34:35]
	s_cbranch_execz .LBB89_7
; %bb.6:                                ;   in Loop: Header=BB89_3 Depth=1
	s_sub_i32 s0, 0, s43
	v_mul_lo_u32 v3, s0, v22
	v_mul_hi_u32 v3, v22, v3
	v_add_u32_e32 v3, v22, v3
	v_mul_hi_u32 v3, v0, v3
	v_mul_lo_u32 v4, v3, s43
	v_sub_u32_e32 v4, v0, v4
	v_subrev_u32_e32 v5, s43, v4
	v_cmp_le_u32_e32 vcc, s43, v4
	v_cndmask_b32_e32 v4, v4, v5, vcc
	v_subrev_u32_e32 v5, s43, v4
	v_cmp_le_u32_e64 s[0:1], s43, v4
	v_cndmask_b32_e64 v4, v4, v5, s[0:1]
	v_add_u32_e32 v5, 1, v3
	v_cndmask_b32_e32 v3, v3, v5, vcc
	v_add_u32_e32 v5, 1, v3
	v_cndmask_b32_e64 v14, v3, v5, s[0:1]
	v_mov_b32_e32 v15, v2
.LBB89_7:                               ;   in Loop: Header=BB89_3 Depth=1
	s_or_b64 exec, exec, s[2:3]
	v_or_b32_e32 v3, s44, v15
	v_cmp_ne_u64_e32 vcc, 0, v[2:3]
                                        ; implicit-def: $vgpr8_vgpr9
	s_and_saveexec_b64 s[0:1], vcc
	s_xor_b64 s[2:3], exec, s[0:1]
	s_cbranch_execz .LBB89_9
; %bb.8:                                ;   in Loop: Header=BB89_3 Depth=1
	s_add_u32 s34, s12, s44
	s_mov_b32 s0, s44
	s_mov_b32 s1, s44
	s_addc_u32 s35, s44, s44
	s_xor_b64 s[34:35], s[34:35], s[0:1]
	v_cvt_f32_u32_e32 v5, s34
	v_cvt_f32_u32_e32 v6, s35
	s_sub_u32 s0, 0, s34
	s_subb_u32 s1, 0, s35
	v_mac_f32_e32 v5, 0x4f800000, v6
	v_rcp_f32_e32 v5, v5
	v_mul_f32_e32 v5, 0x5f7ffffc, v5
	v_mul_f32_e32 v6, 0x2f800000, v5
	v_trunc_f32_e32 v6, v6
	v_mac_f32_e32 v5, 0xcf800000, v6
	v_cvt_u32_f32_e32 v6, v6
	v_cvt_u32_f32_e32 v5, v5
	v_mul_lo_u32 v7, s0, v6
	v_mul_hi_u32 v9, s0, v5
	v_mul_lo_u32 v8, s1, v5
	v_add_u32_e32 v7, v9, v7
	v_mul_lo_u32 v10, s0, v5
	v_add_u32_e32 v7, v7, v8
	v_mul_lo_u32 v9, v5, v7
	v_mul_hi_u32 v11, v5, v10
	v_mul_hi_u32 v8, v5, v7
	v_add_co_u32_e32 v9, vcc, v11, v9
	v_addc_co_u32_e32 v8, vcc, 0, v8, vcc
	v_mul_hi_u32 v12, v6, v10
	v_mul_lo_u32 v10, v6, v10
	v_add_co_u32_e32 v9, vcc, v9, v10
	v_mul_hi_u32 v11, v6, v7
	v_addc_co_u32_e32 v8, vcc, v8, v12, vcc
	v_addc_co_u32_e32 v9, vcc, 0, v11, vcc
	v_mul_lo_u32 v7, v6, v7
	v_add_co_u32_e32 v7, vcc, v8, v7
	v_addc_co_u32_e32 v8, vcc, 0, v9, vcc
	v_add_co_u32_e32 v5, vcc, v5, v7
	v_addc_co_u32_e32 v6, vcc, v6, v8, vcc
	v_mul_lo_u32 v7, s0, v6
	v_mul_hi_u32 v8, s0, v5
	v_add_u32_e32 v7, v8, v7
	v_mul_lo_u32 v8, s1, v5
	v_add_u32_e32 v7, v7, v8
	v_mul_lo_u32 v9, s0, v5
	v_mul_hi_u32 v10, v6, v9
	v_mul_lo_u32 v11, v6, v9
	v_mul_lo_u32 v13, v5, v7
	v_mul_hi_u32 v9, v5, v9
	v_mul_hi_u32 v12, v5, v7
	v_add_co_u32_e32 v9, vcc, v9, v13
	v_addc_co_u32_e32 v12, vcc, 0, v12, vcc
	v_add_co_u32_e32 v9, vcc, v9, v11
	v_mul_hi_u32 v8, v6, v7
	v_addc_co_u32_e32 v9, vcc, v12, v10, vcc
	v_addc_co_u32_e32 v8, vcc, 0, v8, vcc
	v_mul_lo_u32 v7, v6, v7
	v_add_co_u32_e32 v7, vcc, v9, v7
	v_addc_co_u32_e32 v8, vcc, 0, v8, vcc
	v_add_co_u32_e32 v5, vcc, v5, v7
	v_addc_co_u32_e32 v8, vcc, v6, v8, vcc
	v_ashrrev_i32_e32 v10, 31, v15
	v_add_co_u32_e32 v6, vcc, v14, v10
	v_addc_co_u32_e32 v7, vcc, v15, v10, vcc
	v_xor_b32_e32 v12, v6, v10
	v_xor_b32_e32 v11, v7, v10
	v_mad_u64_u32 v[6:7], s[0:1], v12, v8, 0
	v_mul_hi_u32 v9, v12, v5
	v_add_co_u32_e32 v13, vcc, v9, v6
	v_addc_co_u32_e32 v16, vcc, 0, v7, vcc
	v_mad_u64_u32 v[6:7], s[0:1], v11, v8, 0
	v_mad_u64_u32 v[8:9], s[0:1], v11, v5, 0
	v_add_co_u32_e32 v5, vcc, v13, v8
	v_addc_co_u32_e32 v5, vcc, v16, v9, vcc
	v_addc_co_u32_e32 v7, vcc, 0, v7, vcc
	v_add_co_u32_e32 v5, vcc, v5, v6
	v_addc_co_u32_e32 v6, vcc, 0, v7, vcc
	v_mul_lo_u32 v8, s35, v5
	v_mul_lo_u32 v9, s34, v6
	v_mad_u64_u32 v[6:7], s[0:1], s34, v5, 0
	v_add3_u32 v5, v7, v9, v8
	v_sub_u32_e32 v7, v11, v5
	v_mov_b32_e32 v8, s35
	v_sub_co_u32_e32 v6, vcc, v12, v6
	v_subb_co_u32_e64 v7, s[0:1], v7, v8, vcc
	v_subrev_co_u32_e64 v8, s[0:1], s34, v6
	v_subbrev_co_u32_e64 v7, s[0:1], 0, v7, s[0:1]
	v_cmp_le_u32_e64 s[0:1], s35, v7
	v_subb_co_u32_e32 v5, vcc, v11, v5, vcc
	v_cndmask_b32_e64 v9, 0, -1, s[0:1]
	v_cmp_le_u32_e64 s[0:1], s34, v8
	v_cmp_le_u32_e32 vcc, s35, v5
	v_cndmask_b32_e64 v12, 0, -1, s[0:1]
	v_cmp_eq_u32_e64 s[0:1], s35, v7
	v_cndmask_b32_e64 v11, 0, -1, vcc
	v_cmp_le_u32_e32 vcc, s34, v6
	v_cndmask_b32_e64 v7, v9, v12, s[0:1]
	v_cndmask_b32_e64 v12, 0, -1, vcc
	v_cmp_eq_u32_e32 vcc, s35, v5
	v_subrev_co_u32_e64 v9, s[0:1], s34, v8
	v_cndmask_b32_e32 v5, v11, v12, vcc
	v_cmp_ne_u32_e32 vcc, 0, v7
	v_cndmask_b32_e32 v7, v8, v9, vcc
	v_cmp_ne_u32_e32 vcc, 0, v5
	v_cndmask_b32_e32 v5, v6, v7, vcc
	v_xor_b32_e32 v5, v5, v10
	v_sub_co_u32_e32 v8, vcc, v5, v10
.LBB89_9:                               ;   in Loop: Header=BB89_3 Depth=1
	s_andn2_saveexec_b64 s[0:1], s[2:3]
	s_cbranch_execz .LBB89_11
; %bb.10:                               ;   in Loop: Header=BB89_3 Depth=1
	v_cvt_f32_u32_e32 v5, s12
	s_sub_i32 s2, 0, s12
	v_rcp_iflag_f32_e32 v5, v5
	v_mul_f32_e32 v5, 0x4f7ffffe, v5
	v_cvt_u32_f32_e32 v5, v5
	v_mul_lo_u32 v6, s2, v5
	v_mul_hi_u32 v6, v5, v6
	v_add_u32_e32 v5, v5, v6
	v_mul_hi_u32 v5, v14, v5
	v_mul_lo_u32 v5, v5, s12
	v_sub_u32_e32 v5, v14, v5
	v_subrev_u32_e32 v6, s12, v5
	v_cmp_le_u32_e32 vcc, s12, v5
	v_cndmask_b32_e32 v5, v5, v6, vcc
	v_subrev_u32_e32 v6, s12, v5
	v_cmp_le_u32_e32 vcc, s12, v5
	v_cndmask_b32_e32 v8, v5, v6, vcc
.LBB89_11:                              ;   in Loop: Header=BB89_3 Depth=1
	s_or_b64 exec, exec, s[0:1]
	v_mul_lo_u32 v6, s17, v4
	v_mad_u64_u32 v[10:11], s[0:1], s16, v8, v[6:7]
	v_mul_lo_u32 v6, s19, v4
	s_andn2_b64 vcc, exec, s[14:15]
	v_mad_u64_u32 v[6:7], s[0:1], s18, v8, v[6:7]
	s_cbranch_vccnz .LBB89_41
; %bb.12:                               ;   in Loop: Header=BB89_3 Depth=1
	v_cmp_ne_u64_e32 vcc, 0, v[2:3]
                                        ; implicit-def: $vgpr12_vgpr13
	s_and_saveexec_b64 s[0:1], vcc
	s_xor_b64 s[2:3], exec, s[0:1]
	s_cbranch_execz .LBB89_14
; %bb.13:                               ;   in Loop: Header=BB89_3 Depth=1
	s_add_u32 s0, s12, s44
	s_mov_b32 s34, s44
	s_mov_b32 s35, s44
	s_addc_u32 s1, s44, s44
	s_xor_b64 s[36:37], s[0:1], s[34:35]
	v_cvt_f32_u32_e32 v3, s36
	v_cvt_f32_u32_e32 v5, s37
	s_sub_u32 s0, 0, s36
	s_subb_u32 s1, 0, s37
	v_mac_f32_e32 v3, 0x4f800000, v5
	v_rcp_f32_e32 v3, v3
	v_mul_f32_e32 v3, 0x5f7ffffc, v3
	v_mul_f32_e32 v5, 0x2f800000, v3
	v_trunc_f32_e32 v5, v5
	v_mac_f32_e32 v3, 0xcf800000, v5
	v_cvt_u32_f32_e32 v5, v5
	v_cvt_u32_f32_e32 v3, v3
	v_mul_lo_u32 v7, s0, v5
	v_mul_hi_u32 v11, s0, v3
	v_mul_lo_u32 v9, s1, v3
	v_add_u32_e32 v7, v11, v7
	v_mul_lo_u32 v12, s0, v3
	v_add_u32_e32 v7, v7, v9
	v_mul_lo_u32 v11, v3, v7
	v_mul_hi_u32 v13, v3, v12
	v_mul_hi_u32 v9, v3, v7
	v_add_co_u32_e32 v11, vcc, v13, v11
	v_addc_co_u32_e32 v9, vcc, 0, v9, vcc
	v_mul_hi_u32 v16, v5, v12
	v_mul_lo_u32 v12, v5, v12
	v_add_co_u32_e32 v11, vcc, v11, v12
	v_mul_hi_u32 v13, v5, v7
	v_addc_co_u32_e32 v9, vcc, v9, v16, vcc
	v_addc_co_u32_e32 v11, vcc, 0, v13, vcc
	v_mul_lo_u32 v7, v5, v7
	v_add_co_u32_e32 v7, vcc, v9, v7
	v_addc_co_u32_e32 v9, vcc, 0, v11, vcc
	v_add_co_u32_e32 v3, vcc, v3, v7
	v_addc_co_u32_e32 v5, vcc, v5, v9, vcc
	v_mul_lo_u32 v7, s0, v5
	v_mul_hi_u32 v9, s0, v3
	v_add_u32_e32 v7, v9, v7
	v_mul_lo_u32 v9, s1, v3
	v_add_u32_e32 v7, v7, v9
	v_mul_lo_u32 v11, s0, v3
	v_mul_hi_u32 v12, v5, v11
	v_mul_lo_u32 v13, v5, v11
	v_mul_lo_u32 v17, v3, v7
	v_mul_hi_u32 v11, v3, v11
	v_mul_hi_u32 v16, v3, v7
	v_add_co_u32_e32 v11, vcc, v11, v17
	v_addc_co_u32_e32 v16, vcc, 0, v16, vcc
	v_add_co_u32_e32 v11, vcc, v11, v13
	v_mul_hi_u32 v9, v5, v7
	v_addc_co_u32_e32 v11, vcc, v16, v12, vcc
	v_addc_co_u32_e32 v9, vcc, 0, v9, vcc
	v_mul_lo_u32 v7, v5, v7
	v_add_co_u32_e32 v7, vcc, v11, v7
	v_addc_co_u32_e32 v9, vcc, 0, v9, vcc
	v_add_co_u32_e32 v3, vcc, v3, v7
	v_addc_co_u32_e32 v5, vcc, v5, v9, vcc
	v_ashrrev_i32_e32 v7, 31, v15
	v_add_co_u32_e32 v9, vcc, v14, v7
	v_xor_b32_e32 v9, v9, v7
	v_addc_co_u32_e32 v11, vcc, v15, v7, vcc
	v_mad_u64_u32 v[12:13], s[0:1], v9, v5, 0
	v_mul_hi_u32 v14, v9, v3
	v_xor_b32_e32 v11, v11, v7
	v_add_co_u32_e32 v16, vcc, v14, v12
	v_addc_co_u32_e32 v17, vcc, 0, v13, vcc
	v_mad_u64_u32 v[14:15], s[0:1], v11, v3, 0
	v_add_co_u32_e32 v3, vcc, v16, v14
	v_mad_u64_u32 v[12:13], s[0:1], v11, v5, 0
	v_addc_co_u32_e32 v3, vcc, v17, v15, vcc
	v_addc_co_u32_e32 v5, vcc, 0, v13, vcc
	v_add_co_u32_e32 v3, vcc, v3, v12
	v_addc_co_u32_e32 v5, vcc, 0, v5, vcc
	v_mul_lo_u32 v14, s37, v3
	v_mul_lo_u32 v15, s36, v5
	v_mad_u64_u32 v[12:13], s[0:1], s36, v3, 0
	v_add3_u32 v13, v13, v15, v14
	v_sub_u32_e32 v14, v11, v13
	v_mov_b32_e32 v15, s37
	v_sub_co_u32_e32 v9, vcc, v9, v12
	v_subb_co_u32_e64 v12, s[0:1], v14, v15, vcc
	v_subrev_co_u32_e64 v14, s[0:1], s36, v9
	v_subbrev_co_u32_e64 v12, s[0:1], 0, v12, s[0:1]
	v_cmp_le_u32_e64 s[0:1], s37, v12
	v_cndmask_b32_e64 v15, 0, -1, s[0:1]
	v_cmp_le_u32_e64 s[0:1], s36, v14
	v_cndmask_b32_e64 v14, 0, -1, s[0:1]
	v_cmp_eq_u32_e64 s[0:1], s37, v12
	v_cndmask_b32_e64 v12, v15, v14, s[0:1]
	v_add_co_u32_e64 v14, s[0:1], 2, v3
	v_subb_co_u32_e32 v11, vcc, v11, v13, vcc
	v_addc_co_u32_e64 v15, s[0:1], 0, v5, s[0:1]
	v_cmp_le_u32_e32 vcc, s37, v11
	v_add_co_u32_e64 v16, s[0:1], 1, v3
	v_cndmask_b32_e64 v13, 0, -1, vcc
	v_cmp_le_u32_e32 vcc, s36, v9
	v_addc_co_u32_e64 v17, s[0:1], 0, v5, s[0:1]
	v_cndmask_b32_e64 v9, 0, -1, vcc
	v_cmp_eq_u32_e32 vcc, s37, v11
	v_cmp_ne_u32_e64 s[0:1], 0, v12
	v_cndmask_b32_e32 v9, v13, v9, vcc
	v_cmp_ne_u32_e32 vcc, 0, v9
	v_cndmask_b32_e64 v9, v16, v14, s[0:1]
	v_cndmask_b32_e64 v12, v17, v15, s[0:1]
	v_cndmask_b32_e32 v3, v3, v9, vcc
	v_xor_b32_e32 v9, s35, v7
	v_xor_b32_e32 v7, s34, v7
	v_cndmask_b32_e32 v5, v5, v12, vcc
	v_xor_b32_e32 v3, v3, v7
	v_xor_b32_e32 v5, v5, v9
	v_sub_co_u32_e32 v12, vcc, v3, v7
	v_subb_co_u32_e32 v13, vcc, v5, v9, vcc
                                        ; implicit-def: $vgpr14_vgpr15
.LBB89_14:                              ;   in Loop: Header=BB89_3 Depth=1
	s_andn2_saveexec_b64 s[0:1], s[2:3]
	s_cbranch_execz .LBB89_16
; %bb.15:                               ;   in Loop: Header=BB89_3 Depth=1
	v_cvt_f32_u32_e32 v3, s12
	s_sub_i32 s2, 0, s12
	v_mov_b32_e32 v13, v2
	v_rcp_iflag_f32_e32 v3, v3
	v_mul_f32_e32 v3, 0x4f7ffffe, v3
	v_cvt_u32_f32_e32 v3, v3
	v_mul_lo_u32 v5, s2, v3
	v_mul_hi_u32 v5, v3, v5
	v_add_u32_e32 v3, v3, v5
	v_mul_hi_u32 v3, v14, v3
	v_mul_lo_u32 v5, v3, s12
	v_sub_u32_e32 v5, v14, v5
	v_add_u32_e32 v7, 1, v3
	v_subrev_u32_e32 v9, s12, v5
	v_cmp_le_u32_e32 vcc, s12, v5
	v_cndmask_b32_e32 v5, v5, v9, vcc
	v_cndmask_b32_e32 v3, v3, v7, vcc
	v_add_u32_e32 v7, 1, v3
	v_cmp_le_u32_e32 vcc, s12, v5
	v_cndmask_b32_e32 v12, v3, v7, vcc
.LBB89_16:                              ;   in Loop: Header=BB89_3 Depth=1
	s_or_b64 exec, exec, s[0:1]
	s_andn2_b64 vcc, exec, s[22:23]
	s_mov_b32 s53, 1
	s_mov_b32 s20, s48
	s_cbranch_vccz .LBB89_37
.LBB89_17:                              ;   in Loop: Header=BB89_3 Depth=1
	s_and_b64 vcc, exec, s[24:25]
	s_cbranch_vccz .LBB89_41
.LBB89_18:                              ;   Parent Loop BB89_3 Depth=1
                                        ; =>  This Inner Loop Header: Depth=2
	s_lshl_b64 s[2:3], s[20:21], 2
	s_add_u32 s34, s33, s2
	s_addc_u32 s35, s42, s3
	s_load_dword s53, s[34:35], 0x8
                                        ; implicit-def: $vgpr14_vgpr15
	s_waitcnt lgkmcnt(0)
	s_ashr_i32 s0, s53, 31
	v_or_b32_e32 v3, s0, v13
	v_cmp_ne_u64_e32 vcc, 0, v[2:3]
	s_and_saveexec_b64 s[36:37], vcc
	s_xor_b64 s[36:37], exec, s[36:37]
	s_cbranch_execz .LBB89_20
; %bb.19:                               ;   in Loop: Header=BB89_18 Depth=2
	s_add_u32 s40, s53, s0
	s_mov_b32 s38, s0
	s_mov_b32 s39, s0
	s_addc_u32 s41, s0, s0
	s_xor_b64 s[40:41], s[40:41], s[38:39]
	v_cvt_f32_u32_e32 v3, s40
	v_cvt_f32_u32_e32 v5, s41
	s_sub_u32 s0, 0, s40
	s_subb_u32 s1, 0, s41
	v_mac_f32_e32 v3, 0x4f800000, v5
	v_rcp_f32_e32 v3, v3
	v_mul_f32_e32 v3, 0x5f7ffffc, v3
	v_mul_f32_e32 v5, 0x2f800000, v3
	v_trunc_f32_e32 v5, v5
	v_mac_f32_e32 v3, 0xcf800000, v5
	v_cvt_u32_f32_e32 v5, v5
	v_cvt_u32_f32_e32 v3, v3
	v_mul_lo_u32 v7, s0, v5
	v_mul_hi_u32 v11, s0, v3
	v_mul_lo_u32 v9, s1, v3
	v_add_u32_e32 v7, v11, v7
	v_mul_lo_u32 v14, s0, v3
	v_add_u32_e32 v7, v7, v9
	v_mul_lo_u32 v11, v3, v7
	v_mul_hi_u32 v15, v3, v14
	v_mul_hi_u32 v9, v3, v7
	v_add_co_u32_e32 v11, vcc, v15, v11
	v_addc_co_u32_e32 v9, vcc, 0, v9, vcc
	v_mul_hi_u32 v16, v5, v14
	v_mul_lo_u32 v14, v5, v14
	v_add_co_u32_e32 v11, vcc, v11, v14
	v_mul_hi_u32 v15, v5, v7
	v_addc_co_u32_e32 v9, vcc, v9, v16, vcc
	v_addc_co_u32_e32 v11, vcc, 0, v15, vcc
	v_mul_lo_u32 v7, v5, v7
	v_add_co_u32_e32 v7, vcc, v9, v7
	v_addc_co_u32_e32 v9, vcc, 0, v11, vcc
	v_add_co_u32_e32 v3, vcc, v3, v7
	v_addc_co_u32_e32 v5, vcc, v5, v9, vcc
	v_mul_lo_u32 v7, s0, v5
	v_mul_hi_u32 v9, s0, v3
	v_add_u32_e32 v7, v9, v7
	v_mul_lo_u32 v9, s1, v3
	v_add_u32_e32 v7, v7, v9
	v_mul_lo_u32 v11, s0, v3
	v_mul_hi_u32 v14, v5, v11
	v_mul_lo_u32 v15, v5, v11
	v_mul_lo_u32 v17, v3, v7
	v_mul_hi_u32 v11, v3, v11
	v_mul_hi_u32 v16, v3, v7
	v_add_co_u32_e32 v11, vcc, v11, v17
	v_addc_co_u32_e32 v16, vcc, 0, v16, vcc
	v_add_co_u32_e32 v11, vcc, v11, v15
	v_mul_hi_u32 v9, v5, v7
	v_addc_co_u32_e32 v11, vcc, v16, v14, vcc
	v_addc_co_u32_e32 v9, vcc, 0, v9, vcc
	v_mul_lo_u32 v7, v5, v7
	v_add_co_u32_e32 v7, vcc, v11, v7
	v_addc_co_u32_e32 v9, vcc, 0, v9, vcc
	v_add_co_u32_e32 v3, vcc, v3, v7
	v_addc_co_u32_e32 v5, vcc, v5, v9, vcc
	v_ashrrev_i32_e32 v7, 31, v13
	v_add_co_u32_e32 v9, vcc, v12, v7
	v_xor_b32_e32 v9, v9, v7
	v_addc_co_u32_e32 v11, vcc, v13, v7, vcc
	v_mad_u64_u32 v[14:15], s[0:1], v9, v5, 0
	v_mul_hi_u32 v13, v9, v3
	v_xor_b32_e32 v11, v11, v7
	v_add_co_u32_e32 v13, vcc, v13, v14
	v_addc_co_u32_e32 v18, vcc, 0, v15, vcc
	v_mad_u64_u32 v[16:17], s[0:1], v11, v3, 0
	v_add_co_u32_e32 v3, vcc, v13, v16
	v_mad_u64_u32 v[14:15], s[0:1], v11, v5, 0
	v_addc_co_u32_e32 v3, vcc, v18, v17, vcc
	v_addc_co_u32_e32 v5, vcc, 0, v15, vcc
	v_add_co_u32_e32 v3, vcc, v3, v14
	v_addc_co_u32_e32 v5, vcc, 0, v5, vcc
	v_mul_lo_u32 v13, s41, v3
	v_mul_lo_u32 v16, s40, v5
	v_mad_u64_u32 v[14:15], s[0:1], s40, v3, 0
	v_add3_u32 v13, v15, v16, v13
	v_sub_u32_e32 v15, v11, v13
	v_mov_b32_e32 v16, s41
	v_sub_co_u32_e32 v9, vcc, v9, v14
	v_subb_co_u32_e64 v14, s[0:1], v15, v16, vcc
	v_subrev_co_u32_e64 v15, s[0:1], s40, v9
	v_subbrev_co_u32_e64 v14, s[0:1], 0, v14, s[0:1]
	v_cmp_le_u32_e64 s[0:1], s41, v14
	v_cndmask_b32_e64 v16, 0, -1, s[0:1]
	v_cmp_le_u32_e64 s[0:1], s40, v15
	v_cndmask_b32_e64 v15, 0, -1, s[0:1]
	v_cmp_eq_u32_e64 s[0:1], s41, v14
	v_cndmask_b32_e64 v14, v16, v15, s[0:1]
	v_add_co_u32_e64 v15, s[0:1], 2, v3
	v_subb_co_u32_e32 v11, vcc, v11, v13, vcc
	v_addc_co_u32_e64 v16, s[0:1], 0, v5, s[0:1]
	v_cmp_le_u32_e32 vcc, s41, v11
	v_add_co_u32_e64 v17, s[0:1], 1, v3
	v_cndmask_b32_e64 v13, 0, -1, vcc
	v_cmp_le_u32_e32 vcc, s40, v9
	v_addc_co_u32_e64 v18, s[0:1], 0, v5, s[0:1]
	v_cndmask_b32_e64 v9, 0, -1, vcc
	v_cmp_eq_u32_e32 vcc, s41, v11
	v_cmp_ne_u32_e64 s[0:1], 0, v14
	v_cndmask_b32_e32 v9, v13, v9, vcc
	v_cmp_ne_u32_e32 vcc, 0, v9
	v_cndmask_b32_e64 v9, v17, v15, s[0:1]
	v_cndmask_b32_e64 v14, v18, v16, s[0:1]
	v_cndmask_b32_e32 v3, v3, v9, vcc
	v_xor_b32_e32 v9, s39, v7
	v_xor_b32_e32 v7, s38, v7
	v_cndmask_b32_e32 v5, v5, v14, vcc
	v_xor_b32_e32 v3, v3, v7
	v_xor_b32_e32 v5, v5, v9
	v_sub_co_u32_e32 v14, vcc, v3, v7
	v_subb_co_u32_e32 v15, vcc, v5, v9, vcc
.LBB89_20:                              ;   in Loop: Header=BB89_18 Depth=2
	s_andn2_saveexec_b64 s[0:1], s[36:37]
	s_cbranch_execz .LBB89_22
; %bb.21:                               ;   in Loop: Header=BB89_18 Depth=2
	v_cvt_f32_u32_e32 v3, s53
	s_sub_i32 s36, 0, s53
	v_mov_b32_e32 v15, v2
	v_rcp_iflag_f32_e32 v3, v3
	v_mul_f32_e32 v3, 0x4f7ffffe, v3
	v_cvt_u32_f32_e32 v3, v3
	v_mul_lo_u32 v5, s36, v3
	v_mul_hi_u32 v5, v3, v5
	v_add_u32_e32 v3, v3, v5
	v_mul_hi_u32 v3, v12, v3
	v_mul_lo_u32 v5, v3, s53
	v_sub_u32_e32 v5, v12, v5
	v_add_u32_e32 v7, 1, v3
	v_subrev_u32_e32 v9, s53, v5
	v_cmp_le_u32_e32 vcc, s53, v5
	v_cndmask_b32_e32 v5, v5, v9, vcc
	v_cndmask_b32_e32 v3, v3, v7, vcc
	v_add_u32_e32 v7, 1, v3
	v_cmp_le_u32_e32 vcc, s53, v5
	v_cndmask_b32_e32 v14, v3, v7, vcc
.LBB89_22:                              ;   in Loop: Header=BB89_18 Depth=2
	s_or_b64 exec, exec, s[0:1]
	s_add_u32 s0, s46, s2
	s_addc_u32 s1, s47, s3
	s_add_i32 s2, s20, -1
	s_mov_b32 s3, s21
	s_lshl_b64 s[36:37], s[2:3], 2
	s_add_u32 s2, s33, s36
	s_addc_u32 s3, s42, s37
	s_load_dword s54, s[2:3], 0x8
	s_load_dword s55, s[34:35], 0x6c
	;; [unrolled: 1-line block ×3, first 2 shown]
                                        ; implicit-def: $vgpr16_vgpr17
	s_waitcnt lgkmcnt(0)
	s_ashr_i32 s0, s54, 31
	v_or_b32_e32 v3, s0, v15
	v_cmp_ne_u64_e32 vcc, 0, v[2:3]
	s_and_saveexec_b64 s[34:35], vcc
	s_xor_b64 s[34:35], exec, s[34:35]
	s_cbranch_execz .LBB89_24
; %bb.23:                               ;   in Loop: Header=BB89_18 Depth=2
	s_add_u32 s40, s54, s0
	s_mov_b32 s38, s0
	s_mov_b32 s39, s0
	s_addc_u32 s41, s0, s0
	s_xor_b64 s[40:41], s[40:41], s[38:39]
	v_cvt_f32_u32_e32 v3, s40
	v_cvt_f32_u32_e32 v5, s41
	s_sub_u32 s0, 0, s40
	s_subb_u32 s1, 0, s41
	v_mac_f32_e32 v3, 0x4f800000, v5
	v_rcp_f32_e32 v3, v3
	v_mul_f32_e32 v3, 0x5f7ffffc, v3
	v_mul_f32_e32 v5, 0x2f800000, v3
	v_trunc_f32_e32 v5, v5
	v_mac_f32_e32 v3, 0xcf800000, v5
	v_cvt_u32_f32_e32 v5, v5
	v_cvt_u32_f32_e32 v3, v3
	v_mul_lo_u32 v7, s0, v5
	v_mul_hi_u32 v11, s0, v3
	v_mul_lo_u32 v9, s1, v3
	v_add_u32_e32 v7, v11, v7
	v_mul_lo_u32 v13, s0, v3
	v_add_u32_e32 v7, v7, v9
	v_mul_lo_u32 v11, v3, v7
	v_mul_hi_u32 v16, v3, v13
	v_mul_hi_u32 v9, v3, v7
	v_add_co_u32_e32 v11, vcc, v16, v11
	v_addc_co_u32_e32 v9, vcc, 0, v9, vcc
	v_mul_hi_u32 v17, v5, v13
	v_mul_lo_u32 v13, v5, v13
	v_add_co_u32_e32 v11, vcc, v11, v13
	v_mul_hi_u32 v16, v5, v7
	v_addc_co_u32_e32 v9, vcc, v9, v17, vcc
	v_addc_co_u32_e32 v11, vcc, 0, v16, vcc
	v_mul_lo_u32 v7, v5, v7
	v_add_co_u32_e32 v7, vcc, v9, v7
	v_addc_co_u32_e32 v9, vcc, 0, v11, vcc
	v_add_co_u32_e32 v3, vcc, v3, v7
	v_addc_co_u32_e32 v5, vcc, v5, v9, vcc
	v_mul_lo_u32 v7, s0, v5
	v_mul_hi_u32 v9, s0, v3
	v_add_u32_e32 v7, v9, v7
	v_mul_lo_u32 v9, s1, v3
	v_add_u32_e32 v7, v7, v9
	v_mul_lo_u32 v11, s0, v3
	v_mul_hi_u32 v13, v5, v11
	v_mul_lo_u32 v16, v5, v11
	v_mul_lo_u32 v18, v3, v7
	v_mul_hi_u32 v11, v3, v11
	v_mul_hi_u32 v17, v3, v7
	v_add_co_u32_e32 v11, vcc, v11, v18
	v_addc_co_u32_e32 v17, vcc, 0, v17, vcc
	v_add_co_u32_e32 v11, vcc, v11, v16
	v_mul_hi_u32 v9, v5, v7
	v_addc_co_u32_e32 v11, vcc, v17, v13, vcc
	v_addc_co_u32_e32 v9, vcc, 0, v9, vcc
	v_mul_lo_u32 v7, v5, v7
	v_add_co_u32_e32 v7, vcc, v11, v7
	v_addc_co_u32_e32 v9, vcc, 0, v9, vcc
	v_add_co_u32_e32 v3, vcc, v3, v7
	v_addc_co_u32_e32 v5, vcc, v5, v9, vcc
	v_ashrrev_i32_e32 v7, 31, v15
	v_add_co_u32_e32 v9, vcc, v14, v7
	v_xor_b32_e32 v9, v9, v7
	v_addc_co_u32_e32 v11, vcc, v15, v7, vcc
	v_mad_u64_u32 v[16:17], s[0:1], v9, v5, 0
	v_mul_hi_u32 v13, v9, v3
	v_xor_b32_e32 v11, v11, v7
	v_add_co_u32_e32 v13, vcc, v13, v16
	v_addc_co_u32_e32 v15, vcc, 0, v17, vcc
	v_mad_u64_u32 v[18:19], s[0:1], v11, v3, 0
	v_add_co_u32_e32 v3, vcc, v13, v18
	v_mad_u64_u32 v[16:17], s[0:1], v11, v5, 0
	v_addc_co_u32_e32 v3, vcc, v15, v19, vcc
	v_addc_co_u32_e32 v5, vcc, 0, v17, vcc
	v_add_co_u32_e32 v3, vcc, v3, v16
	v_addc_co_u32_e32 v5, vcc, 0, v5, vcc
	v_mul_lo_u32 v13, s41, v3
	v_mul_lo_u32 v15, s40, v5
	v_mad_u64_u32 v[16:17], s[0:1], s40, v3, 0
	v_add3_u32 v13, v17, v15, v13
	v_sub_u32_e32 v15, v11, v13
	v_mov_b32_e32 v17, s41
	v_sub_co_u32_e32 v9, vcc, v9, v16
	v_subb_co_u32_e64 v15, s[0:1], v15, v17, vcc
	v_subrev_co_u32_e64 v16, s[0:1], s40, v9
	v_subbrev_co_u32_e64 v15, s[0:1], 0, v15, s[0:1]
	v_cmp_le_u32_e64 s[0:1], s41, v15
	v_cndmask_b32_e64 v17, 0, -1, s[0:1]
	v_cmp_le_u32_e64 s[0:1], s40, v16
	v_cndmask_b32_e64 v16, 0, -1, s[0:1]
	v_cmp_eq_u32_e64 s[0:1], s41, v15
	v_cndmask_b32_e64 v15, v17, v16, s[0:1]
	v_add_co_u32_e64 v16, s[0:1], 2, v3
	v_subb_co_u32_e32 v11, vcc, v11, v13, vcc
	v_addc_co_u32_e64 v17, s[0:1], 0, v5, s[0:1]
	v_cmp_le_u32_e32 vcc, s41, v11
	v_add_co_u32_e64 v18, s[0:1], 1, v3
	v_cndmask_b32_e64 v13, 0, -1, vcc
	v_cmp_le_u32_e32 vcc, s40, v9
	v_addc_co_u32_e64 v19, s[0:1], 0, v5, s[0:1]
	v_cndmask_b32_e64 v9, 0, -1, vcc
	v_cmp_eq_u32_e32 vcc, s41, v11
	v_cmp_ne_u32_e64 s[0:1], 0, v15
	v_cndmask_b32_e32 v9, v13, v9, vcc
	v_cmp_ne_u32_e32 vcc, 0, v9
	v_cndmask_b32_e64 v9, v18, v16, s[0:1]
	v_cndmask_b32_e64 v15, v19, v17, s[0:1]
	v_cndmask_b32_e32 v3, v3, v9, vcc
	v_xor_b32_e32 v9, s39, v7
	v_xor_b32_e32 v7, s38, v7
	v_cndmask_b32_e32 v5, v5, v15, vcc
	v_xor_b32_e32 v3, v3, v7
	v_xor_b32_e32 v5, v5, v9
	v_sub_co_u32_e32 v16, vcc, v3, v7
	v_subb_co_u32_e32 v17, vcc, v5, v9, vcc
.LBB89_24:                              ;   in Loop: Header=BB89_18 Depth=2
	s_andn2_saveexec_b64 s[0:1], s[34:35]
	s_cbranch_execz .LBB89_26
; %bb.25:                               ;   in Loop: Header=BB89_18 Depth=2
	v_cvt_f32_u32_e32 v3, s54
	s_sub_i32 s34, 0, s54
	v_mov_b32_e32 v17, v2
	v_rcp_iflag_f32_e32 v3, v3
	v_mul_f32_e32 v3, 0x4f7ffffe, v3
	v_cvt_u32_f32_e32 v3, v3
	v_mul_lo_u32 v5, s34, v3
	v_mul_hi_u32 v5, v3, v5
	v_add_u32_e32 v3, v3, v5
	v_mul_hi_u32 v3, v14, v3
	v_mul_lo_u32 v5, v3, s54
	v_sub_u32_e32 v5, v14, v5
	v_add_u32_e32 v7, 1, v3
	v_subrev_u32_e32 v9, s54, v5
	v_cmp_le_u32_e32 vcc, s54, v5
	v_cndmask_b32_e32 v5, v5, v9, vcc
	v_cndmask_b32_e32 v3, v3, v7, vcc
	v_add_u32_e32 v7, 1, v3
	v_cmp_le_u32_e32 vcc, s54, v5
	v_cndmask_b32_e32 v16, v3, v7, vcc
.LBB89_26:                              ;   in Loop: Header=BB89_18 Depth=2
	s_or_b64 exec, exec, s[0:1]
	s_add_u32 s0, s46, s36
	s_addc_u32 s1, s47, s37
	s_add_i32 s34, s20, -2
	s_mov_b32 s35, s21
	s_lshl_b64 s[34:35], s[34:35], 2
	s_add_u32 s36, s33, s34
	s_addc_u32 s37, s42, s35
	s_load_dword s57, s[36:37], 0x8
	s_load_dword s59, s[2:3], 0x6c
	s_load_dword s58, s[0:1], 0x0
                                        ; implicit-def: $vgpr18_vgpr19
	s_waitcnt lgkmcnt(0)
	s_ashr_i32 s0, s57, 31
	v_or_b32_e32 v3, s0, v17
	v_cmp_ne_u64_e32 vcc, 0, v[2:3]
	s_and_saveexec_b64 s[2:3], vcc
	s_xor_b64 s[2:3], exec, s[2:3]
	s_cbranch_execz .LBB89_28
; %bb.27:                               ;   in Loop: Header=BB89_18 Depth=2
	s_add_u32 s40, s57, s0
	s_mov_b32 s38, s0
	s_mov_b32 s39, s0
	s_addc_u32 s41, s0, s0
	s_xor_b64 s[40:41], s[40:41], s[38:39]
	v_cvt_f32_u32_e32 v3, s40
	v_cvt_f32_u32_e32 v5, s41
	s_sub_u32 s0, 0, s40
	s_subb_u32 s1, 0, s41
	v_mac_f32_e32 v3, 0x4f800000, v5
	v_rcp_f32_e32 v3, v3
	v_mul_f32_e32 v3, 0x5f7ffffc, v3
	v_mul_f32_e32 v5, 0x2f800000, v3
	v_trunc_f32_e32 v5, v5
	v_mac_f32_e32 v3, 0xcf800000, v5
	v_cvt_u32_f32_e32 v5, v5
	v_cvt_u32_f32_e32 v3, v3
	v_mul_lo_u32 v7, s0, v5
	v_mul_hi_u32 v11, s0, v3
	v_mul_lo_u32 v9, s1, v3
	v_add_u32_e32 v7, v11, v7
	v_mul_lo_u32 v13, s0, v3
	v_add_u32_e32 v7, v7, v9
	v_mul_lo_u32 v11, v3, v7
	v_mul_hi_u32 v15, v3, v13
	v_mul_hi_u32 v9, v3, v7
	v_add_co_u32_e32 v11, vcc, v15, v11
	v_addc_co_u32_e32 v9, vcc, 0, v9, vcc
	v_mul_hi_u32 v18, v5, v13
	v_mul_lo_u32 v13, v5, v13
	v_add_co_u32_e32 v11, vcc, v11, v13
	v_mul_hi_u32 v15, v5, v7
	v_addc_co_u32_e32 v9, vcc, v9, v18, vcc
	v_addc_co_u32_e32 v11, vcc, 0, v15, vcc
	v_mul_lo_u32 v7, v5, v7
	v_add_co_u32_e32 v7, vcc, v9, v7
	v_addc_co_u32_e32 v9, vcc, 0, v11, vcc
	v_add_co_u32_e32 v3, vcc, v3, v7
	v_addc_co_u32_e32 v5, vcc, v5, v9, vcc
	v_mul_lo_u32 v7, s0, v5
	v_mul_hi_u32 v9, s0, v3
	v_add_u32_e32 v7, v9, v7
	v_mul_lo_u32 v9, s1, v3
	v_add_u32_e32 v7, v7, v9
	v_mul_lo_u32 v11, s0, v3
	v_mul_hi_u32 v13, v5, v11
	v_mul_lo_u32 v15, v5, v11
	v_mul_lo_u32 v19, v3, v7
	v_mul_hi_u32 v11, v3, v11
	v_mul_hi_u32 v18, v3, v7
	v_add_co_u32_e32 v11, vcc, v11, v19
	v_addc_co_u32_e32 v18, vcc, 0, v18, vcc
	v_add_co_u32_e32 v11, vcc, v11, v15
	v_mul_hi_u32 v9, v5, v7
	v_addc_co_u32_e32 v11, vcc, v18, v13, vcc
	v_addc_co_u32_e32 v9, vcc, 0, v9, vcc
	v_mul_lo_u32 v7, v5, v7
	v_add_co_u32_e32 v7, vcc, v11, v7
	v_addc_co_u32_e32 v9, vcc, 0, v9, vcc
	v_add_co_u32_e32 v3, vcc, v3, v7
	v_addc_co_u32_e32 v5, vcc, v5, v9, vcc
	v_ashrrev_i32_e32 v7, 31, v17
	v_add_co_u32_e32 v9, vcc, v16, v7
	v_xor_b32_e32 v9, v9, v7
	v_addc_co_u32_e32 v11, vcc, v17, v7, vcc
	v_mad_u64_u32 v[18:19], s[0:1], v9, v5, 0
	v_mul_hi_u32 v13, v9, v3
	v_xor_b32_e32 v11, v11, v7
	v_add_co_u32_e32 v13, vcc, v13, v18
	v_addc_co_u32_e32 v15, vcc, 0, v19, vcc
	v_mad_u64_u32 v[20:21], s[0:1], v11, v3, 0
	v_add_co_u32_e32 v3, vcc, v13, v20
	v_mad_u64_u32 v[18:19], s[0:1], v11, v5, 0
	v_addc_co_u32_e32 v3, vcc, v15, v21, vcc
	v_addc_co_u32_e32 v5, vcc, 0, v19, vcc
	v_add_co_u32_e32 v3, vcc, v3, v18
	v_addc_co_u32_e32 v5, vcc, 0, v5, vcc
	v_mul_lo_u32 v13, s41, v3
	v_mul_lo_u32 v15, s40, v5
	v_mad_u64_u32 v[18:19], s[0:1], s40, v3, 0
	v_add3_u32 v13, v19, v15, v13
	v_sub_u32_e32 v15, v11, v13
	v_mov_b32_e32 v17, s41
	v_sub_co_u32_e32 v9, vcc, v9, v18
	v_subb_co_u32_e64 v15, s[0:1], v15, v17, vcc
	v_subrev_co_u32_e64 v17, s[0:1], s40, v9
	v_subbrev_co_u32_e64 v15, s[0:1], 0, v15, s[0:1]
	v_cmp_le_u32_e64 s[0:1], s41, v15
	v_cndmask_b32_e64 v18, 0, -1, s[0:1]
	v_cmp_le_u32_e64 s[0:1], s40, v17
	v_cndmask_b32_e64 v17, 0, -1, s[0:1]
	v_cmp_eq_u32_e64 s[0:1], s41, v15
	v_cndmask_b32_e64 v15, v18, v17, s[0:1]
	v_add_co_u32_e64 v17, s[0:1], 2, v3
	v_subb_co_u32_e32 v11, vcc, v11, v13, vcc
	v_addc_co_u32_e64 v18, s[0:1], 0, v5, s[0:1]
	v_cmp_le_u32_e32 vcc, s41, v11
	v_add_co_u32_e64 v19, s[0:1], 1, v3
	v_cndmask_b32_e64 v13, 0, -1, vcc
	v_cmp_le_u32_e32 vcc, s40, v9
	v_addc_co_u32_e64 v20, s[0:1], 0, v5, s[0:1]
	v_cndmask_b32_e64 v9, 0, -1, vcc
	v_cmp_eq_u32_e32 vcc, s41, v11
	v_cmp_ne_u32_e64 s[0:1], 0, v15
	v_cndmask_b32_e32 v9, v13, v9, vcc
	v_cmp_ne_u32_e32 vcc, 0, v9
	v_cndmask_b32_e64 v9, v19, v17, s[0:1]
	v_cndmask_b32_e64 v15, v20, v18, s[0:1]
	v_cndmask_b32_e32 v3, v3, v9, vcc
	v_xor_b32_e32 v9, s39, v7
	v_xor_b32_e32 v7, s38, v7
	v_cndmask_b32_e32 v5, v5, v15, vcc
	v_xor_b32_e32 v3, v3, v7
	v_xor_b32_e32 v5, v5, v9
	v_sub_co_u32_e32 v18, vcc, v3, v7
	v_subb_co_u32_e32 v19, vcc, v5, v9, vcc
.LBB89_28:                              ;   in Loop: Header=BB89_18 Depth=2
	s_andn2_saveexec_b64 s[0:1], s[2:3]
	s_cbranch_execz .LBB89_30
; %bb.29:                               ;   in Loop: Header=BB89_18 Depth=2
	v_cvt_f32_u32_e32 v3, s57
	s_sub_i32 s2, 0, s57
	v_mov_b32_e32 v19, v2
	v_rcp_iflag_f32_e32 v3, v3
	v_mul_f32_e32 v3, 0x4f7ffffe, v3
	v_cvt_u32_f32_e32 v3, v3
	v_mul_lo_u32 v5, s2, v3
	v_mul_hi_u32 v5, v3, v5
	v_add_u32_e32 v3, v3, v5
	v_mul_hi_u32 v3, v16, v3
	v_mul_lo_u32 v5, v3, s57
	v_sub_u32_e32 v5, v16, v5
	v_add_u32_e32 v7, 1, v3
	v_subrev_u32_e32 v9, s57, v5
	v_cmp_le_u32_e32 vcc, s57, v5
	v_cndmask_b32_e32 v5, v5, v9, vcc
	v_cndmask_b32_e32 v3, v3, v7, vcc
	v_add_u32_e32 v7, 1, v3
	v_cmp_le_u32_e32 vcc, s57, v5
	v_cndmask_b32_e32 v18, v3, v7, vcc
.LBB89_30:                              ;   in Loop: Header=BB89_18 Depth=2
	s_or_b64 exec, exec, s[0:1]
	s_add_u32 s0, s46, s34
	s_addc_u32 s1, s47, s35
	s_add_i32 s2, s20, -3
	s_mov_b32 s3, s21
	s_lshl_b64 s[2:3], s[2:3], 2
	s_add_u32 s34, s33, s2
	s_addc_u32 s35, s42, s3
	s_load_dword s60, s[34:35], 0x8
	s_load_dword s61, s[36:37], 0x6c
	;; [unrolled: 1-line block ×3, first 2 shown]
                                        ; implicit-def: $vgpr20_vgpr21
	s_waitcnt lgkmcnt(0)
	s_ashr_i32 s0, s60, 31
	v_or_b32_e32 v3, s0, v19
	v_cmp_ne_u64_e32 vcc, 0, v[2:3]
	s_and_saveexec_b64 s[36:37], vcc
	s_xor_b64 s[36:37], exec, s[36:37]
	s_cbranch_execz .LBB89_32
; %bb.31:                               ;   in Loop: Header=BB89_18 Depth=2
	s_add_u32 s40, s60, s0
	s_mov_b32 s38, s0
	s_mov_b32 s39, s0
	s_addc_u32 s41, s0, s0
	s_xor_b64 s[40:41], s[40:41], s[38:39]
	v_cvt_f32_u32_e32 v3, s40
	v_cvt_f32_u32_e32 v5, s41
	s_sub_u32 s0, 0, s40
	s_subb_u32 s1, 0, s41
	v_mac_f32_e32 v3, 0x4f800000, v5
	v_rcp_f32_e32 v3, v3
	v_mul_f32_e32 v3, 0x5f7ffffc, v3
	v_mul_f32_e32 v5, 0x2f800000, v3
	v_trunc_f32_e32 v5, v5
	v_mac_f32_e32 v3, 0xcf800000, v5
	v_cvt_u32_f32_e32 v5, v5
	v_cvt_u32_f32_e32 v3, v3
	v_mul_lo_u32 v7, s0, v5
	v_mul_hi_u32 v11, s0, v3
	v_mul_lo_u32 v9, s1, v3
	v_add_u32_e32 v7, v11, v7
	v_mul_lo_u32 v13, s0, v3
	v_add_u32_e32 v7, v7, v9
	v_mul_lo_u32 v11, v3, v7
	v_mul_hi_u32 v15, v3, v13
	v_mul_hi_u32 v9, v3, v7
	v_add_co_u32_e32 v11, vcc, v15, v11
	v_addc_co_u32_e32 v9, vcc, 0, v9, vcc
	v_mul_hi_u32 v17, v5, v13
	v_mul_lo_u32 v13, v5, v13
	v_add_co_u32_e32 v11, vcc, v11, v13
	v_mul_hi_u32 v15, v5, v7
	v_addc_co_u32_e32 v9, vcc, v9, v17, vcc
	v_addc_co_u32_e32 v11, vcc, 0, v15, vcc
	v_mul_lo_u32 v7, v5, v7
	v_add_co_u32_e32 v7, vcc, v9, v7
	v_addc_co_u32_e32 v9, vcc, 0, v11, vcc
	v_add_co_u32_e32 v3, vcc, v3, v7
	v_addc_co_u32_e32 v5, vcc, v5, v9, vcc
	v_mul_lo_u32 v7, s0, v5
	v_mul_hi_u32 v9, s0, v3
	v_add_u32_e32 v7, v9, v7
	v_mul_lo_u32 v9, s1, v3
	v_add_u32_e32 v7, v7, v9
	v_mul_lo_u32 v11, s0, v3
	v_mul_hi_u32 v13, v5, v11
	v_mul_lo_u32 v15, v5, v11
	v_mul_lo_u32 v20, v3, v7
	v_mul_hi_u32 v11, v3, v11
	v_mul_hi_u32 v17, v3, v7
	v_add_co_u32_e32 v11, vcc, v11, v20
	v_addc_co_u32_e32 v17, vcc, 0, v17, vcc
	v_add_co_u32_e32 v11, vcc, v11, v15
	v_mul_hi_u32 v9, v5, v7
	v_addc_co_u32_e32 v11, vcc, v17, v13, vcc
	v_addc_co_u32_e32 v9, vcc, 0, v9, vcc
	v_mul_lo_u32 v7, v5, v7
	v_add_co_u32_e32 v7, vcc, v11, v7
	v_addc_co_u32_e32 v9, vcc, 0, v9, vcc
	v_add_co_u32_e32 v3, vcc, v3, v7
	v_addc_co_u32_e32 v5, vcc, v5, v9, vcc
	v_ashrrev_i32_e32 v7, 31, v19
	v_add_co_u32_e32 v9, vcc, v18, v7
	v_xor_b32_e32 v9, v9, v7
	v_addc_co_u32_e32 v11, vcc, v19, v7, vcc
	v_mad_u64_u32 v[20:21], s[0:1], v9, v5, 0
	v_mul_hi_u32 v13, v9, v3
	v_xor_b32_e32 v11, v11, v7
	v_add_co_u32_e32 v13, vcc, v13, v20
	v_addc_co_u32_e32 v15, vcc, 0, v21, vcc
	v_mad_u64_u32 v[24:25], s[0:1], v11, v3, 0
	v_add_co_u32_e32 v3, vcc, v13, v24
	v_mad_u64_u32 v[20:21], s[0:1], v11, v5, 0
	v_addc_co_u32_e32 v3, vcc, v15, v25, vcc
	v_addc_co_u32_e32 v5, vcc, 0, v21, vcc
	v_add_co_u32_e32 v3, vcc, v3, v20
	v_addc_co_u32_e32 v5, vcc, 0, v5, vcc
	v_mul_lo_u32 v13, s41, v3
	v_mul_lo_u32 v15, s40, v5
	v_mad_u64_u32 v[20:21], s[0:1], s40, v3, 0
	v_add3_u32 v13, v21, v15, v13
	v_sub_u32_e32 v15, v11, v13
	v_mov_b32_e32 v17, s41
	v_sub_co_u32_e32 v9, vcc, v9, v20
	v_subb_co_u32_e64 v15, s[0:1], v15, v17, vcc
	v_subrev_co_u32_e64 v17, s[0:1], s40, v9
	v_subbrev_co_u32_e64 v15, s[0:1], 0, v15, s[0:1]
	v_cmp_le_u32_e64 s[0:1], s41, v15
	v_cndmask_b32_e64 v19, 0, -1, s[0:1]
	v_cmp_le_u32_e64 s[0:1], s40, v17
	v_cndmask_b32_e64 v17, 0, -1, s[0:1]
	v_cmp_eq_u32_e64 s[0:1], s41, v15
	v_cndmask_b32_e64 v15, v19, v17, s[0:1]
	v_add_co_u32_e64 v17, s[0:1], 2, v3
	v_subb_co_u32_e32 v11, vcc, v11, v13, vcc
	v_addc_co_u32_e64 v19, s[0:1], 0, v5, s[0:1]
	v_cmp_le_u32_e32 vcc, s41, v11
	v_add_co_u32_e64 v20, s[0:1], 1, v3
	v_cndmask_b32_e64 v13, 0, -1, vcc
	v_cmp_le_u32_e32 vcc, s40, v9
	v_addc_co_u32_e64 v21, s[0:1], 0, v5, s[0:1]
	v_cndmask_b32_e64 v9, 0, -1, vcc
	v_cmp_eq_u32_e32 vcc, s41, v11
	v_cmp_ne_u32_e64 s[0:1], 0, v15
	v_cndmask_b32_e32 v9, v13, v9, vcc
	v_cmp_ne_u32_e32 vcc, 0, v9
	v_cndmask_b32_e64 v9, v20, v17, s[0:1]
	v_cndmask_b32_e64 v15, v21, v19, s[0:1]
	v_cndmask_b32_e32 v3, v3, v9, vcc
	v_xor_b32_e32 v9, s39, v7
	v_xor_b32_e32 v7, s38, v7
	v_cndmask_b32_e32 v5, v5, v15, vcc
	v_xor_b32_e32 v3, v3, v7
	v_xor_b32_e32 v5, v5, v9
	v_sub_co_u32_e32 v20, vcc, v3, v7
	v_subb_co_u32_e32 v21, vcc, v5, v9, vcc
.LBB89_32:                              ;   in Loop: Header=BB89_18 Depth=2
	s_andn2_saveexec_b64 s[0:1], s[36:37]
	s_cbranch_execz .LBB89_34
; %bb.33:                               ;   in Loop: Header=BB89_18 Depth=2
	v_cvt_f32_u32_e32 v3, s60
	s_sub_i32 s36, 0, s60
	v_mov_b32_e32 v21, v2
	v_rcp_iflag_f32_e32 v3, v3
	v_mul_f32_e32 v3, 0x4f7ffffe, v3
	v_cvt_u32_f32_e32 v3, v3
	v_mul_lo_u32 v5, s36, v3
	v_mul_hi_u32 v5, v3, v5
	v_add_u32_e32 v3, v3, v5
	v_mul_hi_u32 v3, v18, v3
	v_mul_lo_u32 v5, v3, s60
	v_sub_u32_e32 v5, v18, v5
	v_add_u32_e32 v7, 1, v3
	v_subrev_u32_e32 v9, s60, v5
	v_cmp_le_u32_e32 vcc, s60, v5
	v_cndmask_b32_e32 v5, v5, v9, vcc
	v_cndmask_b32_e32 v3, v3, v7, vcc
	v_add_u32_e32 v7, 1, v3
	v_cmp_le_u32_e32 vcc, s60, v5
	v_cndmask_b32_e32 v20, v3, v7, vcc
.LBB89_34:                              ;   in Loop: Header=BB89_18 Depth=2
	s_or_b64 exec, exec, s[0:1]
	s_add_u32 s0, s46, s2
	v_mul_lo_u32 v3, v14, s53
	v_mul_lo_u32 v7, v16, s54
	s_load_dword s2, s[34:35], 0x6c
	s_addc_u32 s1, s47, s3
	s_load_dword s0, s[0:1], 0x0
	v_sub_u32_e32 v3, v12, v3
	v_sub_u32_e32 v7, v14, v7
	v_mul_lo_u32 v5, s55, v3
	v_mul_lo_u32 v3, s56, v3
	;; [unrolled: 1-line block ×4, first 2 shown]
	v_add3_u32 v5, v5, v10, v9
	v_add3_u32 v3, v3, v6, v7
	v_mul_lo_u32 v6, v18, s57
	v_mul_lo_u32 v9, v20, s60
	v_sub_u32_e32 v6, v16, v6
	v_sub_u32_e32 v9, v18, v9
	v_mul_lo_u32 v7, s61, v6
	s_waitcnt lgkmcnt(0)
	v_mul_lo_u32 v10, s2, v9
	v_mul_lo_u32 v6, s62, v6
	v_add3_u32 v10, v7, v5, v10
	v_mul_lo_u32 v5, s0, v9
	s_add_i32 s20, s20, -4
	s_cmp_eq_u32 s20, -1
	v_add3_u32 v6, v6, v3, v5
	s_cbranch_scc1 .LBB89_41
; %bb.35:                               ;   in Loop: Header=BB89_18 Depth=2
	v_pk_mov_b32 v[12:13], v[20:21], v[20:21] op_sel:[0,1]
	s_branch .LBB89_18
.LBB89_36:                              ;   in Loop: Header=BB89_37 Depth=2
	s_or_b64 exec, exec, s[0:1]
	s_load_dword s34, s[34:35], 0x6c
	s_add_u32 s0, s46, s2
	s_addc_u32 s1, s47, s3
	s_load_dword s2, s[0:1], 0x0
	v_mul_lo_u32 v3, v12, s54
	v_sub_u32_e32 v3, v14, v3
	s_waitcnt lgkmcnt(0)
	v_mad_u64_u32 v[10:11], s[0:1], s34, v3, v[10:11]
	s_add_i32 s20, s20, -1
	s_xor_b32 s0, s51, s53
	s_add_i32 s53, s53, 1
	s_cmp_lg_u32 s0, 2
	v_mad_u64_u32 v[6:7], s[0:1], s2, v3, v[6:7]
	s_cbranch_scc0 .LBB89_17
.LBB89_37:                              ;   Parent Loop BB89_3 Depth=1
                                        ; =>  This Inner Loop Header: Depth=2
	s_lshl_b64 s[2:3], s[20:21], 2
	s_add_u32 s34, s33, s2
	s_addc_u32 s35, s42, s3
	s_load_dword s54, s[34:35], 0x8
	v_pk_mov_b32 v[14:15], v[12:13], v[12:13] op_sel:[0,1]
                                        ; implicit-def: $vgpr12_vgpr13
	s_waitcnt lgkmcnt(0)
	s_ashr_i32 s0, s54, 31
	v_or_b32_e32 v3, s0, v15
	v_cmp_ne_u64_e32 vcc, 0, v[2:3]
	s_and_saveexec_b64 s[36:37], vcc
	s_xor_b64 s[36:37], exec, s[36:37]
	s_cbranch_execz .LBB89_39
; %bb.38:                               ;   in Loop: Header=BB89_37 Depth=2
	s_add_u32 s40, s54, s0
	s_mov_b32 s38, s0
	s_mov_b32 s39, s0
	s_addc_u32 s41, s0, s0
	s_xor_b64 s[40:41], s[40:41], s[38:39]
	v_cvt_f32_u32_e32 v3, s40
	v_cvt_f32_u32_e32 v5, s41
	s_sub_u32 s0, 0, s40
	s_subb_u32 s1, 0, s41
	v_mac_f32_e32 v3, 0x4f800000, v5
	v_rcp_f32_e32 v3, v3
	v_mul_f32_e32 v3, 0x5f7ffffc, v3
	v_mul_f32_e32 v5, 0x2f800000, v3
	v_trunc_f32_e32 v5, v5
	v_mac_f32_e32 v3, 0xcf800000, v5
	v_cvt_u32_f32_e32 v5, v5
	v_cvt_u32_f32_e32 v3, v3
	v_mul_lo_u32 v7, s0, v5
	v_mul_hi_u32 v11, s0, v3
	v_mul_lo_u32 v9, s1, v3
	v_add_u32_e32 v7, v11, v7
	v_mul_lo_u32 v12, s0, v3
	v_add_u32_e32 v7, v7, v9
	v_mul_lo_u32 v11, v3, v7
	v_mul_hi_u32 v13, v3, v12
	v_mul_hi_u32 v9, v3, v7
	v_add_co_u32_e32 v11, vcc, v13, v11
	v_addc_co_u32_e32 v9, vcc, 0, v9, vcc
	v_mul_hi_u32 v16, v5, v12
	v_mul_lo_u32 v12, v5, v12
	v_add_co_u32_e32 v11, vcc, v11, v12
	v_mul_hi_u32 v13, v5, v7
	v_addc_co_u32_e32 v9, vcc, v9, v16, vcc
	v_addc_co_u32_e32 v11, vcc, 0, v13, vcc
	v_mul_lo_u32 v7, v5, v7
	v_add_co_u32_e32 v7, vcc, v9, v7
	v_addc_co_u32_e32 v9, vcc, 0, v11, vcc
	v_add_co_u32_e32 v3, vcc, v3, v7
	v_addc_co_u32_e32 v5, vcc, v5, v9, vcc
	v_mul_lo_u32 v7, s0, v5
	v_mul_hi_u32 v9, s0, v3
	v_add_u32_e32 v7, v9, v7
	v_mul_lo_u32 v9, s1, v3
	v_add_u32_e32 v7, v7, v9
	v_mul_lo_u32 v11, s0, v3
	v_mul_hi_u32 v12, v5, v11
	v_mul_lo_u32 v13, v5, v11
	v_mul_lo_u32 v17, v3, v7
	v_mul_hi_u32 v11, v3, v11
	v_mul_hi_u32 v16, v3, v7
	v_add_co_u32_e32 v11, vcc, v11, v17
	v_addc_co_u32_e32 v16, vcc, 0, v16, vcc
	v_add_co_u32_e32 v11, vcc, v11, v13
	v_mul_hi_u32 v9, v5, v7
	v_addc_co_u32_e32 v11, vcc, v16, v12, vcc
	v_addc_co_u32_e32 v9, vcc, 0, v9, vcc
	v_mul_lo_u32 v7, v5, v7
	v_add_co_u32_e32 v7, vcc, v11, v7
	v_addc_co_u32_e32 v9, vcc, 0, v9, vcc
	v_add_co_u32_e32 v3, vcc, v3, v7
	v_addc_co_u32_e32 v5, vcc, v5, v9, vcc
	v_ashrrev_i32_e32 v7, 31, v15
	v_add_co_u32_e32 v9, vcc, v14, v7
	v_xor_b32_e32 v9, v9, v7
	v_addc_co_u32_e32 v11, vcc, v15, v7, vcc
	v_mad_u64_u32 v[12:13], s[0:1], v9, v5, 0
	v_mul_hi_u32 v15, v9, v3
	v_xor_b32_e32 v11, v11, v7
	v_add_co_u32_e32 v15, vcc, v15, v12
	v_addc_co_u32_e32 v18, vcc, 0, v13, vcc
	v_mad_u64_u32 v[16:17], s[0:1], v11, v3, 0
	v_add_co_u32_e32 v3, vcc, v15, v16
	v_mad_u64_u32 v[12:13], s[0:1], v11, v5, 0
	v_addc_co_u32_e32 v3, vcc, v18, v17, vcc
	v_addc_co_u32_e32 v5, vcc, 0, v13, vcc
	v_add_co_u32_e32 v3, vcc, v3, v12
	v_addc_co_u32_e32 v5, vcc, 0, v5, vcc
	v_mul_lo_u32 v15, s41, v3
	v_mul_lo_u32 v16, s40, v5
	v_mad_u64_u32 v[12:13], s[0:1], s40, v3, 0
	v_add3_u32 v13, v13, v16, v15
	v_sub_u32_e32 v15, v11, v13
	v_mov_b32_e32 v16, s41
	v_sub_co_u32_e32 v9, vcc, v9, v12
	v_subb_co_u32_e64 v12, s[0:1], v15, v16, vcc
	v_subrev_co_u32_e64 v15, s[0:1], s40, v9
	v_subbrev_co_u32_e64 v12, s[0:1], 0, v12, s[0:1]
	v_cmp_le_u32_e64 s[0:1], s41, v12
	v_cndmask_b32_e64 v16, 0, -1, s[0:1]
	v_cmp_le_u32_e64 s[0:1], s40, v15
	v_cndmask_b32_e64 v15, 0, -1, s[0:1]
	v_cmp_eq_u32_e64 s[0:1], s41, v12
	v_cndmask_b32_e64 v12, v16, v15, s[0:1]
	v_add_co_u32_e64 v15, s[0:1], 2, v3
	v_subb_co_u32_e32 v11, vcc, v11, v13, vcc
	v_addc_co_u32_e64 v16, s[0:1], 0, v5, s[0:1]
	v_cmp_le_u32_e32 vcc, s41, v11
	v_add_co_u32_e64 v17, s[0:1], 1, v3
	v_cndmask_b32_e64 v13, 0, -1, vcc
	v_cmp_le_u32_e32 vcc, s40, v9
	v_addc_co_u32_e64 v18, s[0:1], 0, v5, s[0:1]
	v_cndmask_b32_e64 v9, 0, -1, vcc
	v_cmp_eq_u32_e32 vcc, s41, v11
	v_cmp_ne_u32_e64 s[0:1], 0, v12
	v_cndmask_b32_e32 v9, v13, v9, vcc
	v_cmp_ne_u32_e32 vcc, 0, v9
	v_cndmask_b32_e64 v9, v17, v15, s[0:1]
	v_cndmask_b32_e64 v12, v18, v16, s[0:1]
	v_cndmask_b32_e32 v3, v3, v9, vcc
	v_xor_b32_e32 v9, s39, v7
	v_xor_b32_e32 v7, s38, v7
	v_cndmask_b32_e32 v5, v5, v12, vcc
	v_xor_b32_e32 v3, v3, v7
	v_xor_b32_e32 v5, v5, v9
	v_sub_co_u32_e32 v12, vcc, v3, v7
	v_subb_co_u32_e32 v13, vcc, v5, v9, vcc
.LBB89_39:                              ;   in Loop: Header=BB89_37 Depth=2
	s_andn2_saveexec_b64 s[0:1], s[36:37]
	s_cbranch_execz .LBB89_36
; %bb.40:                               ;   in Loop: Header=BB89_37 Depth=2
	v_cvt_f32_u32_e32 v3, s54
	s_sub_i32 s36, 0, s54
	v_mov_b32_e32 v13, v2
	v_rcp_iflag_f32_e32 v3, v3
	v_mul_f32_e32 v3, 0x4f7ffffe, v3
	v_cvt_u32_f32_e32 v3, v3
	v_mul_lo_u32 v5, s36, v3
	v_mul_hi_u32 v5, v3, v5
	v_add_u32_e32 v3, v3, v5
	v_mul_hi_u32 v3, v14, v3
	v_mul_lo_u32 v5, v3, s54
	v_sub_u32_e32 v5, v14, v5
	v_add_u32_e32 v7, 1, v3
	v_subrev_u32_e32 v9, s54, v5
	v_cmp_le_u32_e32 vcc, s54, v5
	v_cndmask_b32_e32 v5, v5, v9, vcc
	v_cndmask_b32_e32 v3, v3, v7, vcc
	v_add_u32_e32 v7, 1, v3
	v_cmp_le_u32_e32 vcc, s54, v5
	v_cndmask_b32_e32 v12, v3, v7, vcc
	s_branch .LBB89_36
.LBB89_41:                              ;   in Loop: Header=BB89_3 Depth=1
	v_mov_b32_e32 v3, v4
	v_sub_u32_e32 v4, v4, v8
	v_add_u32_e32 v4, 2, v4
	v_ashrrev_i32_e32 v5, 31, v4
	v_cmp_le_i64_e32 vcc, s[8:9], v[4:5]
                                        ; implicit-def: $vgpr9
                                        ; implicit-def: $vgpr11
                                        ; implicit-def: $vgpr13
                                        ; implicit-def: $vgpr12
	s_and_saveexec_b64 s[0:1], vcc
	s_xor_b64 s[0:1], exec, s[0:1]
	s_cbranch_execnz .LBB89_44
; %bb.42:                               ;   in Loop: Header=BB89_3 Depth=1
	s_andn2_saveexec_b64 s[0:1], s[0:1]
	s_cbranch_execnz .LBB89_49
.LBB89_43:                              ;   in Loop: Header=BB89_3 Depth=1
	s_or_b64 exec, exec, s[0:1]
	v_cmp_gt_i32_e32 vcc, s13, v3
	s_and_saveexec_b64 s[0:1], vcc
	s_cbranch_execz .LBB89_2
	s_branch .LBB89_50
.LBB89_44:                              ;   in Loop: Header=BB89_3 Depth=1
	v_cmp_gt_i32_e32 vcc, s13, v3
	v_mov_b32_e32 v4, 0
	v_mov_b32_e32 v7, 0
	;; [unrolled: 1-line block ×4, first 2 shown]
	s_and_saveexec_b64 s[2:3], vcc
	s_cbranch_execz .LBB89_48
; %bb.45:                               ;   in Loop: Header=BB89_3 Depth=1
	v_ashrrev_i32_e32 v11, 31, v10
	v_lshlrev_b64 v[4:5], 2, v[10:11]
	v_mov_b32_e32 v7, s7
	v_add_co_u32_e32 v4, vcc, s6, v4
	v_addc_co_u32_e32 v5, vcc, v7, v5, vcc
	global_load_dword v7, v[4:5], off
	v_add_u32_e32 v9, 1, v3
	v_cmp_gt_i32_e32 vcc, s13, v9
	v_mov_b32_e32 v9, 0
	v_mov_b32_e32 v11, 0
	s_and_saveexec_b64 s[34:35], vcc
	s_xor_b64 s[34:35], exec, s[34:35]
	s_cbranch_execz .LBB89_47
; %bb.46:                               ;   in Loop: Header=BB89_3 Depth=1
	v_mov_b32_e32 v9, s29
	v_add_co_u32_e32 v4, vcc, s28, v4
	v_addc_co_u32_e32 v5, vcc, v5, v9, vcc
	global_load_dword v9, v[4:5], off
	s_waitcnt vmcnt(0)
	v_and_b32_e32 v11, 0xffff0000, v9
.LBB89_47:                              ;   in Loop: Header=BB89_3 Depth=1
	s_or_b64 exec, exec, s[34:35]
	s_waitcnt vmcnt(0)
	v_lshrrev_b32_e32 v4, 16, v7
.LBB89_48:                              ;   in Loop: Header=BB89_3 Depth=1
	s_or_b64 exec, exec, s[2:3]
	v_sub_u32_e32 v14, v3, v8
	v_ashrrev_i32_e32 v15, 31, v14
	v_cmp_gt_i64_e32 vcc, s[8:9], v[14:15]
	v_cndmask_b32_e64 v12, v4, 0, vcc
	v_add_u32_e32 v4, 1, v14
	v_ashrrev_i32_e32 v5, 31, v4
	v_cndmask_b32_e64 v13, v7, 0, vcc
	v_cmp_gt_i64_e32 vcc, s[8:9], v[4:5]
	v_cndmask_b32_e64 v9, v9, 0, vcc
	v_cndmask_b32_e64 v11, v11, 0, vcc
	s_andn2_saveexec_b64 s[0:1], s[0:1]
	s_cbranch_execz .LBB89_43
.LBB89_49:                              ;   in Loop: Header=BB89_3 Depth=1
	v_mov_b32_e32 v12, 0
	v_mov_b32_e32 v13, 0
	;; [unrolled: 1-line block ×4, first 2 shown]
	s_or_b64 exec, exec, s[0:1]
	v_cmp_gt_i32_e32 vcc, s13, v3
	s_and_saveexec_b64 s[0:1], vcc
	s_cbranch_execz .LBB89_2
.LBB89_50:                              ;   in Loop: Header=BB89_3 Depth=1
	v_ashrrev_i32_e32 v7, 31, v6
	v_lshlrev_b64 v[4:5], 2, v[6:7]
	v_mov_b32_e32 v6, s5
	v_add_co_u32_e32 v4, vcc, s4, v4
	v_addc_co_u32_e32 v5, vcc, v6, v5, vcc
	v_and_b32_e32 v6, 0xffff, v13
	v_add_u32_e32 v3, 1, v3
	v_lshl_or_b32 v6, v12, 16, v6
	v_cmp_gt_i32_e32 vcc, s13, v3
	global_store_dword v[4:5], v6, off
	s_and_saveexec_b64 s[2:3], vcc
	s_xor_b64 s[2:3], exec, s[2:3]
	s_cbranch_execz .LBB89_2
; %bb.51:                               ;   in Loop: Header=BB89_3 Depth=1
	v_mov_b32_e32 v3, s31
	v_add_co_u32_e32 v4, vcc, s30, v4
	v_addc_co_u32_e32 v5, vcc, v5, v3, vcc
	v_bfi_b32 v3, s52, v11, v9
	global_store_dword v[4:5], v3, off
	s_branch .LBB89_2
.LBB89_52:
	s_endpgm
	.section	.rodata,"a",@progbits
	.p2align	6, 0x0
	.amdhsa_kernel _ZN2at6native16triu_tril_kernelIN3c107complexINS2_4HalfEEEiLb1ELi2ELb0EEEvNS_4cuda6detail10TensorInfoIT_T0_EENS8_IKS9_SA_EEllSA_
		.amdhsa_group_segment_fixed_size 0
		.amdhsa_private_segment_fixed_size 0
		.amdhsa_kernarg_size 712
		.amdhsa_user_sgpr_count 6
		.amdhsa_user_sgpr_private_segment_buffer 1
		.amdhsa_user_sgpr_dispatch_ptr 0
		.amdhsa_user_sgpr_queue_ptr 0
		.amdhsa_user_sgpr_kernarg_segment_ptr 1
		.amdhsa_user_sgpr_dispatch_id 0
		.amdhsa_user_sgpr_flat_scratch_init 0
		.amdhsa_user_sgpr_kernarg_preload_length 0
		.amdhsa_user_sgpr_kernarg_preload_offset 0
		.amdhsa_user_sgpr_private_segment_size 0
		.amdhsa_uses_dynamic_stack 0
		.amdhsa_system_sgpr_private_segment_wavefront_offset 0
		.amdhsa_system_sgpr_workgroup_id_x 1
		.amdhsa_system_sgpr_workgroup_id_y 0
		.amdhsa_system_sgpr_workgroup_id_z 0
		.amdhsa_system_sgpr_workgroup_info 0
		.amdhsa_system_vgpr_workitem_id 0
		.amdhsa_next_free_vgpr 26
		.amdhsa_next_free_sgpr 63
		.amdhsa_accum_offset 28
		.amdhsa_reserve_vcc 1
		.amdhsa_reserve_flat_scratch 0
		.amdhsa_float_round_mode_32 0
		.amdhsa_float_round_mode_16_64 0
		.amdhsa_float_denorm_mode_32 3
		.amdhsa_float_denorm_mode_16_64 3
		.amdhsa_dx10_clamp 1
		.amdhsa_ieee_mode 1
		.amdhsa_fp16_overflow 0
		.amdhsa_tg_split 0
		.amdhsa_exception_fp_ieee_invalid_op 0
		.amdhsa_exception_fp_denorm_src 0
		.amdhsa_exception_fp_ieee_div_zero 0
		.amdhsa_exception_fp_ieee_overflow 0
		.amdhsa_exception_fp_ieee_underflow 0
		.amdhsa_exception_fp_ieee_inexact 0
		.amdhsa_exception_int_div_zero 0
	.end_amdhsa_kernel
	.section	.text._ZN2at6native16triu_tril_kernelIN3c107complexINS2_4HalfEEEiLb1ELi2ELb0EEEvNS_4cuda6detail10TensorInfoIT_T0_EENS8_IKS9_SA_EEllSA_,"axG",@progbits,_ZN2at6native16triu_tril_kernelIN3c107complexINS2_4HalfEEEiLb1ELi2ELb0EEEvNS_4cuda6detail10TensorInfoIT_T0_EENS8_IKS9_SA_EEllSA_,comdat
.Lfunc_end89:
	.size	_ZN2at6native16triu_tril_kernelIN3c107complexINS2_4HalfEEEiLb1ELi2ELb0EEEvNS_4cuda6detail10TensorInfoIT_T0_EENS8_IKS9_SA_EEllSA_, .Lfunc_end89-_ZN2at6native16triu_tril_kernelIN3c107complexINS2_4HalfEEEiLb1ELi2ELb0EEEvNS_4cuda6detail10TensorInfoIT_T0_EENS8_IKS9_SA_EEllSA_
                                        ; -- End function
	.section	.AMDGPU.csdata,"",@progbits
; Kernel info:
; codeLenInByte = 7732
; NumSgprs: 67
; NumVgprs: 26
; NumAgprs: 0
; TotalNumVgprs: 26
; ScratchSize: 0
; MemoryBound: 0
; FloatMode: 240
; IeeeMode: 1
; LDSByteSize: 0 bytes/workgroup (compile time only)
; SGPRBlocks: 8
; VGPRBlocks: 3
; NumSGPRsForWavesPerEU: 67
; NumVGPRsForWavesPerEU: 26
; AccumOffset: 28
; Occupancy: 8
; WaveLimiterHint : 0
; COMPUTE_PGM_RSRC2:SCRATCH_EN: 0
; COMPUTE_PGM_RSRC2:USER_SGPR: 6
; COMPUTE_PGM_RSRC2:TRAP_HANDLER: 0
; COMPUTE_PGM_RSRC2:TGID_X_EN: 1
; COMPUTE_PGM_RSRC2:TGID_Y_EN: 0
; COMPUTE_PGM_RSRC2:TGID_Z_EN: 0
; COMPUTE_PGM_RSRC2:TIDIG_COMP_CNT: 0
; COMPUTE_PGM_RSRC3_GFX90A:ACCUM_OFFSET: 6
; COMPUTE_PGM_RSRC3_GFX90A:TG_SPLIT: 0
	.section	.text._ZN2at6native16triu_tril_kernelIN3c107complexINS2_4HalfEEElLb1ELi2ELb1EEEvNS_4cuda6detail10TensorInfoIT_T0_EENS8_IKS9_SA_EEllSA_,"axG",@progbits,_ZN2at6native16triu_tril_kernelIN3c107complexINS2_4HalfEEElLb1ELi2ELb1EEEvNS_4cuda6detail10TensorInfoIT_T0_EENS8_IKS9_SA_EEllSA_,comdat
	.protected	_ZN2at6native16triu_tril_kernelIN3c107complexINS2_4HalfEEElLb1ELi2ELb1EEEvNS_4cuda6detail10TensorInfoIT_T0_EENS8_IKS9_SA_EEllSA_ ; -- Begin function _ZN2at6native16triu_tril_kernelIN3c107complexINS2_4HalfEEElLb1ELi2ELb1EEEvNS_4cuda6detail10TensorInfoIT_T0_EENS8_IKS9_SA_EEllSA_
	.globl	_ZN2at6native16triu_tril_kernelIN3c107complexINS2_4HalfEEElLb1ELi2ELb1EEEvNS_4cuda6detail10TensorInfoIT_T0_EENS8_IKS9_SA_EEllSA_
	.p2align	8
	.type	_ZN2at6native16triu_tril_kernelIN3c107complexINS2_4HalfEEElLb1ELi2ELb1EEEvNS_4cuda6detail10TensorInfoIT_T0_EENS8_IKS9_SA_EEllSA_,@function
_ZN2at6native16triu_tril_kernelIN3c107complexINS2_4HalfEEElLb1ELi2ELb1EEEvNS_4cuda6detail10TensorInfoIT_T0_EENS8_IKS9_SA_EEllSA_: ; @_ZN2at6native16triu_tril_kernelIN3c107complexINS2_4HalfEEElLb1ELi2ELb1EEEvNS_4cuda6detail10TensorInfoIT_T0_EENS8_IKS9_SA_EEllSA_
; %bb.0:
	s_load_dword s2, s[4:5], 0x364
	s_load_dwordx4 s[8:11], s[4:5], 0x340
	s_add_u32 s0, s4, 0x358
	v_mov_b32_e32 v2, 0
	s_addc_u32 s1, s5, 0
	s_waitcnt lgkmcnt(0)
	s_and_b32 s12, s2, 0xffff
	v_mov_b32_e32 v1, v2
	v_mov_b32_e32 v3, s6
	v_mad_u64_u32 v[0:1], s[2:3], s12, v3, v[0:1]
	v_lshlrev_b64 v[0:1], 1, v[0:1]
	v_cmp_gt_i64_e32 vcc, s[10:11], v[0:1]
	s_and_saveexec_b64 s[2:3], vcc
	s_cbranch_execz .LBB90_21
; %bb.1:
	s_load_dword s13, s[0:1], 0x0
	s_load_dword s18, s[4:5], 0x338
	s_load_dwordx2 s[2:3], s[4:5], 0x350
	s_load_dwordx2 s[6:7], s[4:5], 0x0
	s_mov_b32 s48, 0
	s_waitcnt lgkmcnt(0)
	s_mul_i32 s20, s13, s12
	s_ashr_i32 s19, s18, 31
	s_add_u32 s24, s4, 0x1a8
	s_addc_u32 s25, s5, 0
	s_lshl_b64 s[0:1], s[18:19], 3
	s_add_u32 s16, s0, -16
	s_addc_u32 s17, s1, -1
	s_add_u32 s14, s24, s16
	s_addc_u32 s15, s25, s17
	v_cmp_gt_i64_e64 s[12:13], s[18:19], 2
	s_add_u32 s19, s0, -8
	s_addc_u32 s21, s1, -1
	s_add_u32 s26, s4, 0xd0
	s_addc_u32 s27, s5, 0
	s_add_u32 s4, s26, s19
	v_cvt_f32_u32_e32 v3, s2
	s_addc_u32 s5, s27, s21
	s_add_u32 s16, s26, s16
	s_addc_u32 s17, s27, s17
	s_add_i32 s0, s18, -3
	s_ashr_i32 s1, s0, 31
	v_rcp_iflag_f32_e32 v3, v3
	s_add_u32 s18, s24, s19
	s_addc_u32 s19, s25, s21
	s_lshl_b32 s33, s20, 1
	s_lshl_b64 s[22:23], s[0:1], 3
	s_add_u32 s20, s26, s22
	s_load_dwordx2 s[14:15], s[14:15], 0x0
	s_addc_u32 s21, s27, s23
	v_mul_f32_e32 v3, 0x4f7ffffe, v3
	s_add_u32 s22, s24, s22
	v_cvt_u32_f32_e32 v12, v3
	s_addc_u32 s23, s25, s23
	s_add_u32 s24, s0, 1
	s_addc_u32 s25, s1, 0
	s_mov_b64 s[26:27], 0
	s_branch .LBB90_3
.LBB90_2:                               ;   in Loop: Header=BB90_3 Depth=1
	s_or_b64 exec, exec, s[28:29]
	v_mov_b32_e32 v3, s48
	v_add_co_u32_e32 v0, vcc, s33, v0
	v_addc_co_u32_e32 v1, vcc, v1, v3, vcc
	v_cmp_le_i64_e32 vcc, s[10:11], v[0:1]
	s_or_b64 s[26:27], vcc, s[26:27]
	s_andn2_b64 exec, exec, s[26:27]
	s_cbranch_execz .LBB90_21
.LBB90_3:                               ; =>This Loop Header: Depth=1
                                        ;     Child Loop BB90_17 Depth 2
	v_or_b32_e32 v3, s3, v1
	v_cmp_ne_u64_e32 vcc, 0, v[2:3]
                                        ; implicit-def: $vgpr8_vgpr9
	s_and_saveexec_b64 s[0:1], vcc
	s_xor_b64 s[28:29], exec, s[0:1]
	s_cbranch_execz .LBB90_5
; %bb.4:                                ;   in Loop: Header=BB90_3 Depth=1
	s_ashr_i32 s30, s3, 31
	s_add_u32 s0, s2, s30
	s_mov_b32 s31, s30
	s_addc_u32 s1, s3, s30
	s_xor_b64 s[34:35], s[0:1], s[30:31]
	v_cvt_f32_u32_e32 v3, s34
	v_cvt_f32_u32_e32 v4, s35
	s_sub_u32 s0, 0, s34
	s_subb_u32 s1, 0, s35
	v_mac_f32_e32 v3, 0x4f800000, v4
	v_rcp_f32_e32 v3, v3
	v_mul_f32_e32 v3, 0x5f7ffffc, v3
	v_mul_f32_e32 v4, 0x2f800000, v3
	v_trunc_f32_e32 v4, v4
	v_mac_f32_e32 v3, 0xcf800000, v4
	v_cvt_u32_f32_e32 v4, v4
	v_cvt_u32_f32_e32 v3, v3
	v_mul_lo_u32 v5, s0, v4
	v_mul_hi_u32 v7, s0, v3
	v_mul_lo_u32 v6, s1, v3
	v_add_u32_e32 v5, v7, v5
	v_mul_lo_u32 v8, s0, v3
	v_add_u32_e32 v5, v5, v6
	v_mul_lo_u32 v7, v3, v5
	v_mul_hi_u32 v9, v3, v8
	v_mul_hi_u32 v6, v3, v5
	v_add_co_u32_e32 v7, vcc, v9, v7
	v_addc_co_u32_e32 v6, vcc, 0, v6, vcc
	v_mul_hi_u32 v10, v4, v8
	v_mul_lo_u32 v8, v4, v8
	v_add_co_u32_e32 v7, vcc, v7, v8
	v_mul_hi_u32 v9, v4, v5
	v_addc_co_u32_e32 v6, vcc, v6, v10, vcc
	v_addc_co_u32_e32 v7, vcc, 0, v9, vcc
	v_mul_lo_u32 v5, v4, v5
	v_add_co_u32_e32 v5, vcc, v6, v5
	v_addc_co_u32_e32 v6, vcc, 0, v7, vcc
	v_add_co_u32_e32 v3, vcc, v3, v5
	v_addc_co_u32_e32 v4, vcc, v4, v6, vcc
	v_mul_lo_u32 v5, s0, v4
	v_mul_hi_u32 v6, s0, v3
	v_add_u32_e32 v5, v6, v5
	v_mul_lo_u32 v6, s1, v3
	v_add_u32_e32 v5, v5, v6
	v_mul_lo_u32 v7, s0, v3
	v_mul_hi_u32 v8, v4, v7
	v_mul_lo_u32 v9, v4, v7
	v_mul_lo_u32 v11, v3, v5
	v_mul_hi_u32 v7, v3, v7
	v_mul_hi_u32 v10, v3, v5
	v_add_co_u32_e32 v7, vcc, v7, v11
	v_addc_co_u32_e32 v10, vcc, 0, v10, vcc
	v_add_co_u32_e32 v7, vcc, v7, v9
	v_mul_hi_u32 v6, v4, v5
	v_addc_co_u32_e32 v7, vcc, v10, v8, vcc
	v_addc_co_u32_e32 v6, vcc, 0, v6, vcc
	v_mul_lo_u32 v5, v4, v5
	v_add_co_u32_e32 v5, vcc, v7, v5
	v_addc_co_u32_e32 v6, vcc, 0, v6, vcc
	v_add_co_u32_e32 v3, vcc, v3, v5
	v_addc_co_u32_e32 v6, vcc, v4, v6, vcc
	v_ashrrev_i32_e32 v8, 31, v1
	v_add_co_u32_e32 v4, vcc, v0, v8
	v_addc_co_u32_e32 v5, vcc, v1, v8, vcc
	v_xor_b32_e32 v10, v4, v8
	v_xor_b32_e32 v9, v5, v8
	v_mad_u64_u32 v[4:5], s[0:1], v10, v6, 0
	v_mul_hi_u32 v7, v10, v3
	v_add_co_u32_e32 v11, vcc, v7, v4
	v_addc_co_u32_e32 v13, vcc, 0, v5, vcc
	v_mad_u64_u32 v[4:5], s[0:1], v9, v6, 0
	v_mad_u64_u32 v[6:7], s[0:1], v9, v3, 0
	v_add_co_u32_e32 v3, vcc, v11, v6
	v_addc_co_u32_e32 v3, vcc, v13, v7, vcc
	v_addc_co_u32_e32 v5, vcc, 0, v5, vcc
	v_add_co_u32_e32 v3, vcc, v3, v4
	v_addc_co_u32_e32 v6, vcc, 0, v5, vcc
	v_mul_lo_u32 v7, s35, v3
	v_mul_lo_u32 v11, s34, v6
	v_mad_u64_u32 v[4:5], s[0:1], s34, v3, 0
	v_add3_u32 v5, v5, v11, v7
	v_sub_u32_e32 v7, v9, v5
	v_mov_b32_e32 v11, s35
	v_sub_co_u32_e32 v4, vcc, v10, v4
	v_subb_co_u32_e64 v7, s[0:1], v7, v11, vcc
	v_subrev_co_u32_e64 v10, s[0:1], s34, v4
	v_subbrev_co_u32_e64 v7, s[0:1], 0, v7, s[0:1]
	v_cmp_le_u32_e64 s[0:1], s35, v7
	v_cndmask_b32_e64 v11, 0, -1, s[0:1]
	v_cmp_le_u32_e64 s[0:1], s34, v10
	v_cndmask_b32_e64 v10, 0, -1, s[0:1]
	v_cmp_eq_u32_e64 s[0:1], s35, v7
	v_cndmask_b32_e64 v7, v11, v10, s[0:1]
	v_add_co_u32_e64 v10, s[0:1], 2, v3
	v_subb_co_u32_e32 v5, vcc, v9, v5, vcc
	v_addc_co_u32_e64 v11, s[0:1], 0, v6, s[0:1]
	v_cmp_le_u32_e32 vcc, s35, v5
	v_add_co_u32_e64 v13, s[0:1], 1, v3
	v_cndmask_b32_e64 v9, 0, -1, vcc
	v_cmp_le_u32_e32 vcc, s34, v4
	v_addc_co_u32_e64 v14, s[0:1], 0, v6, s[0:1]
	v_cndmask_b32_e64 v4, 0, -1, vcc
	v_cmp_eq_u32_e32 vcc, s35, v5
	v_cmp_ne_u32_e64 s[0:1], 0, v7
	v_cndmask_b32_e32 v4, v9, v4, vcc
	v_cmp_ne_u32_e32 vcc, 0, v4
	v_cndmask_b32_e64 v5, v13, v10, s[0:1]
	v_cndmask_b32_e64 v7, v14, v11, s[0:1]
	v_cndmask_b32_e32 v3, v3, v5, vcc
	v_xor_b32_e32 v5, s30, v8
	v_cndmask_b32_e32 v4, v6, v7, vcc
	v_xor_b32_e32 v3, v3, v5
	v_xor_b32_e32 v4, v4, v5
	v_sub_co_u32_e32 v8, vcc, v3, v5
	v_subb_co_u32_e32 v9, vcc, v4, v5, vcc
.LBB90_5:                               ;   in Loop: Header=BB90_3 Depth=1
	s_andn2_saveexec_b64 s[0:1], s[28:29]
	s_cbranch_execz .LBB90_7
; %bb.6:                                ;   in Loop: Header=BB90_3 Depth=1
	s_sub_i32 s28, 0, s2
	v_mul_lo_u32 v3, s28, v12
	v_mul_hi_u32 v3, v12, v3
	v_add_u32_e32 v3, v12, v3
	v_mul_hi_u32 v3, v0, v3
	v_mul_lo_u32 v4, v3, s2
	v_sub_u32_e32 v4, v0, v4
	v_subrev_u32_e32 v5, s2, v4
	v_cmp_le_u32_e32 vcc, s2, v4
	v_cndmask_b32_e32 v4, v4, v5, vcc
	v_add_u32_e32 v5, 1, v3
	v_cndmask_b32_e32 v3, v3, v5, vcc
	v_add_u32_e32 v5, 1, v3
	v_cmp_le_u32_e32 vcc, s2, v4
	v_cndmask_b32_e32 v8, v3, v5, vcc
	v_mov_b32_e32 v9, v2
.LBB90_7:                               ;   in Loop: Header=BB90_3 Depth=1
	s_or_b64 exec, exec, s[0:1]
	s_waitcnt lgkmcnt(0)
	v_or_b32_e32 v3, s15, v9
	v_cmp_ne_u64_e32 vcc, 0, v[2:3]
                                        ; implicit-def: $vgpr6_vgpr7
	s_and_saveexec_b64 s[0:1], vcc
	s_xor_b64 s[28:29], exec, s[0:1]
	s_cbranch_execz .LBB90_9
; %bb.8:                                ;   in Loop: Header=BB90_3 Depth=1
	s_ashr_i32 s30, s15, 31
	s_add_u32 s0, s14, s30
	s_mov_b32 s31, s30
	s_addc_u32 s1, s15, s30
	s_xor_b64 s[34:35], s[0:1], s[30:31]
	v_cvt_f32_u32_e32 v3, s34
	v_cvt_f32_u32_e32 v4, s35
	s_sub_u32 s0, 0, s34
	s_subb_u32 s1, 0, s35
	v_mac_f32_e32 v3, 0x4f800000, v4
	v_rcp_f32_e32 v3, v3
	v_mul_f32_e32 v3, 0x5f7ffffc, v3
	v_mul_f32_e32 v4, 0x2f800000, v3
	v_trunc_f32_e32 v4, v4
	v_mac_f32_e32 v3, 0xcf800000, v4
	v_cvt_u32_f32_e32 v4, v4
	v_cvt_u32_f32_e32 v3, v3
	v_mul_lo_u32 v5, s0, v4
	v_mul_hi_u32 v7, s0, v3
	v_mul_lo_u32 v6, s1, v3
	v_add_u32_e32 v5, v7, v5
	v_mul_lo_u32 v10, s0, v3
	v_add_u32_e32 v5, v5, v6
	v_mul_lo_u32 v7, v3, v5
	v_mul_hi_u32 v11, v3, v10
	v_mul_hi_u32 v6, v3, v5
	v_add_co_u32_e32 v7, vcc, v11, v7
	v_addc_co_u32_e32 v6, vcc, 0, v6, vcc
	v_mul_hi_u32 v13, v4, v10
	v_mul_lo_u32 v10, v4, v10
	v_add_co_u32_e32 v7, vcc, v7, v10
	v_mul_hi_u32 v11, v4, v5
	v_addc_co_u32_e32 v6, vcc, v6, v13, vcc
	v_addc_co_u32_e32 v7, vcc, 0, v11, vcc
	v_mul_lo_u32 v5, v4, v5
	v_add_co_u32_e32 v5, vcc, v6, v5
	v_addc_co_u32_e32 v6, vcc, 0, v7, vcc
	v_add_co_u32_e32 v3, vcc, v3, v5
	v_addc_co_u32_e32 v4, vcc, v4, v6, vcc
	v_mul_lo_u32 v5, s0, v4
	v_mul_hi_u32 v6, s0, v3
	v_add_u32_e32 v5, v6, v5
	v_mul_lo_u32 v6, s1, v3
	v_add_u32_e32 v5, v5, v6
	v_mul_lo_u32 v7, s0, v3
	v_mul_hi_u32 v10, v4, v7
	v_mul_lo_u32 v11, v4, v7
	v_mul_lo_u32 v14, v3, v5
	v_mul_hi_u32 v7, v3, v7
	v_mul_hi_u32 v13, v3, v5
	v_add_co_u32_e32 v7, vcc, v7, v14
	v_addc_co_u32_e32 v13, vcc, 0, v13, vcc
	v_add_co_u32_e32 v7, vcc, v7, v11
	v_mul_hi_u32 v6, v4, v5
	v_addc_co_u32_e32 v7, vcc, v13, v10, vcc
	v_addc_co_u32_e32 v6, vcc, 0, v6, vcc
	v_mul_lo_u32 v5, v4, v5
	v_add_co_u32_e32 v5, vcc, v7, v5
	v_addc_co_u32_e32 v6, vcc, 0, v6, vcc
	v_add_co_u32_e32 v3, vcc, v3, v5
	v_addc_co_u32_e32 v6, vcc, v4, v6, vcc
	v_ashrrev_i32_e32 v10, 31, v9
	v_add_co_u32_e32 v4, vcc, v8, v10
	v_addc_co_u32_e32 v5, vcc, v9, v10, vcc
	v_xor_b32_e32 v13, v4, v10
	v_xor_b32_e32 v11, v5, v10
	v_mad_u64_u32 v[4:5], s[0:1], v13, v6, 0
	v_mul_hi_u32 v7, v13, v3
	v_add_co_u32_e32 v14, vcc, v7, v4
	v_addc_co_u32_e32 v15, vcc, 0, v5, vcc
	v_mad_u64_u32 v[4:5], s[0:1], v11, v6, 0
	v_mad_u64_u32 v[6:7], s[0:1], v11, v3, 0
	v_add_co_u32_e32 v3, vcc, v14, v6
	v_addc_co_u32_e32 v3, vcc, v15, v7, vcc
	v_addc_co_u32_e32 v5, vcc, 0, v5, vcc
	v_add_co_u32_e32 v3, vcc, v3, v4
	v_addc_co_u32_e32 v6, vcc, 0, v5, vcc
	v_mul_lo_u32 v7, s35, v3
	v_mul_lo_u32 v14, s34, v6
	v_mad_u64_u32 v[4:5], s[0:1], s34, v3, 0
	v_add3_u32 v5, v5, v14, v7
	v_sub_u32_e32 v7, v11, v5
	v_mov_b32_e32 v14, s35
	v_sub_co_u32_e32 v4, vcc, v13, v4
	v_subb_co_u32_e64 v7, s[0:1], v7, v14, vcc
	v_subrev_co_u32_e64 v13, s[0:1], s34, v4
	v_subbrev_co_u32_e64 v7, s[0:1], 0, v7, s[0:1]
	v_cmp_le_u32_e64 s[0:1], s35, v7
	v_cndmask_b32_e64 v14, 0, -1, s[0:1]
	v_cmp_le_u32_e64 s[0:1], s34, v13
	v_cndmask_b32_e64 v13, 0, -1, s[0:1]
	v_cmp_eq_u32_e64 s[0:1], s35, v7
	v_cndmask_b32_e64 v7, v14, v13, s[0:1]
	v_add_co_u32_e64 v13, s[0:1], 2, v3
	v_subb_co_u32_e32 v5, vcc, v11, v5, vcc
	v_addc_co_u32_e64 v14, s[0:1], 0, v6, s[0:1]
	v_cmp_le_u32_e32 vcc, s35, v5
	v_add_co_u32_e64 v15, s[0:1], 1, v3
	v_cndmask_b32_e64 v11, 0, -1, vcc
	v_cmp_le_u32_e32 vcc, s34, v4
	v_addc_co_u32_e64 v16, s[0:1], 0, v6, s[0:1]
	v_cndmask_b32_e64 v4, 0, -1, vcc
	v_cmp_eq_u32_e32 vcc, s35, v5
	v_cmp_ne_u32_e64 s[0:1], 0, v7
	v_cndmask_b32_e32 v4, v11, v4, vcc
	v_cmp_ne_u32_e32 vcc, 0, v4
	v_cndmask_b32_e64 v5, v15, v13, s[0:1]
	v_cndmask_b32_e64 v7, v16, v14, s[0:1]
	v_cndmask_b32_e32 v3, v3, v5, vcc
	v_xor_b32_e32 v5, s30, v10
	v_cndmask_b32_e32 v4, v6, v7, vcc
	v_xor_b32_e32 v3, v3, v5
	v_xor_b32_e32 v4, v4, v5
	v_sub_co_u32_e32 v6, vcc, v3, v5
	v_subb_co_u32_e32 v7, vcc, v4, v5, vcc
.LBB90_9:                               ;   in Loop: Header=BB90_3 Depth=1
	s_andn2_saveexec_b64 s[0:1], s[28:29]
	s_cbranch_execz .LBB90_11
; %bb.10:                               ;   in Loop: Header=BB90_3 Depth=1
	v_cvt_f32_u32_e32 v3, s14
	s_sub_i32 s28, 0, s14
	v_mov_b32_e32 v7, v2
	v_rcp_iflag_f32_e32 v3, v3
	v_mul_f32_e32 v3, 0x4f7ffffe, v3
	v_cvt_u32_f32_e32 v3, v3
	v_mul_lo_u32 v4, s28, v3
	v_mul_hi_u32 v4, v3, v4
	v_add_u32_e32 v3, v3, v4
	v_mul_hi_u32 v3, v8, v3
	v_mul_lo_u32 v4, v3, s14
	v_sub_u32_e32 v4, v8, v4
	v_add_u32_e32 v5, 1, v3
	v_subrev_u32_e32 v6, s14, v4
	v_cmp_le_u32_e32 vcc, s14, v4
	v_cndmask_b32_e32 v4, v4, v6, vcc
	v_cndmask_b32_e32 v3, v3, v5, vcc
	v_add_u32_e32 v5, 1, v3
	v_cmp_le_u32_e32 vcc, s14, v4
	v_cndmask_b32_e32 v6, v3, v5, vcc
.LBB90_11:                              ;   in Loop: Header=BB90_3 Depth=1
	s_or_b64 exec, exec, s[0:1]
	v_mul_lo_u32 v3, v9, s2
	v_mul_lo_u32 v10, v8, s3
	v_mad_u64_u32 v[4:5], s[0:1], v8, s2, 0
	v_add3_u32 v3, v5, v10, v3
	v_sub_co_u32_e32 v4, vcc, v0, v4
	v_subb_co_u32_e32 v5, vcc, v1, v3, vcc
	v_mul_lo_u32 v3, v7, s14
	v_mul_lo_u32 v13, v6, s15
	v_mad_u64_u32 v[10:11], s[0:1], v6, s14, 0
	v_add3_u32 v3, v11, v13, v3
	v_sub_co_u32_e32 v13, vcc, v8, v10
	v_subb_co_u32_e32 v14, vcc, v9, v3, vcc
	v_sub_co_u32_e32 v8, vcc, v4, v13
	v_subb_co_u32_e32 v9, vcc, v5, v14, vcc
	v_cmp_gt_i64_e32 vcc, s[8:9], v[8:9]
	s_and_saveexec_b64 s[28:29], vcc
	s_cbranch_execz .LBB90_2
; %bb.12:                               ;   in Loop: Header=BB90_3 Depth=1
	s_load_dwordx2 s[30:31], s[4:5], 0x0
	s_load_dwordx2 s[0:1], s[16:17], 0x0
	s_and_b64 vcc, exec, s[12:13]
	s_mov_b64 s[36:37], s[22:23]
	s_mov_b64 s[38:39], s[20:21]
	s_waitcnt lgkmcnt(0)
	v_mul_lo_u32 v3, s31, v4
	v_mul_lo_u32 v10, s30, v5
	v_mad_u64_u32 v[8:9], s[34:35], s30, v4, 0
	v_add3_u32 v9, v9, v10, v3
	v_mad_u64_u32 v[8:9], s[34:35], s0, v13, v[8:9]
	v_mul_lo_u32 v3, s0, v14
	v_mul_lo_u32 v10, s1, v13
	v_add3_u32 v9, v10, v9, v3
	s_mov_b64 s[34:35], s[24:25]
	s_cbranch_vccnz .LBB90_17
.LBB90_13:                              ;   in Loop: Header=BB90_3 Depth=1
	s_load_dwordx2 s[0:1], s[18:19], 0x0
	s_waitcnt lgkmcnt(0)
	v_cmp_gt_i64_e32 vcc, s[0:1], v[4:5]
	s_and_b64 exec, exec, vcc
	s_cbranch_execz .LBB90_2
; %bb.14:                               ;   in Loop: Header=BB90_3 Depth=1
	v_lshlrev_b64 v[6:7], 2, v[8:9]
	v_mov_b32_e32 v3, s7
	v_add_co_u32_e32 v6, vcc, s6, v6
	v_addc_co_u32_e32 v7, vcc, v3, v7, vcc
	v_add_co_u32_e32 v4, vcc, 1, v4
	v_addc_co_u32_e32 v5, vcc, 0, v5, vcc
	v_cmp_gt_i64_e32 vcc, s[0:1], v[4:5]
	v_sub_co_u32_e64 v4, s[0:1], v4, v13
	v_subb_co_u32_e64 v5, s[0:1], v5, v14, s[0:1]
	v_cmp_gt_i64_e64 s[0:1], s[8:9], v[4:5]
	s_and_b64 s[0:1], vcc, s[0:1]
	global_store_dword v[6:7], v2, off
	s_and_b64 exec, exec, s[0:1]
	s_cbranch_execz .LBB90_2
; %bb.15:                               ;   in Loop: Header=BB90_3 Depth=1
	s_lshl_b64 s[0:1], s[30:31], 2
	v_mov_b32_e32 v3, s1
	v_add_co_u32_e32 v4, vcc, s0, v6
	v_addc_co_u32_e32 v5, vcc, v7, v3, vcc
	global_store_dword v[4:5], v2, off
	s_branch .LBB90_2
.LBB90_16:                              ;   in Loop: Header=BB90_17 Depth=2
	s_or_b64 exec, exec, s[0:1]
	v_mad_u64_u32 v[16:17], s[0:1], v10, s40, 0
	s_load_dwordx2 s[0:1], s[38:39], 0x0
	s_add_u32 s38, s38, -8
	s_addc_u32 s39, s39, -1
	v_mul_lo_u32 v3, v11, s40
	v_mul_lo_u32 v15, v10, s41
	s_add_u32 s36, s36, -8
	v_add3_u32 v3, v17, v15, v3
	v_sub_co_u32_e32 v6, vcc, v6, v16
	s_addc_u32 s37, s37, -1
	v_subb_co_u32_e32 v3, vcc, v7, v3, vcc
	s_add_u32 s34, s34, -1
	s_waitcnt lgkmcnt(0)
	v_mul_lo_u32 v3, s0, v3
	v_mul_lo_u32 v7, s1, v6
	v_mad_u64_u32 v[8:9], s[0:1], s0, v6, v[8:9]
	s_addc_u32 s35, s35, -1
	v_cmp_lt_i64_e64 s[0:1], s[34:35], 1
	v_add3_u32 v9, v7, v9, v3
	s_and_b64 vcc, exec, s[0:1]
	v_pk_mov_b32 v[6:7], v[10:11], v[10:11] op_sel:[0,1]
	s_cbranch_vccnz .LBB90_13
.LBB90_17:                              ;   Parent Loop BB90_3 Depth=1
                                        ; =>  This Inner Loop Header: Depth=2
	s_load_dwordx2 s[40:41], s[36:37], 0x0
                                        ; implicit-def: $vgpr10_vgpr11
	s_waitcnt lgkmcnt(0)
	v_or_b32_e32 v3, s41, v7
	v_cmp_ne_u64_e32 vcc, 0, v[2:3]
	s_and_saveexec_b64 s[0:1], vcc
	s_xor_b64 s[42:43], exec, s[0:1]
	s_cbranch_execz .LBB90_19
; %bb.18:                               ;   in Loop: Header=BB90_17 Depth=2
	s_ashr_i32 s44, s41, 31
	s_add_u32 s0, s40, s44
	s_mov_b32 s45, s44
	s_addc_u32 s1, s41, s44
	s_xor_b64 s[46:47], s[0:1], s[44:45]
	v_cvt_f32_u32_e32 v3, s46
	v_cvt_f32_u32_e32 v10, s47
	s_sub_u32 s0, 0, s46
	s_subb_u32 s1, 0, s47
	v_mac_f32_e32 v3, 0x4f800000, v10
	v_rcp_f32_e32 v3, v3
	v_mul_f32_e32 v3, 0x5f7ffffc, v3
	v_mul_f32_e32 v10, 0x2f800000, v3
	v_trunc_f32_e32 v10, v10
	v_mac_f32_e32 v3, 0xcf800000, v10
	v_cvt_u32_f32_e32 v10, v10
	v_cvt_u32_f32_e32 v3, v3
	v_mul_lo_u32 v11, s0, v10
	v_mul_hi_u32 v16, s0, v3
	v_mul_lo_u32 v15, s1, v3
	v_add_u32_e32 v11, v16, v11
	v_mul_lo_u32 v17, s0, v3
	v_add_u32_e32 v11, v11, v15
	v_mul_lo_u32 v16, v3, v11
	v_mul_hi_u32 v18, v3, v17
	v_mul_hi_u32 v15, v3, v11
	v_add_co_u32_e32 v16, vcc, v18, v16
	v_addc_co_u32_e32 v15, vcc, 0, v15, vcc
	v_mul_hi_u32 v19, v10, v17
	v_mul_lo_u32 v17, v10, v17
	v_add_co_u32_e32 v16, vcc, v16, v17
	v_mul_hi_u32 v18, v10, v11
	v_addc_co_u32_e32 v15, vcc, v15, v19, vcc
	v_addc_co_u32_e32 v16, vcc, 0, v18, vcc
	v_mul_lo_u32 v11, v10, v11
	v_add_co_u32_e32 v11, vcc, v15, v11
	v_addc_co_u32_e32 v15, vcc, 0, v16, vcc
	v_add_co_u32_e32 v3, vcc, v3, v11
	v_addc_co_u32_e32 v10, vcc, v10, v15, vcc
	v_mul_lo_u32 v11, s0, v10
	v_mul_hi_u32 v15, s0, v3
	v_add_u32_e32 v11, v15, v11
	v_mul_lo_u32 v15, s1, v3
	v_add_u32_e32 v11, v11, v15
	v_mul_lo_u32 v16, s0, v3
	v_mul_hi_u32 v17, v10, v16
	v_mul_lo_u32 v18, v10, v16
	v_mul_lo_u32 v20, v3, v11
	v_mul_hi_u32 v16, v3, v16
	v_mul_hi_u32 v19, v3, v11
	v_add_co_u32_e32 v16, vcc, v16, v20
	v_addc_co_u32_e32 v19, vcc, 0, v19, vcc
	v_add_co_u32_e32 v16, vcc, v16, v18
	v_mul_hi_u32 v15, v10, v11
	v_addc_co_u32_e32 v16, vcc, v19, v17, vcc
	v_addc_co_u32_e32 v15, vcc, 0, v15, vcc
	v_mul_lo_u32 v11, v10, v11
	v_add_co_u32_e32 v11, vcc, v16, v11
	v_addc_co_u32_e32 v15, vcc, 0, v15, vcc
	v_add_co_u32_e32 v3, vcc, v3, v11
	v_addc_co_u32_e32 v15, vcc, v10, v15, vcc
	v_ashrrev_i32_e32 v18, 31, v7
	v_add_co_u32_e32 v10, vcc, v6, v18
	v_addc_co_u32_e32 v11, vcc, v7, v18, vcc
	v_xor_b32_e32 v20, v10, v18
	v_xor_b32_e32 v19, v11, v18
	v_mad_u64_u32 v[10:11], s[0:1], v20, v15, 0
	v_mul_hi_u32 v16, v20, v3
	v_add_co_u32_e32 v21, vcc, v16, v10
	v_addc_co_u32_e32 v22, vcc, 0, v11, vcc
	v_mad_u64_u32 v[16:17], s[0:1], v19, v3, 0
	v_add_co_u32_e32 v3, vcc, v21, v16
	v_mad_u64_u32 v[10:11], s[0:1], v19, v15, 0
	v_addc_co_u32_e32 v3, vcc, v22, v17, vcc
	v_addc_co_u32_e32 v11, vcc, 0, v11, vcc
	v_add_co_u32_e32 v3, vcc, v3, v10
	v_addc_co_u32_e32 v15, vcc, 0, v11, vcc
	v_mul_lo_u32 v16, s47, v3
	v_mul_lo_u32 v17, s46, v15
	v_mad_u64_u32 v[10:11], s[0:1], s46, v3, 0
	v_add3_u32 v11, v11, v17, v16
	v_sub_u32_e32 v16, v19, v11
	v_mov_b32_e32 v17, s47
	v_sub_co_u32_e32 v10, vcc, v20, v10
	v_subb_co_u32_e64 v16, s[0:1], v16, v17, vcc
	v_subrev_co_u32_e64 v17, s[0:1], s46, v10
	v_subbrev_co_u32_e64 v16, s[0:1], 0, v16, s[0:1]
	v_cmp_le_u32_e64 s[0:1], s47, v16
	v_cndmask_b32_e64 v20, 0, -1, s[0:1]
	v_cmp_le_u32_e64 s[0:1], s46, v17
	v_cndmask_b32_e64 v17, 0, -1, s[0:1]
	v_cmp_eq_u32_e64 s[0:1], s47, v16
	v_cndmask_b32_e64 v16, v20, v17, s[0:1]
	v_add_co_u32_e64 v17, s[0:1], 2, v3
	v_subb_co_u32_e32 v11, vcc, v19, v11, vcc
	v_addc_co_u32_e64 v20, s[0:1], 0, v15, s[0:1]
	v_cmp_le_u32_e32 vcc, s47, v11
	v_add_co_u32_e64 v21, s[0:1], 1, v3
	v_cndmask_b32_e64 v19, 0, -1, vcc
	v_cmp_le_u32_e32 vcc, s46, v10
	v_addc_co_u32_e64 v22, s[0:1], 0, v15, s[0:1]
	v_cndmask_b32_e64 v10, 0, -1, vcc
	v_cmp_eq_u32_e32 vcc, s47, v11
	v_cmp_ne_u32_e64 s[0:1], 0, v16
	v_cndmask_b32_e32 v10, v19, v10, vcc
	v_cmp_ne_u32_e32 vcc, 0, v10
	v_cndmask_b32_e64 v11, v21, v17, s[0:1]
	v_cndmask_b32_e64 v16, v22, v20, s[0:1]
	v_cndmask_b32_e32 v3, v3, v11, vcc
	v_xor_b32_e32 v11, s44, v18
	v_cndmask_b32_e32 v10, v15, v16, vcc
	v_xor_b32_e32 v3, v3, v11
	v_xor_b32_e32 v15, v10, v11
	v_sub_co_u32_e32 v10, vcc, v3, v11
	v_subb_co_u32_e32 v11, vcc, v15, v11, vcc
.LBB90_19:                              ;   in Loop: Header=BB90_17 Depth=2
	s_andn2_saveexec_b64 s[0:1], s[42:43]
	s_cbranch_execz .LBB90_16
; %bb.20:                               ;   in Loop: Header=BB90_17 Depth=2
	v_cvt_f32_u32_e32 v3, s40
	s_sub_i32 s42, 0, s40
	v_rcp_iflag_f32_e32 v3, v3
	v_mul_f32_e32 v3, 0x4f7ffffe, v3
	v_cvt_u32_f32_e32 v3, v3
	v_mul_lo_u32 v10, s42, v3
	v_mul_hi_u32 v10, v3, v10
	v_add_u32_e32 v3, v3, v10
	v_mul_hi_u32 v3, v6, v3
	v_mul_lo_u32 v10, v3, s40
	v_sub_u32_e32 v10, v6, v10
	v_add_u32_e32 v11, 1, v3
	v_subrev_u32_e32 v15, s40, v10
	v_cmp_le_u32_e32 vcc, s40, v10
	v_cndmask_b32_e32 v10, v10, v15, vcc
	v_cndmask_b32_e32 v3, v3, v11, vcc
	v_add_u32_e32 v11, 1, v3
	v_cmp_le_u32_e32 vcc, s40, v10
	v_cndmask_b32_e32 v10, v3, v11, vcc
	v_mov_b32_e32 v11, v2
	s_branch .LBB90_16
.LBB90_21:
	s_endpgm
	.section	.rodata,"a",@progbits
	.p2align	6, 0x0
	.amdhsa_kernel _ZN2at6native16triu_tril_kernelIN3c107complexINS2_4HalfEEElLb1ELi2ELb1EEEvNS_4cuda6detail10TensorInfoIT_T0_EENS8_IKS9_SA_EEllSA_
		.amdhsa_group_segment_fixed_size 0
		.amdhsa_private_segment_fixed_size 0
		.amdhsa_kernarg_size 1112
		.amdhsa_user_sgpr_count 6
		.amdhsa_user_sgpr_private_segment_buffer 1
		.amdhsa_user_sgpr_dispatch_ptr 0
		.amdhsa_user_sgpr_queue_ptr 0
		.amdhsa_user_sgpr_kernarg_segment_ptr 1
		.amdhsa_user_sgpr_dispatch_id 0
		.amdhsa_user_sgpr_flat_scratch_init 0
		.amdhsa_user_sgpr_kernarg_preload_length 0
		.amdhsa_user_sgpr_kernarg_preload_offset 0
		.amdhsa_user_sgpr_private_segment_size 0
		.amdhsa_uses_dynamic_stack 0
		.amdhsa_system_sgpr_private_segment_wavefront_offset 0
		.amdhsa_system_sgpr_workgroup_id_x 1
		.amdhsa_system_sgpr_workgroup_id_y 0
		.amdhsa_system_sgpr_workgroup_id_z 0
		.amdhsa_system_sgpr_workgroup_info 0
		.amdhsa_system_vgpr_workitem_id 0
		.amdhsa_next_free_vgpr 23
		.amdhsa_next_free_sgpr 49
		.amdhsa_accum_offset 24
		.amdhsa_reserve_vcc 1
		.amdhsa_reserve_flat_scratch 0
		.amdhsa_float_round_mode_32 0
		.amdhsa_float_round_mode_16_64 0
		.amdhsa_float_denorm_mode_32 3
		.amdhsa_float_denorm_mode_16_64 3
		.amdhsa_dx10_clamp 1
		.amdhsa_ieee_mode 1
		.amdhsa_fp16_overflow 0
		.amdhsa_tg_split 0
		.amdhsa_exception_fp_ieee_invalid_op 0
		.amdhsa_exception_fp_denorm_src 0
		.amdhsa_exception_fp_ieee_div_zero 0
		.amdhsa_exception_fp_ieee_overflow 0
		.amdhsa_exception_fp_ieee_underflow 0
		.amdhsa_exception_fp_ieee_inexact 0
		.amdhsa_exception_int_div_zero 0
	.end_amdhsa_kernel
	.section	.text._ZN2at6native16triu_tril_kernelIN3c107complexINS2_4HalfEEElLb1ELi2ELb1EEEvNS_4cuda6detail10TensorInfoIT_T0_EENS8_IKS9_SA_EEllSA_,"axG",@progbits,_ZN2at6native16triu_tril_kernelIN3c107complexINS2_4HalfEEElLb1ELi2ELb1EEEvNS_4cuda6detail10TensorInfoIT_T0_EENS8_IKS9_SA_EEllSA_,comdat
.Lfunc_end90:
	.size	_ZN2at6native16triu_tril_kernelIN3c107complexINS2_4HalfEEElLb1ELi2ELb1EEEvNS_4cuda6detail10TensorInfoIT_T0_EENS8_IKS9_SA_EEllSA_, .Lfunc_end90-_ZN2at6native16triu_tril_kernelIN3c107complexINS2_4HalfEEElLb1ELi2ELb1EEEvNS_4cuda6detail10TensorInfoIT_T0_EENS8_IKS9_SA_EEllSA_
                                        ; -- End function
	.section	.AMDGPU.csdata,"",@progbits
; Kernel info:
; codeLenInByte = 3188
; NumSgprs: 53
; NumVgprs: 23
; NumAgprs: 0
; TotalNumVgprs: 23
; ScratchSize: 0
; MemoryBound: 0
; FloatMode: 240
; IeeeMode: 1
; LDSByteSize: 0 bytes/workgroup (compile time only)
; SGPRBlocks: 6
; VGPRBlocks: 2
; NumSGPRsForWavesPerEU: 53
; NumVGPRsForWavesPerEU: 23
; AccumOffset: 24
; Occupancy: 8
; WaveLimiterHint : 0
; COMPUTE_PGM_RSRC2:SCRATCH_EN: 0
; COMPUTE_PGM_RSRC2:USER_SGPR: 6
; COMPUTE_PGM_RSRC2:TRAP_HANDLER: 0
; COMPUTE_PGM_RSRC2:TGID_X_EN: 1
; COMPUTE_PGM_RSRC2:TGID_Y_EN: 0
; COMPUTE_PGM_RSRC2:TGID_Z_EN: 0
; COMPUTE_PGM_RSRC2:TIDIG_COMP_CNT: 0
; COMPUTE_PGM_RSRC3_GFX90A:ACCUM_OFFSET: 5
; COMPUTE_PGM_RSRC3_GFX90A:TG_SPLIT: 0
	.section	.text._ZN2at6native16triu_tril_kernelIN3c107complexINS2_4HalfEEElLb1ELi2ELb0EEEvNS_4cuda6detail10TensorInfoIT_T0_EENS8_IKS9_SA_EEllSA_,"axG",@progbits,_ZN2at6native16triu_tril_kernelIN3c107complexINS2_4HalfEEElLb1ELi2ELb0EEEvNS_4cuda6detail10TensorInfoIT_T0_EENS8_IKS9_SA_EEllSA_,comdat
	.protected	_ZN2at6native16triu_tril_kernelIN3c107complexINS2_4HalfEEElLb1ELi2ELb0EEEvNS_4cuda6detail10TensorInfoIT_T0_EENS8_IKS9_SA_EEllSA_ ; -- Begin function _ZN2at6native16triu_tril_kernelIN3c107complexINS2_4HalfEEElLb1ELi2ELb0EEEvNS_4cuda6detail10TensorInfoIT_T0_EENS8_IKS9_SA_EEllSA_
	.globl	_ZN2at6native16triu_tril_kernelIN3c107complexINS2_4HalfEEElLb1ELi2ELb0EEEvNS_4cuda6detail10TensorInfoIT_T0_EENS8_IKS9_SA_EEllSA_
	.p2align	8
	.type	_ZN2at6native16triu_tril_kernelIN3c107complexINS2_4HalfEEElLb1ELi2ELb0EEEvNS_4cuda6detail10TensorInfoIT_T0_EENS8_IKS9_SA_EEllSA_,@function
_ZN2at6native16triu_tril_kernelIN3c107complexINS2_4HalfEEElLb1ELi2ELb0EEEvNS_4cuda6detail10TensorInfoIT_T0_EENS8_IKS9_SA_EEllSA_: ; @_ZN2at6native16triu_tril_kernelIN3c107complexINS2_4HalfEEElLb1ELi2ELb0EEEvNS_4cuda6detail10TensorInfoIT_T0_EENS8_IKS9_SA_EEllSA_
; %bb.0:
	s_load_dword s2, s[4:5], 0x364
	s_load_dwordx4 s[8:11], s[4:5], 0x340
	s_add_u32 s0, s4, 0x358
	v_mov_b32_e32 v2, 0
	s_addc_u32 s1, s5, 0
	s_waitcnt lgkmcnt(0)
	s_and_b32 s7, s2, 0xffff
	v_mov_b32_e32 v1, v2
	v_mov_b32_e32 v3, s6
	v_mad_u64_u32 v[0:1], s[2:3], s7, v3, v[0:1]
	v_lshlrev_b64 v[0:1], 1, v[0:1]
	v_cmp_gt_i64_e32 vcc, s[10:11], v[0:1]
	s_and_saveexec_b64 s[2:3], vcc
	s_cbranch_execz .LBB91_26
; %bb.1:
	s_load_dword s6, s[0:1], 0x0
	s_load_dwordx2 s[2:3], s[4:5], 0x350
	s_load_dword s26, s[4:5], 0x338
	s_add_u32 s12, s4, 0x1a0
	s_addc_u32 s13, s5, 0
	s_waitcnt lgkmcnt(0)
	s_mul_i32 s28, s6, s7
	v_cvt_f32_u32_e32 v3, s2
	s_ashr_i32 s27, s26, 31
	s_add_u32 s30, s4, 0x1a8
	s_addc_u32 s31, s5, 0
	s_lshl_b64 s[0:1], s[26:27], 3
	s_add_u32 s22, s0, -16
	s_addc_u32 s23, s1, -1
	s_add_u32 s0, s30, s22
	s_addc_u32 s1, s31, s23
	s_add_u32 s20, s12, s22
	s_addc_u32 s21, s13, s23
	v_cmp_gt_i64_e64 s[24:25], s[26:27], 2
	s_add_u32 s27, s4, 0xd0
	s_addc_u32 s34, s5, 0
	s_load_dwordx4 s[12:15], s[0:1], 0x0
	s_load_dwordx4 s[16:19], s[20:21], 0xd0
	s_add_u32 s0, s27, s22
	s_addc_u32 s1, s34, s23
	s_load_dwordx2 s[6:7], s[4:5], 0x1a0
	s_load_dwordx4 s[20:23], s[0:1], 0x0
	v_rcp_iflag_f32_e32 v3, v3
	s_load_dwordx2 s[4:5], s[4:5], 0x0
	s_add_i32 s0, s26, -3
	s_ashr_i32 s1, s0, 31
	s_lshl_b32 s33, s28, 1
	s_lshl_b64 s[28:29], s[0:1], 3
	s_add_u32 s26, s27, s28
	s_addc_u32 s27, s34, s29
	v_mul_f32_e32 v3, 0x4f7ffffe, v3
	s_add_u32 s28, s30, s28
	v_cvt_u32_f32_e32 v14, v3
	s_addc_u32 s29, s31, s29
	s_add_u32 s30, s0, 1
	s_mov_b32 s50, 0
	s_addc_u32 s31, s1, 0
	s_mov_b64 s[34:35], 0
	s_mov_b32 s51, 0xffff0000
	s_branch .LBB91_3
.LBB91_2:                               ;   in Loop: Header=BB91_3 Depth=1
	s_or_b64 exec, exec, s[0:1]
	v_mov_b32_e32 v3, s50
	v_add_co_u32_e32 v0, vcc, s33, v0
	v_addc_co_u32_e32 v1, vcc, v1, v3, vcc
	v_cmp_le_i64_e32 vcc, s[10:11], v[0:1]
	s_or_b64 s[34:35], vcc, s[34:35]
	s_andn2_b64 exec, exec, s[34:35]
	s_cbranch_execz .LBB91_26
.LBB91_3:                               ; =>This Loop Header: Depth=1
                                        ;     Child Loop BB91_22 Depth 2
	v_or_b32_e32 v3, s3, v1
	v_cmp_ne_u64_e32 vcc, 0, v[2:3]
                                        ; implicit-def: $vgpr6_vgpr7
	s_and_saveexec_b64 s[0:1], vcc
	s_xor_b64 s[36:37], exec, s[0:1]
	s_cbranch_execz .LBB91_5
; %bb.4:                                ;   in Loop: Header=BB91_3 Depth=1
	s_ashr_i32 s38, s3, 31
	s_add_u32 s0, s2, s38
	s_mov_b32 s39, s38
	s_addc_u32 s1, s3, s38
	s_xor_b64 s[40:41], s[0:1], s[38:39]
	v_cvt_f32_u32_e32 v3, s40
	v_cvt_f32_u32_e32 v4, s41
	s_sub_u32 s0, 0, s40
	s_subb_u32 s1, 0, s41
	v_mac_f32_e32 v3, 0x4f800000, v4
	v_rcp_f32_e32 v3, v3
	v_mul_f32_e32 v3, 0x5f7ffffc, v3
	v_mul_f32_e32 v4, 0x2f800000, v3
	v_trunc_f32_e32 v4, v4
	v_mac_f32_e32 v3, 0xcf800000, v4
	v_cvt_u32_f32_e32 v4, v4
	v_cvt_u32_f32_e32 v3, v3
	v_mul_lo_u32 v5, s0, v4
	v_mul_hi_u32 v7, s0, v3
	v_mul_lo_u32 v6, s1, v3
	v_add_u32_e32 v5, v7, v5
	v_mul_lo_u32 v8, s0, v3
	v_add_u32_e32 v5, v5, v6
	v_mul_lo_u32 v7, v3, v5
	v_mul_hi_u32 v9, v3, v8
	v_mul_hi_u32 v6, v3, v5
	v_add_co_u32_e32 v7, vcc, v9, v7
	v_addc_co_u32_e32 v6, vcc, 0, v6, vcc
	v_mul_hi_u32 v10, v4, v8
	v_mul_lo_u32 v8, v4, v8
	v_add_co_u32_e32 v7, vcc, v7, v8
	v_mul_hi_u32 v9, v4, v5
	v_addc_co_u32_e32 v6, vcc, v6, v10, vcc
	v_addc_co_u32_e32 v7, vcc, 0, v9, vcc
	v_mul_lo_u32 v5, v4, v5
	v_add_co_u32_e32 v5, vcc, v6, v5
	v_addc_co_u32_e32 v6, vcc, 0, v7, vcc
	v_add_co_u32_e32 v3, vcc, v3, v5
	v_addc_co_u32_e32 v4, vcc, v4, v6, vcc
	v_mul_lo_u32 v5, s0, v4
	v_mul_hi_u32 v6, s0, v3
	v_add_u32_e32 v5, v6, v5
	v_mul_lo_u32 v6, s1, v3
	v_add_u32_e32 v5, v5, v6
	v_mul_lo_u32 v7, s0, v3
	v_mul_hi_u32 v8, v4, v7
	v_mul_lo_u32 v9, v4, v7
	v_mul_lo_u32 v11, v3, v5
	v_mul_hi_u32 v7, v3, v7
	v_mul_hi_u32 v10, v3, v5
	v_add_co_u32_e32 v7, vcc, v7, v11
	v_addc_co_u32_e32 v10, vcc, 0, v10, vcc
	v_add_co_u32_e32 v7, vcc, v7, v9
	v_mul_hi_u32 v6, v4, v5
	v_addc_co_u32_e32 v7, vcc, v10, v8, vcc
	v_addc_co_u32_e32 v6, vcc, 0, v6, vcc
	v_mul_lo_u32 v5, v4, v5
	v_add_co_u32_e32 v5, vcc, v7, v5
	v_addc_co_u32_e32 v6, vcc, 0, v6, vcc
	v_add_co_u32_e32 v3, vcc, v3, v5
	v_addc_co_u32_e32 v6, vcc, v4, v6, vcc
	v_ashrrev_i32_e32 v8, 31, v1
	v_add_co_u32_e32 v4, vcc, v0, v8
	v_addc_co_u32_e32 v5, vcc, v1, v8, vcc
	v_xor_b32_e32 v10, v4, v8
	v_xor_b32_e32 v9, v5, v8
	v_mad_u64_u32 v[4:5], s[0:1], v10, v6, 0
	v_mul_hi_u32 v7, v10, v3
	v_add_co_u32_e32 v11, vcc, v7, v4
	v_addc_co_u32_e32 v12, vcc, 0, v5, vcc
	v_mad_u64_u32 v[4:5], s[0:1], v9, v6, 0
	v_mad_u64_u32 v[6:7], s[0:1], v9, v3, 0
	v_add_co_u32_e32 v3, vcc, v11, v6
	v_addc_co_u32_e32 v3, vcc, v12, v7, vcc
	v_addc_co_u32_e32 v5, vcc, 0, v5, vcc
	v_add_co_u32_e32 v3, vcc, v3, v4
	v_addc_co_u32_e32 v6, vcc, 0, v5, vcc
	v_mul_lo_u32 v7, s41, v3
	v_mul_lo_u32 v11, s40, v6
	v_mad_u64_u32 v[4:5], s[0:1], s40, v3, 0
	v_add3_u32 v5, v5, v11, v7
	v_sub_u32_e32 v7, v9, v5
	v_mov_b32_e32 v11, s41
	v_sub_co_u32_e32 v4, vcc, v10, v4
	v_subb_co_u32_e64 v7, s[0:1], v7, v11, vcc
	v_subrev_co_u32_e64 v10, s[0:1], s40, v4
	v_subbrev_co_u32_e64 v7, s[0:1], 0, v7, s[0:1]
	v_cmp_le_u32_e64 s[0:1], s41, v7
	v_cndmask_b32_e64 v11, 0, -1, s[0:1]
	v_cmp_le_u32_e64 s[0:1], s40, v10
	v_cndmask_b32_e64 v10, 0, -1, s[0:1]
	v_cmp_eq_u32_e64 s[0:1], s41, v7
	v_cndmask_b32_e64 v7, v11, v10, s[0:1]
	v_add_co_u32_e64 v10, s[0:1], 2, v3
	v_subb_co_u32_e32 v5, vcc, v9, v5, vcc
	v_addc_co_u32_e64 v11, s[0:1], 0, v6, s[0:1]
	v_cmp_le_u32_e32 vcc, s41, v5
	v_add_co_u32_e64 v12, s[0:1], 1, v3
	v_cndmask_b32_e64 v9, 0, -1, vcc
	v_cmp_le_u32_e32 vcc, s40, v4
	v_addc_co_u32_e64 v13, s[0:1], 0, v6, s[0:1]
	v_cndmask_b32_e64 v4, 0, -1, vcc
	v_cmp_eq_u32_e32 vcc, s41, v5
	v_cmp_ne_u32_e64 s[0:1], 0, v7
	v_cndmask_b32_e32 v4, v9, v4, vcc
	v_cmp_ne_u32_e32 vcc, 0, v4
	v_cndmask_b32_e64 v5, v12, v10, s[0:1]
	v_cndmask_b32_e64 v7, v13, v11, s[0:1]
	v_cndmask_b32_e32 v3, v3, v5, vcc
	v_xor_b32_e32 v5, s38, v8
	v_cndmask_b32_e32 v4, v6, v7, vcc
	v_xor_b32_e32 v3, v3, v5
	v_xor_b32_e32 v4, v4, v5
	v_sub_co_u32_e32 v6, vcc, v3, v5
	v_subb_co_u32_e32 v7, vcc, v4, v5, vcc
.LBB91_5:                               ;   in Loop: Header=BB91_3 Depth=1
	s_andn2_saveexec_b64 s[0:1], s[36:37]
	s_cbranch_execz .LBB91_7
; %bb.6:                                ;   in Loop: Header=BB91_3 Depth=1
	s_sub_i32 s36, 0, s2
	v_mul_lo_u32 v3, s36, v14
	v_mul_hi_u32 v3, v14, v3
	v_add_u32_e32 v3, v14, v3
	v_mul_hi_u32 v3, v0, v3
	v_mul_lo_u32 v4, v3, s2
	v_sub_u32_e32 v4, v0, v4
	v_subrev_u32_e32 v5, s2, v4
	v_cmp_le_u32_e32 vcc, s2, v4
	v_cndmask_b32_e32 v4, v4, v5, vcc
	v_add_u32_e32 v5, 1, v3
	v_cndmask_b32_e32 v3, v3, v5, vcc
	v_add_u32_e32 v5, 1, v3
	v_cmp_le_u32_e32 vcc, s2, v4
	v_cndmask_b32_e32 v6, v3, v5, vcc
	v_mov_b32_e32 v7, v2
.LBB91_7:                               ;   in Loop: Header=BB91_3 Depth=1
	s_or_b64 exec, exec, s[0:1]
	s_waitcnt lgkmcnt(0)
	v_or_b32_e32 v3, s13, v7
	v_cmp_ne_u64_e32 vcc, 0, v[2:3]
                                        ; implicit-def: $vgpr10_vgpr11
	s_and_saveexec_b64 s[0:1], vcc
	s_xor_b64 s[36:37], exec, s[0:1]
	s_cbranch_execz .LBB91_9
; %bb.8:                                ;   in Loop: Header=BB91_3 Depth=1
	s_ashr_i32 s38, s13, 31
	s_add_u32 s0, s12, s38
	s_mov_b32 s39, s38
	s_addc_u32 s1, s13, s38
	s_xor_b64 s[40:41], s[0:1], s[38:39]
	v_cvt_f32_u32_e32 v3, s40
	v_cvt_f32_u32_e32 v4, s41
	s_sub_u32 s0, 0, s40
	s_subb_u32 s1, 0, s41
	v_mac_f32_e32 v3, 0x4f800000, v4
	v_rcp_f32_e32 v3, v3
	v_mul_f32_e32 v3, 0x5f7ffffc, v3
	v_mul_f32_e32 v4, 0x2f800000, v3
	v_trunc_f32_e32 v4, v4
	v_mac_f32_e32 v3, 0xcf800000, v4
	v_cvt_u32_f32_e32 v4, v4
	v_cvt_u32_f32_e32 v3, v3
	v_mul_lo_u32 v5, s0, v4
	v_mul_hi_u32 v9, s0, v3
	v_mul_lo_u32 v8, s1, v3
	v_add_u32_e32 v5, v9, v5
	v_mul_lo_u32 v10, s0, v3
	v_add_u32_e32 v5, v5, v8
	v_mul_lo_u32 v9, v3, v5
	v_mul_hi_u32 v11, v3, v10
	v_mul_hi_u32 v8, v3, v5
	v_add_co_u32_e32 v9, vcc, v11, v9
	v_addc_co_u32_e32 v8, vcc, 0, v8, vcc
	v_mul_hi_u32 v12, v4, v10
	v_mul_lo_u32 v10, v4, v10
	v_add_co_u32_e32 v9, vcc, v9, v10
	v_mul_hi_u32 v11, v4, v5
	v_addc_co_u32_e32 v8, vcc, v8, v12, vcc
	v_addc_co_u32_e32 v9, vcc, 0, v11, vcc
	v_mul_lo_u32 v5, v4, v5
	v_add_co_u32_e32 v5, vcc, v8, v5
	v_addc_co_u32_e32 v8, vcc, 0, v9, vcc
	v_add_co_u32_e32 v3, vcc, v3, v5
	v_addc_co_u32_e32 v4, vcc, v4, v8, vcc
	v_mul_lo_u32 v5, s0, v4
	v_mul_hi_u32 v8, s0, v3
	v_add_u32_e32 v5, v8, v5
	v_mul_lo_u32 v8, s1, v3
	v_add_u32_e32 v5, v5, v8
	v_mul_lo_u32 v9, s0, v3
	v_mul_hi_u32 v10, v4, v9
	v_mul_lo_u32 v11, v4, v9
	v_mul_lo_u32 v13, v3, v5
	v_mul_hi_u32 v9, v3, v9
	v_mul_hi_u32 v12, v3, v5
	v_add_co_u32_e32 v9, vcc, v9, v13
	v_addc_co_u32_e32 v12, vcc, 0, v12, vcc
	v_add_co_u32_e32 v9, vcc, v9, v11
	v_mul_hi_u32 v8, v4, v5
	v_addc_co_u32_e32 v9, vcc, v12, v10, vcc
	v_addc_co_u32_e32 v8, vcc, 0, v8, vcc
	v_mul_lo_u32 v5, v4, v5
	v_add_co_u32_e32 v5, vcc, v9, v5
	v_addc_co_u32_e32 v8, vcc, 0, v8, vcc
	v_add_co_u32_e32 v3, vcc, v3, v5
	v_addc_co_u32_e32 v8, vcc, v4, v8, vcc
	v_ashrrev_i32_e32 v10, 31, v7
	v_add_co_u32_e32 v4, vcc, v6, v10
	v_addc_co_u32_e32 v5, vcc, v7, v10, vcc
	v_xor_b32_e32 v12, v4, v10
	v_xor_b32_e32 v11, v5, v10
	v_mad_u64_u32 v[4:5], s[0:1], v12, v8, 0
	v_mul_hi_u32 v9, v12, v3
	v_add_co_u32_e32 v13, vcc, v9, v4
	v_addc_co_u32_e32 v15, vcc, 0, v5, vcc
	v_mad_u64_u32 v[4:5], s[0:1], v11, v8, 0
	v_mad_u64_u32 v[8:9], s[0:1], v11, v3, 0
	v_add_co_u32_e32 v3, vcc, v13, v8
	v_addc_co_u32_e32 v3, vcc, v15, v9, vcc
	v_addc_co_u32_e32 v5, vcc, 0, v5, vcc
	v_add_co_u32_e32 v3, vcc, v3, v4
	v_addc_co_u32_e32 v8, vcc, 0, v5, vcc
	v_mul_lo_u32 v9, s41, v3
	v_mul_lo_u32 v13, s40, v8
	v_mad_u64_u32 v[4:5], s[0:1], s40, v3, 0
	v_add3_u32 v5, v5, v13, v9
	v_sub_u32_e32 v9, v11, v5
	v_mov_b32_e32 v13, s41
	v_sub_co_u32_e32 v4, vcc, v12, v4
	v_subb_co_u32_e64 v9, s[0:1], v9, v13, vcc
	v_subrev_co_u32_e64 v12, s[0:1], s40, v4
	v_subbrev_co_u32_e64 v9, s[0:1], 0, v9, s[0:1]
	v_cmp_le_u32_e64 s[0:1], s41, v9
	v_cndmask_b32_e64 v13, 0, -1, s[0:1]
	v_cmp_le_u32_e64 s[0:1], s40, v12
	v_cndmask_b32_e64 v12, 0, -1, s[0:1]
	v_cmp_eq_u32_e64 s[0:1], s41, v9
	v_cndmask_b32_e64 v9, v13, v12, s[0:1]
	v_add_co_u32_e64 v12, s[0:1], 2, v3
	v_subb_co_u32_e32 v5, vcc, v11, v5, vcc
	v_addc_co_u32_e64 v13, s[0:1], 0, v8, s[0:1]
	v_cmp_le_u32_e32 vcc, s41, v5
	v_add_co_u32_e64 v15, s[0:1], 1, v3
	v_cndmask_b32_e64 v11, 0, -1, vcc
	v_cmp_le_u32_e32 vcc, s40, v4
	v_addc_co_u32_e64 v16, s[0:1], 0, v8, s[0:1]
	v_cndmask_b32_e64 v4, 0, -1, vcc
	v_cmp_eq_u32_e32 vcc, s41, v5
	v_cmp_ne_u32_e64 s[0:1], 0, v9
	v_cndmask_b32_e32 v4, v11, v4, vcc
	v_cmp_ne_u32_e32 vcc, 0, v4
	v_cndmask_b32_e64 v5, v15, v12, s[0:1]
	v_cndmask_b32_e64 v9, v16, v13, s[0:1]
	v_cndmask_b32_e32 v3, v3, v5, vcc
	v_xor_b32_e32 v5, s38, v10
	v_cndmask_b32_e32 v4, v8, v9, vcc
	v_xor_b32_e32 v3, v3, v5
	v_xor_b32_e32 v4, v4, v5
	v_sub_co_u32_e32 v10, vcc, v3, v5
	v_subb_co_u32_e32 v11, vcc, v4, v5, vcc
.LBB91_9:                               ;   in Loop: Header=BB91_3 Depth=1
	s_andn2_saveexec_b64 s[0:1], s[36:37]
	s_cbranch_execz .LBB91_11
; %bb.10:                               ;   in Loop: Header=BB91_3 Depth=1
	v_cvt_f32_u32_e32 v3, s12
	s_sub_i32 s36, 0, s12
	v_mov_b32_e32 v11, v2
	v_rcp_iflag_f32_e32 v3, v3
	v_mul_f32_e32 v3, 0x4f7ffffe, v3
	v_cvt_u32_f32_e32 v3, v3
	v_mul_lo_u32 v4, s36, v3
	v_mul_hi_u32 v4, v3, v4
	v_add_u32_e32 v3, v3, v4
	v_mul_hi_u32 v3, v6, v3
	v_mul_lo_u32 v4, v3, s12
	v_sub_u32_e32 v4, v6, v4
	v_add_u32_e32 v5, 1, v3
	v_subrev_u32_e32 v8, s12, v4
	v_cmp_le_u32_e32 vcc, s12, v4
	v_cndmask_b32_e32 v4, v4, v8, vcc
	v_cndmask_b32_e32 v3, v3, v5, vcc
	v_add_u32_e32 v5, 1, v3
	v_cmp_le_u32_e32 vcc, s12, v4
	v_cndmask_b32_e32 v10, v3, v5, vcc
.LBB91_11:                              ;   in Loop: Header=BB91_3 Depth=1
	s_or_b64 exec, exec, s[0:1]
	v_mul_lo_u32 v3, v7, s2
	v_mul_lo_u32 v8, v6, s3
	v_mad_u64_u32 v[4:5], s[0:1], v6, s2, 0
	v_add3_u32 v3, v5, v8, v3
	v_sub_co_u32_e32 v4, vcc, v0, v4
	v_subb_co_u32_e32 v5, vcc, v1, v3, vcc
	v_mul_lo_u32 v3, v11, s12
	v_mul_lo_u32 v12, v10, s13
	v_mad_u64_u32 v[8:9], s[0:1], v10, s12, 0
	v_add3_u32 v3, v9, v12, v3
	v_sub_co_u32_e32 v15, vcc, v6, v8
	v_subb_co_u32_e32 v16, vcc, v7, v3, vcc
	v_mul_lo_u32 v3, s19, v4
	v_mul_lo_u32 v8, s18, v5
	v_mad_u64_u32 v[6:7], s[0:1], s18, v4, 0
	v_add3_u32 v7, v7, v8, v3
	v_mul_lo_u32 v3, s23, v4
	v_mul_lo_u32 v8, s22, v5
	v_mad_u64_u32 v[12:13], s[0:1], s22, v4, 0
	v_add3_u32 v13, v13, v8, v3
	v_mad_u64_u32 v[8:9], s[0:1], s16, v15, v[6:7]
	v_mul_lo_u32 v3, s16, v16
	v_mul_lo_u32 v6, s17, v15
	v_add3_u32 v9, v6, v9, v3
	v_mad_u64_u32 v[6:7], s[0:1], s20, v15, v[12:13]
	v_mul_lo_u32 v3, s20, v16
	v_mul_lo_u32 v12, s21, v15
	v_add3_u32 v7, v12, v7, v3
	s_and_b64 vcc, exec, s[24:25]
	s_mov_b64 s[36:37], s[30:31]
	s_mov_b64 s[38:39], s[28:29]
	;; [unrolled: 1-line block ×3, first 2 shown]
	s_cbranch_vccnz .LBB91_22
.LBB91_12:                              ;   in Loop: Header=BB91_3 Depth=1
	v_sub_co_u32_e32 v10, vcc, v4, v15
	v_subb_co_u32_e32 v11, vcc, v5, v16, vcc
	v_add_co_u32_e32 v12, vcc, 2, v10
	v_addc_co_u32_e32 v13, vcc, 0, v11, vcc
	v_cmp_le_i64_e32 vcc, s[8:9], v[12:13]
	v_mov_b32_e32 v3, 0
	v_mov_b32_e32 v12, 0
	;; [unrolled: 1-line block ×4, first 2 shown]
	s_and_saveexec_b64 s[0:1], vcc
	s_cbranch_execz .LBB91_18
; %bb.13:                               ;   in Loop: Header=BB91_3 Depth=1
	v_cmp_gt_i64_e32 vcc, s[14:15], v[4:5]
	v_mov_b32_e32 v16, 0
	v_mov_b32_e32 v3, 0
	;; [unrolled: 1-line block ×4, first 2 shown]
	s_and_saveexec_b64 s[36:37], vcc
	s_cbranch_execz .LBB91_17
; %bb.14:                               ;   in Loop: Header=BB91_3 Depth=1
	v_lshlrev_b64 v[8:9], 2, v[8:9]
	v_mov_b32_e32 v3, s7
	v_add_co_u32_e32 v8, vcc, s6, v8
	v_addc_co_u32_e32 v9, vcc, v3, v9, vcc
	global_load_dword v3, v[8:9], off
	v_add_co_u32_e32 v12, vcc, 1, v4
	v_addc_co_u32_e32 v13, vcc, 0, v5, vcc
	v_cmp_gt_i64_e32 vcc, s[14:15], v[12:13]
	v_mov_b32_e32 v12, 0
	v_mov_b32_e32 v13, 0
	s_and_saveexec_b64 s[38:39], vcc
	s_xor_b64 s[38:39], exec, s[38:39]
	s_cbranch_execz .LBB91_16
; %bb.15:                               ;   in Loop: Header=BB91_3 Depth=1
	s_lshl_b64 s[40:41], s[18:19], 2
	v_mov_b32_e32 v12, s41
	v_add_co_u32_e32 v8, vcc, s40, v8
	v_addc_co_u32_e32 v9, vcc, v9, v12, vcc
	global_load_dword v12, v[8:9], off
	s_waitcnt vmcnt(0)
	v_and_b32_e32 v13, 0xffff0000, v12
.LBB91_16:                              ;   in Loop: Header=BB91_3 Depth=1
	s_or_b64 exec, exec, s[38:39]
	s_waitcnt vmcnt(0)
	v_lshrrev_b32_e32 v16, 16, v3
.LBB91_17:                              ;   in Loop: Header=BB91_3 Depth=1
	s_or_b64 exec, exec, s[36:37]
	v_cmp_gt_i64_e32 vcc, s[8:9], v[10:11]
	v_cndmask_b32_e64 v15, v3, 0, vcc
	v_cndmask_b32_e64 v16, v16, 0, vcc
	v_add_co_u32_e32 v8, vcc, 1, v10
	v_addc_co_u32_e32 v9, vcc, 0, v11, vcc
	v_cmp_gt_i64_e32 vcc, s[8:9], v[8:9]
	v_cndmask_b32_e64 v3, v12, 0, vcc
	v_cndmask_b32_e64 v12, v13, 0, vcc
.LBB91_18:                              ;   in Loop: Header=BB91_3 Depth=1
	s_or_b64 exec, exec, s[0:1]
	v_cmp_gt_i64_e32 vcc, s[14:15], v[4:5]
	s_and_saveexec_b64 s[0:1], vcc
	s_cbranch_execz .LBB91_2
; %bb.19:                               ;   in Loop: Header=BB91_3 Depth=1
	v_lshlrev_b64 v[6:7], 2, v[6:7]
	v_mov_b32_e32 v8, s5
	v_add_co_u32_e32 v6, vcc, s4, v6
	v_addc_co_u32_e32 v7, vcc, v8, v7, vcc
	v_add_co_u32_e32 v4, vcc, 1, v4
	v_and_b32_e32 v8, 0xffff, v15
	v_addc_co_u32_e32 v5, vcc, 0, v5, vcc
	v_lshl_or_b32 v8, v16, 16, v8
	v_cmp_gt_i64_e32 vcc, s[14:15], v[4:5]
	global_store_dword v[6:7], v8, off
	s_and_saveexec_b64 s[36:37], vcc
	s_xor_b64 s[36:37], exec, s[36:37]
	s_cbranch_execz .LBB91_2
; %bb.20:                               ;   in Loop: Header=BB91_3 Depth=1
	s_lshl_b64 s[36:37], s[22:23], 2
	v_mov_b32_e32 v5, s37
	v_add_co_u32_e32 v4, vcc, s36, v6
	v_addc_co_u32_e32 v5, vcc, v7, v5, vcc
	v_bfi_b32 v3, s51, v12, v3
	global_store_dword v[4:5], v3, off
	s_branch .LBB91_2
.LBB91_21:                              ;   in Loop: Header=BB91_22 Depth=2
	s_or_b64 exec, exec, s[0:1]
	v_mad_u64_u32 v[18:19], s[0:1], v12, s42, 0
	v_mul_lo_u32 v3, v13, s42
	v_mul_lo_u32 v17, v12, s43
	s_load_dwordx2 s[0:1], s[38:39], 0xc8
	s_load_dwordx2 s[42:43], s[40:41], 0x0
	s_add_u32 s40, s40, -8
	s_addc_u32 s41, s41, -1
	s_add_u32 s38, s38, -8
	v_add3_u32 v3, v19, v17, v3
	v_sub_co_u32_e32 v10, vcc, v10, v18
	s_addc_u32 s39, s39, -1
	v_subb_co_u32_e32 v3, vcc, v11, v3, vcc
	s_add_u32 s36, s36, -1
	s_waitcnt lgkmcnt(0)
	v_mul_lo_u32 v11, s0, v3
	v_mul_lo_u32 v17, s1, v10
	v_mad_u64_u32 v[8:9], s[0:1], s0, v10, v[8:9]
	v_mad_u64_u32 v[6:7], s[0:1], s42, v10, v[6:7]
	s_addc_u32 s37, s37, -1
	v_add3_u32 v9, v17, v9, v11
	v_mul_lo_u32 v3, s42, v3
	v_mul_lo_u32 v11, s43, v10
	v_cmp_lt_i64_e64 s[0:1], s[36:37], 1
	v_add3_u32 v7, v11, v7, v3
	s_and_b64 vcc, exec, s[0:1]
	v_pk_mov_b32 v[10:11], v[12:13], v[12:13] op_sel:[0,1]
	s_cbranch_vccnz .LBB91_12
.LBB91_22:                              ;   Parent Loop BB91_3 Depth=1
                                        ; =>  This Inner Loop Header: Depth=2
	s_load_dwordx2 s[42:43], s[38:39], 0x0
                                        ; implicit-def: $vgpr12_vgpr13
	s_waitcnt lgkmcnt(0)
	v_or_b32_e32 v3, s43, v11
	v_cmp_ne_u64_e32 vcc, 0, v[2:3]
	s_and_saveexec_b64 s[0:1], vcc
	s_xor_b64 s[44:45], exec, s[0:1]
	s_cbranch_execz .LBB91_24
; %bb.23:                               ;   in Loop: Header=BB91_22 Depth=2
	s_ashr_i32 s46, s43, 31
	s_add_u32 s0, s42, s46
	s_mov_b32 s47, s46
	s_addc_u32 s1, s43, s46
	s_xor_b64 s[48:49], s[0:1], s[46:47]
	v_cvt_f32_u32_e32 v3, s48
	v_cvt_f32_u32_e32 v12, s49
	s_sub_u32 s0, 0, s48
	s_subb_u32 s1, 0, s49
	v_mac_f32_e32 v3, 0x4f800000, v12
	v_rcp_f32_e32 v3, v3
	v_mul_f32_e32 v3, 0x5f7ffffc, v3
	v_mul_f32_e32 v12, 0x2f800000, v3
	v_trunc_f32_e32 v12, v12
	v_mac_f32_e32 v3, 0xcf800000, v12
	v_cvt_u32_f32_e32 v12, v12
	v_cvt_u32_f32_e32 v3, v3
	v_mul_lo_u32 v13, s0, v12
	v_mul_hi_u32 v18, s0, v3
	v_mul_lo_u32 v17, s1, v3
	v_add_u32_e32 v13, v18, v13
	v_mul_lo_u32 v19, s0, v3
	v_add_u32_e32 v13, v13, v17
	v_mul_lo_u32 v18, v3, v13
	v_mul_hi_u32 v20, v3, v19
	v_mul_hi_u32 v17, v3, v13
	v_add_co_u32_e32 v18, vcc, v20, v18
	v_addc_co_u32_e32 v17, vcc, 0, v17, vcc
	v_mul_hi_u32 v21, v12, v19
	v_mul_lo_u32 v19, v12, v19
	v_add_co_u32_e32 v18, vcc, v18, v19
	v_mul_hi_u32 v20, v12, v13
	v_addc_co_u32_e32 v17, vcc, v17, v21, vcc
	v_addc_co_u32_e32 v18, vcc, 0, v20, vcc
	v_mul_lo_u32 v13, v12, v13
	v_add_co_u32_e32 v13, vcc, v17, v13
	v_addc_co_u32_e32 v17, vcc, 0, v18, vcc
	v_add_co_u32_e32 v3, vcc, v3, v13
	v_addc_co_u32_e32 v12, vcc, v12, v17, vcc
	v_mul_lo_u32 v13, s0, v12
	v_mul_hi_u32 v17, s0, v3
	v_add_u32_e32 v13, v17, v13
	v_mul_lo_u32 v17, s1, v3
	v_add_u32_e32 v13, v13, v17
	v_mul_lo_u32 v18, s0, v3
	v_mul_hi_u32 v19, v12, v18
	v_mul_lo_u32 v20, v12, v18
	v_mul_lo_u32 v22, v3, v13
	v_mul_hi_u32 v18, v3, v18
	v_mul_hi_u32 v21, v3, v13
	v_add_co_u32_e32 v18, vcc, v18, v22
	v_addc_co_u32_e32 v21, vcc, 0, v21, vcc
	v_add_co_u32_e32 v18, vcc, v18, v20
	v_mul_hi_u32 v17, v12, v13
	v_addc_co_u32_e32 v18, vcc, v21, v19, vcc
	v_addc_co_u32_e32 v17, vcc, 0, v17, vcc
	v_mul_lo_u32 v13, v12, v13
	v_add_co_u32_e32 v13, vcc, v18, v13
	v_addc_co_u32_e32 v17, vcc, 0, v17, vcc
	v_add_co_u32_e32 v3, vcc, v3, v13
	v_addc_co_u32_e32 v17, vcc, v12, v17, vcc
	v_ashrrev_i32_e32 v20, 31, v11
	v_add_co_u32_e32 v12, vcc, v10, v20
	v_addc_co_u32_e32 v13, vcc, v11, v20, vcc
	v_xor_b32_e32 v22, v12, v20
	v_xor_b32_e32 v21, v13, v20
	v_mad_u64_u32 v[12:13], s[0:1], v22, v17, 0
	v_mul_hi_u32 v18, v22, v3
	v_add_co_u32_e32 v23, vcc, v18, v12
	v_addc_co_u32_e32 v24, vcc, 0, v13, vcc
	v_mad_u64_u32 v[18:19], s[0:1], v21, v3, 0
	v_add_co_u32_e32 v3, vcc, v23, v18
	v_mad_u64_u32 v[12:13], s[0:1], v21, v17, 0
	v_addc_co_u32_e32 v3, vcc, v24, v19, vcc
	v_addc_co_u32_e32 v13, vcc, 0, v13, vcc
	v_add_co_u32_e32 v3, vcc, v3, v12
	v_addc_co_u32_e32 v17, vcc, 0, v13, vcc
	v_mul_lo_u32 v18, s49, v3
	v_mul_lo_u32 v19, s48, v17
	v_mad_u64_u32 v[12:13], s[0:1], s48, v3, 0
	v_add3_u32 v13, v13, v19, v18
	v_sub_u32_e32 v18, v21, v13
	v_mov_b32_e32 v19, s49
	v_sub_co_u32_e32 v12, vcc, v22, v12
	v_subb_co_u32_e64 v18, s[0:1], v18, v19, vcc
	v_subrev_co_u32_e64 v19, s[0:1], s48, v12
	v_subbrev_co_u32_e64 v18, s[0:1], 0, v18, s[0:1]
	v_cmp_le_u32_e64 s[0:1], s49, v18
	v_cndmask_b32_e64 v22, 0, -1, s[0:1]
	v_cmp_le_u32_e64 s[0:1], s48, v19
	v_cndmask_b32_e64 v19, 0, -1, s[0:1]
	v_cmp_eq_u32_e64 s[0:1], s49, v18
	v_cndmask_b32_e64 v18, v22, v19, s[0:1]
	v_add_co_u32_e64 v19, s[0:1], 2, v3
	v_subb_co_u32_e32 v13, vcc, v21, v13, vcc
	v_addc_co_u32_e64 v22, s[0:1], 0, v17, s[0:1]
	v_cmp_le_u32_e32 vcc, s49, v13
	v_add_co_u32_e64 v23, s[0:1], 1, v3
	v_cndmask_b32_e64 v21, 0, -1, vcc
	v_cmp_le_u32_e32 vcc, s48, v12
	v_addc_co_u32_e64 v24, s[0:1], 0, v17, s[0:1]
	v_cndmask_b32_e64 v12, 0, -1, vcc
	v_cmp_eq_u32_e32 vcc, s49, v13
	v_cmp_ne_u32_e64 s[0:1], 0, v18
	v_cndmask_b32_e32 v12, v21, v12, vcc
	v_cmp_ne_u32_e32 vcc, 0, v12
	v_cndmask_b32_e64 v13, v23, v19, s[0:1]
	v_cndmask_b32_e64 v18, v24, v22, s[0:1]
	v_cndmask_b32_e32 v3, v3, v13, vcc
	v_xor_b32_e32 v13, s46, v20
	v_cndmask_b32_e32 v12, v17, v18, vcc
	v_xor_b32_e32 v3, v3, v13
	v_xor_b32_e32 v17, v12, v13
	v_sub_co_u32_e32 v12, vcc, v3, v13
	v_subb_co_u32_e32 v13, vcc, v17, v13, vcc
.LBB91_24:                              ;   in Loop: Header=BB91_22 Depth=2
	s_andn2_saveexec_b64 s[0:1], s[44:45]
	s_cbranch_execz .LBB91_21
; %bb.25:                               ;   in Loop: Header=BB91_22 Depth=2
	v_cvt_f32_u32_e32 v3, s42
	s_sub_i32 s44, 0, s42
	v_rcp_iflag_f32_e32 v3, v3
	v_mul_f32_e32 v3, 0x4f7ffffe, v3
	v_cvt_u32_f32_e32 v3, v3
	v_mul_lo_u32 v12, s44, v3
	v_mul_hi_u32 v12, v3, v12
	v_add_u32_e32 v3, v3, v12
	v_mul_hi_u32 v3, v10, v3
	v_mul_lo_u32 v12, v3, s42
	v_sub_u32_e32 v12, v10, v12
	v_add_u32_e32 v13, 1, v3
	v_subrev_u32_e32 v17, s42, v12
	v_cmp_le_u32_e32 vcc, s42, v12
	v_cndmask_b32_e32 v12, v12, v17, vcc
	v_cndmask_b32_e32 v3, v3, v13, vcc
	v_add_u32_e32 v13, 1, v3
	v_cmp_le_u32_e32 vcc, s42, v12
	v_cndmask_b32_e32 v12, v3, v13, vcc
	v_mov_b32_e32 v13, v2
	s_branch .LBB91_21
.LBB91_26:
	s_endpgm
	.section	.rodata,"a",@progbits
	.p2align	6, 0x0
	.amdhsa_kernel _ZN2at6native16triu_tril_kernelIN3c107complexINS2_4HalfEEElLb1ELi2ELb0EEEvNS_4cuda6detail10TensorInfoIT_T0_EENS8_IKS9_SA_EEllSA_
		.amdhsa_group_segment_fixed_size 0
		.amdhsa_private_segment_fixed_size 0
		.amdhsa_kernarg_size 1112
		.amdhsa_user_sgpr_count 6
		.amdhsa_user_sgpr_private_segment_buffer 1
		.amdhsa_user_sgpr_dispatch_ptr 0
		.amdhsa_user_sgpr_queue_ptr 0
		.amdhsa_user_sgpr_kernarg_segment_ptr 1
		.amdhsa_user_sgpr_dispatch_id 0
		.amdhsa_user_sgpr_flat_scratch_init 0
		.amdhsa_user_sgpr_kernarg_preload_length 0
		.amdhsa_user_sgpr_kernarg_preload_offset 0
		.amdhsa_user_sgpr_private_segment_size 0
		.amdhsa_uses_dynamic_stack 0
		.amdhsa_system_sgpr_private_segment_wavefront_offset 0
		.amdhsa_system_sgpr_workgroup_id_x 1
		.amdhsa_system_sgpr_workgroup_id_y 0
		.amdhsa_system_sgpr_workgroup_id_z 0
		.amdhsa_system_sgpr_workgroup_info 0
		.amdhsa_system_vgpr_workitem_id 0
		.amdhsa_next_free_vgpr 25
		.amdhsa_next_free_sgpr 52
		.amdhsa_accum_offset 28
		.amdhsa_reserve_vcc 1
		.amdhsa_reserve_flat_scratch 0
		.amdhsa_float_round_mode_32 0
		.amdhsa_float_round_mode_16_64 0
		.amdhsa_float_denorm_mode_32 3
		.amdhsa_float_denorm_mode_16_64 3
		.amdhsa_dx10_clamp 1
		.amdhsa_ieee_mode 1
		.amdhsa_fp16_overflow 0
		.amdhsa_tg_split 0
		.amdhsa_exception_fp_ieee_invalid_op 0
		.amdhsa_exception_fp_denorm_src 0
		.amdhsa_exception_fp_ieee_div_zero 0
		.amdhsa_exception_fp_ieee_overflow 0
		.amdhsa_exception_fp_ieee_underflow 0
		.amdhsa_exception_fp_ieee_inexact 0
		.amdhsa_exception_int_div_zero 0
	.end_amdhsa_kernel
	.section	.text._ZN2at6native16triu_tril_kernelIN3c107complexINS2_4HalfEEElLb1ELi2ELb0EEEvNS_4cuda6detail10TensorInfoIT_T0_EENS8_IKS9_SA_EEllSA_,"axG",@progbits,_ZN2at6native16triu_tril_kernelIN3c107complexINS2_4HalfEEElLb1ELi2ELb0EEEvNS_4cuda6detail10TensorInfoIT_T0_EENS8_IKS9_SA_EEllSA_,comdat
.Lfunc_end91:
	.size	_ZN2at6native16triu_tril_kernelIN3c107complexINS2_4HalfEEElLb1ELi2ELb0EEEvNS_4cuda6detail10TensorInfoIT_T0_EENS8_IKS9_SA_EEllSA_, .Lfunc_end91-_ZN2at6native16triu_tril_kernelIN3c107complexINS2_4HalfEEElLb1ELi2ELb0EEEvNS_4cuda6detail10TensorInfoIT_T0_EENS8_IKS9_SA_EEllSA_
                                        ; -- End function
	.section	.AMDGPU.csdata,"",@progbits
; Kernel info:
; codeLenInByte = 3504
; NumSgprs: 56
; NumVgprs: 25
; NumAgprs: 0
; TotalNumVgprs: 25
; ScratchSize: 0
; MemoryBound: 0
; FloatMode: 240
; IeeeMode: 1
; LDSByteSize: 0 bytes/workgroup (compile time only)
; SGPRBlocks: 6
; VGPRBlocks: 3
; NumSGPRsForWavesPerEU: 56
; NumVGPRsForWavesPerEU: 25
; AccumOffset: 28
; Occupancy: 8
; WaveLimiterHint : 0
; COMPUTE_PGM_RSRC2:SCRATCH_EN: 0
; COMPUTE_PGM_RSRC2:USER_SGPR: 6
; COMPUTE_PGM_RSRC2:TRAP_HANDLER: 0
; COMPUTE_PGM_RSRC2:TGID_X_EN: 1
; COMPUTE_PGM_RSRC2:TGID_Y_EN: 0
; COMPUTE_PGM_RSRC2:TGID_Z_EN: 0
; COMPUTE_PGM_RSRC2:TIDIG_COMP_CNT: 0
; COMPUTE_PGM_RSRC3_GFX90A:ACCUM_OFFSET: 6
; COMPUTE_PGM_RSRC3_GFX90A:TG_SPLIT: 0
	.section	.text._ZN2at6native16triu_tril_kernelIN3c104HalfEiLb1ELi4ELb1EEEvNS_4cuda6detail10TensorInfoIT_T0_EENS6_IKS7_S8_EEllS8_,"axG",@progbits,_ZN2at6native16triu_tril_kernelIN3c104HalfEiLb1ELi4ELb1EEEvNS_4cuda6detail10TensorInfoIT_T0_EENS6_IKS7_S8_EEllS8_,comdat
	.protected	_ZN2at6native16triu_tril_kernelIN3c104HalfEiLb1ELi4ELb1EEEvNS_4cuda6detail10TensorInfoIT_T0_EENS6_IKS7_S8_EEllS8_ ; -- Begin function _ZN2at6native16triu_tril_kernelIN3c104HalfEiLb1ELi4ELb1EEEvNS_4cuda6detail10TensorInfoIT_T0_EENS6_IKS7_S8_EEllS8_
	.globl	_ZN2at6native16triu_tril_kernelIN3c104HalfEiLb1ELi4ELb1EEEvNS_4cuda6detail10TensorInfoIT_T0_EENS6_IKS7_S8_EEllS8_
	.p2align	8
	.type	_ZN2at6native16triu_tril_kernelIN3c104HalfEiLb1ELi4ELb1EEEvNS_4cuda6detail10TensorInfoIT_T0_EENS6_IKS7_S8_EEllS8_,@function
_ZN2at6native16triu_tril_kernelIN3c104HalfEiLb1ELi4ELb1EEEvNS_4cuda6detail10TensorInfoIT_T0_EENS6_IKS7_S8_EEllS8_: ; @_ZN2at6native16triu_tril_kernelIN3c104HalfEiLb1ELi4ELb1EEEvNS_4cuda6detail10TensorInfoIT_T0_EENS6_IKS7_S8_EEllS8_
; %bb.0:
	s_load_dword s2, s[4:5], 0x1d4
	s_load_dwordx4 s[8:11], s[4:5], 0x1b0
	s_add_u32 s0, s4, 0x1c8
	v_mov_b32_e32 v2, 0
	s_addc_u32 s1, s5, 0
	s_waitcnt lgkmcnt(0)
	s_and_b32 s7, s2, 0xffff
	v_mov_b32_e32 v1, v2
	v_mov_b32_e32 v3, s6
	v_mad_u64_u32 v[0:1], s[2:3], s7, v3, v[0:1]
	v_lshlrev_b64 v[0:1], 2, v[0:1]
	v_cmp_gt_i64_e32 vcc, s[10:11], v[0:1]
	s_and_saveexec_b64 s[2:3], vcc
	s_cbranch_execz .LBB92_67
; %bb.1:
	s_load_dword s33, s[4:5], 0x1c0
	s_load_dword s14, s[4:5], 0x1a8
	;; [unrolled: 1-line block ×3, first 2 shown]
	s_load_dwordx2 s[2:3], s[4:5], 0x0
	s_mov_b64 s[22:23], 0
	s_waitcnt lgkmcnt(0)
	s_ashr_i32 s38, s33, 31
	s_ashr_i32 s15, s14, 31
	s_add_u32 s39, s4, 0xe0
	s_addc_u32 s40, s5, 0
	s_add_i32 s0, s14, -2
	s_ashr_i32 s1, s0, 31
	s_lshl_b64 s[12:13], s[0:1], 2
	s_add_u32 s16, s39, s12
	s_addc_u32 s17, s40, s13
	s_load_dword s41, s[16:17], 0x0
	s_lshl_b64 s[16:17], s[14:15], 2
	s_mul_i32 s1, s6, s7
	v_cmp_gt_i64_e64 s[6:7], s[14:15], 2
	v_cvt_f32_u32_e32 v3, s33
	s_waitcnt lgkmcnt(0)
	s_ashr_i32 s42, s41, 31
	s_add_u32 s15, s16, -4
	s_addc_u32 s16, s17, -1
	s_add_u32 s43, s4, 0x6c
	s_addc_u32 s44, s5, 0
	s_add_u32 s4, s43, s15
	v_rcp_iflag_f32_e32 v3, v3
	s_addc_u32 s5, s44, s16
	s_add_u32 s12, s43, s12
	s_addc_u32 s13, s44, s13
	s_add_i32 s45, s14, -3
	s_add_u32 s14, s39, s15
	v_mul_f32_e32 v3, 0x4f7ffffe, v3
	s_addc_u32 s15, s40, s16
	s_lshl_b32 s46, s1, 2
	s_and_b32 s48, s0, 7
	v_cvt_u32_f32_e32 v24, v3
	s_cmp_lg_u32 s48, 0
	s_mov_b32 s17, 0
	s_cselect_b64 s[18:19], -1, 0
	s_cmp_gt_u32 s45, 6
	s_mov_b32 s47, s17
	s_cselect_b64 s[20:21], -1, 0
	s_branch .LBB92_3
.LBB92_2:                               ;   in Loop: Header=BB92_3 Depth=1
	s_or_b64 exec, exec, s[24:25]
	v_mov_b32_e32 v3, s47
	v_add_co_u32_e32 v0, vcc, s46, v0
	v_addc_co_u32_e32 v1, vcc, v1, v3, vcc
	v_cmp_le_i64_e32 vcc, s[10:11], v[0:1]
	s_or_b64 s[22:23], vcc, s[22:23]
	s_andn2_b64 exec, exec, s[22:23]
	s_cbranch_execz .LBB92_67
.LBB92_3:                               ; =>This Loop Header: Depth=1
                                        ;     Child Loop BB92_16 Depth 2
                                        ;     Child Loop BB92_23 Depth 2
	v_or_b32_e32 v3, s38, v1
	v_cmp_ne_u64_e32 vcc, 0, v[2:3]
                                        ; implicit-def: $vgpr4_vgpr5
	s_and_saveexec_b64 s[0:1], vcc
	s_xor_b64 s[24:25], exec, s[0:1]
	s_cbranch_execz .LBB92_5
; %bb.4:                                ;   in Loop: Header=BB92_3 Depth=1
	s_add_u32 s0, s33, s38
	s_mov_b32 s26, s38
	s_mov_b32 s27, s38
	s_addc_u32 s1, s38, s38
	s_xor_b64 s[28:29], s[0:1], s[26:27]
	v_cvt_f32_u32_e32 v3, s28
	v_cvt_f32_u32_e32 v4, s29
	s_sub_u32 s0, 0, s28
	s_subb_u32 s1, 0, s29
	v_mac_f32_e32 v3, 0x4f800000, v4
	v_rcp_f32_e32 v3, v3
	v_mul_f32_e32 v3, 0x5f7ffffc, v3
	v_mul_f32_e32 v4, 0x2f800000, v3
	v_trunc_f32_e32 v4, v4
	v_mac_f32_e32 v3, 0xcf800000, v4
	v_cvt_u32_f32_e32 v4, v4
	v_cvt_u32_f32_e32 v3, v3
	v_mul_lo_u32 v5, s0, v4
	v_mul_hi_u32 v7, s0, v3
	v_mul_lo_u32 v6, s1, v3
	v_add_u32_e32 v5, v7, v5
	v_mul_lo_u32 v8, s0, v3
	v_add_u32_e32 v5, v5, v6
	v_mul_lo_u32 v7, v3, v5
	v_mul_hi_u32 v9, v3, v8
	v_mul_hi_u32 v6, v3, v5
	v_add_co_u32_e32 v7, vcc, v9, v7
	v_addc_co_u32_e32 v6, vcc, 0, v6, vcc
	v_mul_hi_u32 v10, v4, v8
	v_mul_lo_u32 v8, v4, v8
	v_add_co_u32_e32 v7, vcc, v7, v8
	v_mul_hi_u32 v9, v4, v5
	v_addc_co_u32_e32 v6, vcc, v6, v10, vcc
	v_addc_co_u32_e32 v7, vcc, 0, v9, vcc
	v_mul_lo_u32 v5, v4, v5
	v_add_co_u32_e32 v5, vcc, v6, v5
	v_addc_co_u32_e32 v6, vcc, 0, v7, vcc
	v_add_co_u32_e32 v3, vcc, v3, v5
	v_addc_co_u32_e32 v4, vcc, v4, v6, vcc
	v_mul_lo_u32 v5, s0, v4
	v_mul_hi_u32 v6, s0, v3
	v_add_u32_e32 v5, v6, v5
	v_mul_lo_u32 v6, s1, v3
	v_add_u32_e32 v5, v5, v6
	v_mul_lo_u32 v7, s0, v3
	v_mul_hi_u32 v8, v4, v7
	v_mul_lo_u32 v9, v4, v7
	v_mul_lo_u32 v11, v3, v5
	v_mul_hi_u32 v7, v3, v7
	v_mul_hi_u32 v10, v3, v5
	v_add_co_u32_e32 v7, vcc, v7, v11
	v_addc_co_u32_e32 v10, vcc, 0, v10, vcc
	v_add_co_u32_e32 v7, vcc, v7, v9
	v_mul_hi_u32 v6, v4, v5
	v_addc_co_u32_e32 v7, vcc, v10, v8, vcc
	v_addc_co_u32_e32 v6, vcc, 0, v6, vcc
	v_mul_lo_u32 v5, v4, v5
	v_add_co_u32_e32 v5, vcc, v7, v5
	v_addc_co_u32_e32 v6, vcc, 0, v6, vcc
	v_add_co_u32_e32 v3, vcc, v3, v5
	v_addc_co_u32_e32 v6, vcc, v4, v6, vcc
	v_ashrrev_i32_e32 v8, 31, v1
	v_add_co_u32_e32 v4, vcc, v0, v8
	v_addc_co_u32_e32 v5, vcc, v1, v8, vcc
	v_xor_b32_e32 v10, v4, v8
	v_xor_b32_e32 v9, v5, v8
	v_mad_u64_u32 v[4:5], s[0:1], v10, v6, 0
	v_mul_hi_u32 v7, v10, v3
	v_add_co_u32_e32 v11, vcc, v7, v4
	v_addc_co_u32_e32 v12, vcc, 0, v5, vcc
	v_mad_u64_u32 v[4:5], s[0:1], v9, v6, 0
	v_mad_u64_u32 v[6:7], s[0:1], v9, v3, 0
	v_add_co_u32_e32 v3, vcc, v11, v6
	v_addc_co_u32_e32 v3, vcc, v12, v7, vcc
	v_addc_co_u32_e32 v5, vcc, 0, v5, vcc
	v_add_co_u32_e32 v3, vcc, v3, v4
	v_addc_co_u32_e32 v6, vcc, 0, v5, vcc
	v_mul_lo_u32 v7, s29, v3
	v_mul_lo_u32 v11, s28, v6
	v_mad_u64_u32 v[4:5], s[0:1], s28, v3, 0
	v_add3_u32 v5, v5, v11, v7
	v_sub_u32_e32 v7, v9, v5
	v_mov_b32_e32 v11, s29
	v_sub_co_u32_e32 v4, vcc, v10, v4
	v_subb_co_u32_e64 v7, s[0:1], v7, v11, vcc
	v_subrev_co_u32_e64 v10, s[0:1], s28, v4
	v_subbrev_co_u32_e64 v7, s[0:1], 0, v7, s[0:1]
	v_cmp_le_u32_e64 s[0:1], s29, v7
	v_cndmask_b32_e64 v11, 0, -1, s[0:1]
	v_cmp_le_u32_e64 s[0:1], s28, v10
	v_cndmask_b32_e64 v10, 0, -1, s[0:1]
	v_cmp_eq_u32_e64 s[0:1], s29, v7
	v_cndmask_b32_e64 v7, v11, v10, s[0:1]
	v_add_co_u32_e64 v10, s[0:1], 2, v3
	v_subb_co_u32_e32 v5, vcc, v9, v5, vcc
	v_addc_co_u32_e64 v11, s[0:1], 0, v6, s[0:1]
	v_cmp_le_u32_e32 vcc, s29, v5
	v_add_co_u32_e64 v12, s[0:1], 1, v3
	v_cndmask_b32_e64 v9, 0, -1, vcc
	v_cmp_le_u32_e32 vcc, s28, v4
	v_addc_co_u32_e64 v13, s[0:1], 0, v6, s[0:1]
	v_cndmask_b32_e64 v4, 0, -1, vcc
	v_cmp_eq_u32_e32 vcc, s29, v5
	v_cmp_ne_u32_e64 s[0:1], 0, v7
	v_cndmask_b32_e32 v4, v9, v4, vcc
	v_cndmask_b32_e64 v7, v13, v11, s[0:1]
	v_cmp_ne_u32_e32 vcc, 0, v4
	v_cndmask_b32_e64 v5, v12, v10, s[0:1]
	v_cndmask_b32_e32 v4, v6, v7, vcc
	v_cndmask_b32_e32 v3, v3, v5, vcc
	v_xor_b32_e32 v6, s26, v8
	v_xor_b32_e32 v5, s27, v8
	;; [unrolled: 1-line block ×4, first 2 shown]
	v_sub_co_u32_e32 v4, vcc, v3, v6
	v_subb_co_u32_e32 v5, vcc, v7, v5, vcc
.LBB92_5:                               ;   in Loop: Header=BB92_3 Depth=1
	s_andn2_saveexec_b64 s[0:1], s[24:25]
	s_cbranch_execz .LBB92_7
; %bb.6:                                ;   in Loop: Header=BB92_3 Depth=1
	s_sub_i32 s16, 0, s33
	v_mul_lo_u32 v3, s16, v24
	v_mul_hi_u32 v3, v24, v3
	v_add_u32_e32 v3, v24, v3
	v_mul_hi_u32 v3, v0, v3
	v_mul_lo_u32 v4, v3, s33
	v_sub_u32_e32 v4, v0, v4
	v_subrev_u32_e32 v5, s33, v4
	v_cmp_le_u32_e32 vcc, s33, v4
	v_cndmask_b32_e32 v4, v4, v5, vcc
	v_add_u32_e32 v5, 1, v3
	v_cndmask_b32_e32 v3, v3, v5, vcc
	v_add_u32_e32 v5, 1, v3
	v_cmp_le_u32_e32 vcc, s33, v4
	v_cndmask_b32_e32 v4, v3, v5, vcc
	v_mov_b32_e32 v5, v2
.LBB92_7:                               ;   in Loop: Header=BB92_3 Depth=1
	s_or_b64 exec, exec, s[0:1]
	v_or_b32_e32 v3, s42, v5
	v_cmp_ne_u64_e32 vcc, 0, v[2:3]
                                        ; implicit-def: $vgpr6_vgpr7
	s_and_saveexec_b64 s[0:1], vcc
	s_xor_b64 s[24:25], exec, s[0:1]
	s_cbranch_execz .LBB92_9
; %bb.8:                                ;   in Loop: Header=BB92_3 Depth=1
	s_add_u32 s0, s41, s42
	s_mov_b32 s26, s42
	s_mov_b32 s27, s42
	s_addc_u32 s1, s42, s42
	s_xor_b64 s[28:29], s[0:1], s[26:27]
	v_cvt_f32_u32_e32 v3, s28
	v_cvt_f32_u32_e32 v6, s29
	s_sub_u32 s0, 0, s28
	s_subb_u32 s1, 0, s29
	v_mac_f32_e32 v3, 0x4f800000, v6
	v_rcp_f32_e32 v3, v3
	v_mul_f32_e32 v3, 0x5f7ffffc, v3
	v_mul_f32_e32 v6, 0x2f800000, v3
	v_trunc_f32_e32 v6, v6
	v_mac_f32_e32 v3, 0xcf800000, v6
	v_cvt_u32_f32_e32 v6, v6
	v_cvt_u32_f32_e32 v3, v3
	v_mul_lo_u32 v7, s0, v6
	v_mul_hi_u32 v9, s0, v3
	v_mul_lo_u32 v8, s1, v3
	v_add_u32_e32 v7, v9, v7
	v_mul_lo_u32 v10, s0, v3
	v_add_u32_e32 v7, v7, v8
	v_mul_lo_u32 v9, v3, v7
	v_mul_hi_u32 v11, v3, v10
	v_mul_hi_u32 v8, v3, v7
	v_add_co_u32_e32 v9, vcc, v11, v9
	v_addc_co_u32_e32 v8, vcc, 0, v8, vcc
	v_mul_hi_u32 v12, v6, v10
	v_mul_lo_u32 v10, v6, v10
	v_add_co_u32_e32 v9, vcc, v9, v10
	v_mul_hi_u32 v11, v6, v7
	v_addc_co_u32_e32 v8, vcc, v8, v12, vcc
	v_addc_co_u32_e32 v9, vcc, 0, v11, vcc
	v_mul_lo_u32 v7, v6, v7
	v_add_co_u32_e32 v7, vcc, v8, v7
	v_addc_co_u32_e32 v8, vcc, 0, v9, vcc
	v_add_co_u32_e32 v3, vcc, v3, v7
	v_addc_co_u32_e32 v6, vcc, v6, v8, vcc
	v_mul_lo_u32 v7, s0, v6
	v_mul_hi_u32 v8, s0, v3
	v_add_u32_e32 v7, v8, v7
	v_mul_lo_u32 v8, s1, v3
	v_add_u32_e32 v7, v7, v8
	v_mul_lo_u32 v9, s0, v3
	v_mul_hi_u32 v10, v6, v9
	v_mul_lo_u32 v11, v6, v9
	v_mul_lo_u32 v13, v3, v7
	v_mul_hi_u32 v9, v3, v9
	v_mul_hi_u32 v12, v3, v7
	v_add_co_u32_e32 v9, vcc, v9, v13
	v_addc_co_u32_e32 v12, vcc, 0, v12, vcc
	v_add_co_u32_e32 v9, vcc, v9, v11
	v_mul_hi_u32 v8, v6, v7
	v_addc_co_u32_e32 v9, vcc, v12, v10, vcc
	v_addc_co_u32_e32 v8, vcc, 0, v8, vcc
	v_mul_lo_u32 v7, v6, v7
	v_add_co_u32_e32 v7, vcc, v9, v7
	v_addc_co_u32_e32 v8, vcc, 0, v8, vcc
	v_add_co_u32_e32 v3, vcc, v3, v7
	v_addc_co_u32_e32 v8, vcc, v6, v8, vcc
	v_ashrrev_i32_e32 v10, 31, v5
	v_add_co_u32_e32 v6, vcc, v4, v10
	v_xor_b32_e32 v11, v6, v10
	v_addc_co_u32_e32 v5, vcc, v5, v10, vcc
	v_mad_u64_u32 v[6:7], s[0:1], v11, v8, 0
	v_mul_hi_u32 v9, v11, v3
	v_xor_b32_e32 v5, v5, v10
	v_add_co_u32_e32 v12, vcc, v9, v6
	v_addc_co_u32_e32 v13, vcc, 0, v7, vcc
	v_mad_u64_u32 v[6:7], s[0:1], v5, v8, 0
	v_mad_u64_u32 v[8:9], s[0:1], v5, v3, 0
	v_add_co_u32_e32 v3, vcc, v12, v8
	v_addc_co_u32_e32 v3, vcc, v13, v9, vcc
	v_addc_co_u32_e32 v7, vcc, 0, v7, vcc
	v_add_co_u32_e32 v3, vcc, v3, v6
	v_addc_co_u32_e32 v8, vcc, 0, v7, vcc
	v_mul_lo_u32 v9, s29, v3
	v_mul_lo_u32 v12, s28, v8
	v_mad_u64_u32 v[6:7], s[0:1], s28, v3, 0
	v_add3_u32 v7, v7, v12, v9
	v_sub_u32_e32 v9, v5, v7
	v_mov_b32_e32 v12, s29
	v_sub_co_u32_e32 v6, vcc, v11, v6
	v_subb_co_u32_e64 v9, s[0:1], v9, v12, vcc
	v_subrev_co_u32_e64 v11, s[0:1], s28, v6
	v_subbrev_co_u32_e64 v9, s[0:1], 0, v9, s[0:1]
	v_cmp_le_u32_e64 s[0:1], s29, v9
	v_cndmask_b32_e64 v12, 0, -1, s[0:1]
	v_cmp_le_u32_e64 s[0:1], s28, v11
	v_cndmask_b32_e64 v11, 0, -1, s[0:1]
	v_cmp_eq_u32_e64 s[0:1], s29, v9
	v_cndmask_b32_e64 v9, v12, v11, s[0:1]
	v_add_co_u32_e64 v11, s[0:1], 2, v3
	v_subb_co_u32_e32 v5, vcc, v5, v7, vcc
	v_addc_co_u32_e64 v12, s[0:1], 0, v8, s[0:1]
	v_cmp_le_u32_e32 vcc, s29, v5
	v_add_co_u32_e64 v13, s[0:1], 1, v3
	v_cndmask_b32_e64 v7, 0, -1, vcc
	v_cmp_le_u32_e32 vcc, s28, v6
	v_addc_co_u32_e64 v14, s[0:1], 0, v8, s[0:1]
	v_cndmask_b32_e64 v6, 0, -1, vcc
	v_cmp_eq_u32_e32 vcc, s29, v5
	v_cmp_ne_u32_e64 s[0:1], 0, v9
	v_cndmask_b32_e32 v5, v7, v6, vcc
	v_cmp_ne_u32_e32 vcc, 0, v5
	v_cndmask_b32_e64 v6, v13, v11, s[0:1]
	v_cndmask_b32_e64 v9, v14, v12, s[0:1]
	v_cndmask_b32_e32 v3, v3, v6, vcc
	v_xor_b32_e32 v6, s26, v10
	v_cndmask_b32_e32 v5, v8, v9, vcc
	v_xor_b32_e32 v7, s27, v10
	v_xor_b32_e32 v3, v3, v6
	;; [unrolled: 1-line block ×3, first 2 shown]
	v_sub_co_u32_e32 v6, vcc, v3, v6
	v_subb_co_u32_e32 v7, vcc, v5, v7, vcc
.LBB92_9:                               ;   in Loop: Header=BB92_3 Depth=1
	s_andn2_saveexec_b64 s[0:1], s[24:25]
	s_cbranch_execz .LBB92_11
; %bb.10:                               ;   in Loop: Header=BB92_3 Depth=1
	v_cvt_f32_u32_e32 v3, s41
	s_sub_i32 s16, 0, s41
	v_rcp_iflag_f32_e32 v3, v3
	v_mul_f32_e32 v3, 0x4f7ffffe, v3
	v_cvt_u32_f32_e32 v3, v3
	v_mul_lo_u32 v5, s16, v3
	v_mul_hi_u32 v5, v3, v5
	v_add_u32_e32 v3, v3, v5
	v_mul_hi_u32 v3, v4, v3
	v_mul_lo_u32 v5, v3, s41
	v_sub_u32_e32 v5, v4, v5
	v_add_u32_e32 v6, 1, v3
	v_subrev_u32_e32 v7, s41, v5
	v_cmp_le_u32_e32 vcc, s41, v5
	v_cndmask_b32_e32 v5, v5, v7, vcc
	v_cndmask_b32_e32 v3, v3, v6, vcc
	v_add_u32_e32 v6, 1, v3
	v_cmp_le_u32_e32 vcc, s41, v5
	v_cndmask_b32_e32 v6, v3, v6, vcc
	v_mov_b32_e32 v7, v2
.LBB92_11:                              ;   in Loop: Header=BB92_3 Depth=1
	s_or_b64 exec, exec, s[0:1]
	v_mad_u64_u32 v[8:9], s[0:1], v4, s33, 0
	v_sub_co_u32_e32 v26, vcc, v0, v8
	v_mad_u64_u32 v[8:9], s[0:1], v6, s41, 0
	v_sub_co_u32_e32 v25, vcc, v4, v8
	v_sub_u32_e32 v4, v26, v25
	v_ashrrev_i32_e32 v5, 31, v4
	v_cmp_gt_i64_e32 vcc, s[8:9], v[4:5]
	s_and_saveexec_b64 s[24:25], vcc
	s_cbranch_execz .LBB92_2
; %bb.12:                               ;   in Loop: Header=BB92_3 Depth=1
	s_load_dword s49, s[4:5], 0x0
	s_load_dword s0, s[12:13], 0x0
	s_andn2_b64 vcc, exec, s[6:7]
	s_waitcnt lgkmcnt(0)
	v_mul_lo_u32 v4, s49, v26
	v_mad_u64_u32 v[4:5], s[0:1], s0, v25, v[4:5]
	s_cbranch_vccnz .LBB92_57
; %bb.13:                               ;   in Loop: Header=BB92_3 Depth=1
	s_andn2_b64 vcc, exec, s[18:19]
	s_cbranch_vccnz .LBB92_20
; %bb.14:                               ;   in Loop: Header=BB92_3 Depth=1
	s_mov_b32 s36, s48
	s_mov_b32 s16, s45
	s_branch .LBB92_16
.LBB92_15:                              ;   in Loop: Header=BB92_16 Depth=2
	s_or_b64 exec, exec, s[0:1]
	s_add_u32 s0, s43, s26
	s_addc_u32 s1, s44, s27
	s_load_dword s0, s[0:1], 0x0
	v_mul_lo_u32 v3, v6, s37
	v_sub_u32_e32 v3, v8, v3
	s_add_i32 s16, s16, -1
	s_add_i32 s36, s36, -1
	s_cmp_lg_u32 s36, 0
	s_waitcnt lgkmcnt(0)
	v_mad_u64_u32 v[4:5], s[0:1], s0, v3, v[4:5]
	s_cbranch_scc0 .LBB92_21
.LBB92_16:                              ;   Parent Loop BB92_3 Depth=1
                                        ; =>  This Inner Loop Header: Depth=2
	s_lshl_b64 s[26:27], s[16:17], 2
	s_add_u32 s0, s39, s26
	s_addc_u32 s1, s40, s27
	s_load_dword s37, s[0:1], 0x0
	v_pk_mov_b32 v[8:9], v[6:7], v[6:7] op_sel:[0,1]
                                        ; implicit-def: $vgpr6_vgpr7
	s_waitcnt lgkmcnt(0)
	s_ashr_i32 s0, s37, 31
	v_or_b32_e32 v3, s0, v9
	v_cmp_ne_u64_e32 vcc, 0, v[2:3]
	s_and_saveexec_b64 s[28:29], vcc
	s_xor_b64 s[28:29], exec, s[28:29]
	s_cbranch_execz .LBB92_18
; %bb.17:                               ;   in Loop: Header=BB92_16 Depth=2
	s_add_u32 s34, s37, s0
	s_mov_b32 s30, s0
	s_mov_b32 s31, s0
	s_addc_u32 s35, s0, s0
	s_xor_b64 s[34:35], s[34:35], s[30:31]
	v_cvt_f32_u32_e32 v3, s34
	v_cvt_f32_u32_e32 v5, s35
	s_sub_u32 s0, 0, s34
	s_subb_u32 s1, 0, s35
	v_mac_f32_e32 v3, 0x4f800000, v5
	v_rcp_f32_e32 v3, v3
	v_mul_f32_e32 v3, 0x5f7ffffc, v3
	v_mul_f32_e32 v5, 0x2f800000, v3
	v_trunc_f32_e32 v5, v5
	v_mac_f32_e32 v3, 0xcf800000, v5
	v_cvt_u32_f32_e32 v5, v5
	v_cvt_u32_f32_e32 v3, v3
	v_mul_lo_u32 v6, s0, v5
	v_mul_hi_u32 v10, s0, v3
	v_mul_lo_u32 v7, s1, v3
	v_add_u32_e32 v6, v10, v6
	v_mul_lo_u32 v11, s0, v3
	v_add_u32_e32 v6, v6, v7
	v_mul_lo_u32 v10, v3, v6
	v_mul_hi_u32 v12, v3, v11
	v_mul_hi_u32 v7, v3, v6
	v_add_co_u32_e32 v10, vcc, v12, v10
	v_addc_co_u32_e32 v7, vcc, 0, v7, vcc
	v_mul_hi_u32 v13, v5, v11
	v_mul_lo_u32 v11, v5, v11
	v_add_co_u32_e32 v10, vcc, v10, v11
	v_mul_hi_u32 v12, v5, v6
	v_addc_co_u32_e32 v7, vcc, v7, v13, vcc
	v_addc_co_u32_e32 v10, vcc, 0, v12, vcc
	v_mul_lo_u32 v6, v5, v6
	v_add_co_u32_e32 v6, vcc, v7, v6
	v_addc_co_u32_e32 v7, vcc, 0, v10, vcc
	v_add_co_u32_e32 v3, vcc, v3, v6
	v_addc_co_u32_e32 v5, vcc, v5, v7, vcc
	v_mul_lo_u32 v6, s0, v5
	v_mul_hi_u32 v7, s0, v3
	v_add_u32_e32 v6, v7, v6
	v_mul_lo_u32 v7, s1, v3
	v_add_u32_e32 v6, v6, v7
	v_mul_lo_u32 v10, s0, v3
	v_mul_hi_u32 v11, v5, v10
	v_mul_lo_u32 v12, v5, v10
	v_mul_lo_u32 v14, v3, v6
	v_mul_hi_u32 v10, v3, v10
	v_mul_hi_u32 v13, v3, v6
	v_add_co_u32_e32 v10, vcc, v10, v14
	v_addc_co_u32_e32 v13, vcc, 0, v13, vcc
	v_add_co_u32_e32 v10, vcc, v10, v12
	v_mul_hi_u32 v7, v5, v6
	v_addc_co_u32_e32 v10, vcc, v13, v11, vcc
	v_addc_co_u32_e32 v7, vcc, 0, v7, vcc
	v_mul_lo_u32 v6, v5, v6
	v_add_co_u32_e32 v6, vcc, v10, v6
	v_addc_co_u32_e32 v7, vcc, 0, v7, vcc
	v_add_co_u32_e32 v3, vcc, v3, v6
	v_addc_co_u32_e32 v5, vcc, v5, v7, vcc
	v_ashrrev_i32_e32 v12, 31, v9
	v_add_co_u32_e32 v6, vcc, v8, v12
	v_addc_co_u32_e32 v7, vcc, v9, v12, vcc
	v_xor_b32_e32 v13, v6, v12
	v_xor_b32_e32 v9, v7, v12
	v_mad_u64_u32 v[6:7], s[0:1], v13, v5, 0
	v_mul_hi_u32 v10, v13, v3
	v_add_co_u32_e32 v14, vcc, v10, v6
	v_addc_co_u32_e32 v15, vcc, 0, v7, vcc
	v_mad_u64_u32 v[10:11], s[0:1], v9, v3, 0
	v_add_co_u32_e32 v3, vcc, v14, v10
	v_mad_u64_u32 v[6:7], s[0:1], v9, v5, 0
	v_addc_co_u32_e32 v3, vcc, v15, v11, vcc
	v_addc_co_u32_e32 v5, vcc, 0, v7, vcc
	v_add_co_u32_e32 v3, vcc, v3, v6
	v_addc_co_u32_e32 v5, vcc, 0, v5, vcc
	v_mul_lo_u32 v10, s35, v3
	v_mul_lo_u32 v11, s34, v5
	v_mad_u64_u32 v[6:7], s[0:1], s34, v3, 0
	v_add3_u32 v7, v7, v11, v10
	v_sub_u32_e32 v10, v9, v7
	v_mov_b32_e32 v11, s35
	v_sub_co_u32_e32 v6, vcc, v13, v6
	v_subb_co_u32_e64 v10, s[0:1], v10, v11, vcc
	v_subrev_co_u32_e64 v11, s[0:1], s34, v6
	v_subbrev_co_u32_e64 v10, s[0:1], 0, v10, s[0:1]
	v_cmp_le_u32_e64 s[0:1], s35, v10
	v_cndmask_b32_e64 v13, 0, -1, s[0:1]
	v_cmp_le_u32_e64 s[0:1], s34, v11
	v_cndmask_b32_e64 v11, 0, -1, s[0:1]
	v_cmp_eq_u32_e64 s[0:1], s35, v10
	v_cndmask_b32_e64 v10, v13, v11, s[0:1]
	v_add_co_u32_e64 v11, s[0:1], 2, v3
	v_subb_co_u32_e32 v7, vcc, v9, v7, vcc
	v_addc_co_u32_e64 v13, s[0:1], 0, v5, s[0:1]
	v_cmp_le_u32_e32 vcc, s35, v7
	v_add_co_u32_e64 v14, s[0:1], 1, v3
	v_cndmask_b32_e64 v9, 0, -1, vcc
	v_cmp_le_u32_e32 vcc, s34, v6
	v_addc_co_u32_e64 v15, s[0:1], 0, v5, s[0:1]
	v_cndmask_b32_e64 v6, 0, -1, vcc
	v_cmp_eq_u32_e32 vcc, s35, v7
	v_cmp_ne_u32_e64 s[0:1], 0, v10
	v_cndmask_b32_e32 v6, v9, v6, vcc
	v_cmp_ne_u32_e32 vcc, 0, v6
	v_cndmask_b32_e64 v6, v14, v11, s[0:1]
	v_cndmask_b32_e64 v10, v15, v13, s[0:1]
	v_cndmask_b32_e32 v3, v3, v6, vcc
	v_xor_b32_e32 v6, s30, v12
	v_cndmask_b32_e32 v5, v5, v10, vcc
	v_xor_b32_e32 v7, s31, v12
	v_xor_b32_e32 v3, v3, v6
	;; [unrolled: 1-line block ×3, first 2 shown]
	v_sub_co_u32_e32 v6, vcc, v3, v6
	v_subb_co_u32_e32 v7, vcc, v5, v7, vcc
.LBB92_18:                              ;   in Loop: Header=BB92_16 Depth=2
	s_andn2_saveexec_b64 s[0:1], s[28:29]
	s_cbranch_execz .LBB92_15
; %bb.19:                               ;   in Loop: Header=BB92_16 Depth=2
	v_cvt_f32_u32_e32 v3, s37
	s_sub_i32 s28, 0, s37
	v_rcp_iflag_f32_e32 v3, v3
	v_mul_f32_e32 v3, 0x4f7ffffe, v3
	v_cvt_u32_f32_e32 v3, v3
	v_mul_lo_u32 v5, s28, v3
	v_mul_hi_u32 v5, v3, v5
	v_add_u32_e32 v3, v3, v5
	v_mul_hi_u32 v3, v8, v3
	v_mul_lo_u32 v5, v3, s37
	v_sub_u32_e32 v5, v8, v5
	v_add_u32_e32 v6, 1, v3
	v_subrev_u32_e32 v7, s37, v5
	v_cmp_le_u32_e32 vcc, s37, v5
	v_cndmask_b32_e32 v5, v5, v7, vcc
	v_cndmask_b32_e32 v3, v3, v6, vcc
	v_add_u32_e32 v6, 1, v3
	v_cmp_le_u32_e32 vcc, s37, v5
	v_cndmask_b32_e32 v6, v3, v6, vcc
	v_mov_b32_e32 v7, v2
	s_branch .LBB92_15
.LBB92_20:                              ;   in Loop: Header=BB92_3 Depth=1
	s_mov_b32 s16, s45
.LBB92_21:                              ;   in Loop: Header=BB92_3 Depth=1
	s_andn2_b64 vcc, exec, s[20:21]
	s_cbranch_vccnz .LBB92_57
; %bb.22:                               ;   in Loop: Header=BB92_3 Depth=1
	s_add_i32 s26, s16, -7
.LBB92_23:                              ;   Parent Loop BB92_3 Depth=1
                                        ; =>  This Inner Loop Header: Depth=2
	s_add_i32 s16, s26, 7
	s_lshl_b64 s[28:29], s[16:17], 2
	s_add_u32 s0, s39, s28
	s_addc_u32 s1, s40, s29
	s_load_dword s50, s[0:1], 0x0
                                        ; implicit-def: $vgpr8_vgpr9
	s_waitcnt lgkmcnt(0)
	s_ashr_i32 s0, s50, 31
	v_or_b32_e32 v3, s0, v7
	v_cmp_ne_u64_e32 vcc, 0, v[2:3]
	s_and_saveexec_b64 s[30:31], vcc
	s_xor_b64 s[30:31], exec, s[30:31]
	s_cbranch_execz .LBB92_25
; %bb.24:                               ;   in Loop: Header=BB92_23 Depth=2
	s_add_u32 s36, s50, s0
	s_mov_b32 s34, s0
	s_mov_b32 s35, s0
	s_addc_u32 s37, s0, s0
	s_xor_b64 s[36:37], s[36:37], s[34:35]
	v_cvt_f32_u32_e32 v3, s36
	v_cvt_f32_u32_e32 v5, s37
	s_sub_u32 s0, 0, s36
	s_subb_u32 s1, 0, s37
	v_mac_f32_e32 v3, 0x4f800000, v5
	v_rcp_f32_e32 v3, v3
	v_mul_f32_e32 v3, 0x5f7ffffc, v3
	v_mul_f32_e32 v5, 0x2f800000, v3
	v_trunc_f32_e32 v5, v5
	v_mac_f32_e32 v3, 0xcf800000, v5
	v_cvt_u32_f32_e32 v5, v5
	v_cvt_u32_f32_e32 v3, v3
	v_mul_lo_u32 v8, s0, v5
	v_mul_hi_u32 v10, s0, v3
	v_mul_lo_u32 v9, s1, v3
	v_add_u32_e32 v8, v10, v8
	v_mul_lo_u32 v11, s0, v3
	v_add_u32_e32 v8, v8, v9
	v_mul_lo_u32 v10, v3, v8
	v_mul_hi_u32 v12, v3, v11
	v_mul_hi_u32 v9, v3, v8
	v_add_co_u32_e32 v10, vcc, v12, v10
	v_addc_co_u32_e32 v9, vcc, 0, v9, vcc
	v_mul_hi_u32 v13, v5, v11
	v_mul_lo_u32 v11, v5, v11
	v_add_co_u32_e32 v10, vcc, v10, v11
	v_mul_hi_u32 v12, v5, v8
	v_addc_co_u32_e32 v9, vcc, v9, v13, vcc
	v_addc_co_u32_e32 v10, vcc, 0, v12, vcc
	v_mul_lo_u32 v8, v5, v8
	v_add_co_u32_e32 v8, vcc, v9, v8
	v_addc_co_u32_e32 v9, vcc, 0, v10, vcc
	v_add_co_u32_e32 v3, vcc, v3, v8
	v_addc_co_u32_e32 v5, vcc, v5, v9, vcc
	v_mul_lo_u32 v8, s0, v5
	v_mul_hi_u32 v9, s0, v3
	v_add_u32_e32 v8, v9, v8
	v_mul_lo_u32 v9, s1, v3
	v_add_u32_e32 v8, v8, v9
	v_mul_lo_u32 v10, s0, v3
	v_mul_hi_u32 v11, v5, v10
	v_mul_lo_u32 v12, v5, v10
	v_mul_lo_u32 v14, v3, v8
	v_mul_hi_u32 v10, v3, v10
	v_mul_hi_u32 v13, v3, v8
	v_add_co_u32_e32 v10, vcc, v10, v14
	v_addc_co_u32_e32 v13, vcc, 0, v13, vcc
	v_add_co_u32_e32 v10, vcc, v10, v12
	v_mul_hi_u32 v9, v5, v8
	v_addc_co_u32_e32 v10, vcc, v13, v11, vcc
	v_addc_co_u32_e32 v9, vcc, 0, v9, vcc
	v_mul_lo_u32 v8, v5, v8
	v_add_co_u32_e32 v8, vcc, v10, v8
	v_addc_co_u32_e32 v9, vcc, 0, v9, vcc
	v_add_co_u32_e32 v3, vcc, v3, v8
	v_addc_co_u32_e32 v5, vcc, v5, v9, vcc
	v_ashrrev_i32_e32 v12, 31, v7
	v_add_co_u32_e32 v8, vcc, v6, v12
	v_xor_b32_e32 v13, v8, v12
	v_addc_co_u32_e32 v7, vcc, v7, v12, vcc
	v_mad_u64_u32 v[8:9], s[0:1], v13, v5, 0
	v_mul_hi_u32 v10, v13, v3
	v_xor_b32_e32 v7, v7, v12
	v_add_co_u32_e32 v14, vcc, v10, v8
	v_addc_co_u32_e32 v15, vcc, 0, v9, vcc
	v_mad_u64_u32 v[10:11], s[0:1], v7, v3, 0
	v_add_co_u32_e32 v3, vcc, v14, v10
	v_mad_u64_u32 v[8:9], s[0:1], v7, v5, 0
	v_addc_co_u32_e32 v3, vcc, v15, v11, vcc
	v_addc_co_u32_e32 v5, vcc, 0, v9, vcc
	v_add_co_u32_e32 v3, vcc, v3, v8
	v_addc_co_u32_e32 v5, vcc, 0, v5, vcc
	v_mul_lo_u32 v10, s37, v3
	v_mul_lo_u32 v11, s36, v5
	v_mad_u64_u32 v[8:9], s[0:1], s36, v3, 0
	v_add3_u32 v9, v9, v11, v10
	v_sub_u32_e32 v10, v7, v9
	v_mov_b32_e32 v11, s37
	v_sub_co_u32_e32 v8, vcc, v13, v8
	v_subb_co_u32_e64 v10, s[0:1], v10, v11, vcc
	v_subrev_co_u32_e64 v11, s[0:1], s36, v8
	v_subbrev_co_u32_e64 v10, s[0:1], 0, v10, s[0:1]
	v_cmp_le_u32_e64 s[0:1], s37, v10
	v_cndmask_b32_e64 v13, 0, -1, s[0:1]
	v_cmp_le_u32_e64 s[0:1], s36, v11
	v_cndmask_b32_e64 v11, 0, -1, s[0:1]
	v_cmp_eq_u32_e64 s[0:1], s37, v10
	v_cndmask_b32_e64 v10, v13, v11, s[0:1]
	v_add_co_u32_e64 v11, s[0:1], 2, v3
	v_subb_co_u32_e32 v7, vcc, v7, v9, vcc
	v_addc_co_u32_e64 v13, s[0:1], 0, v5, s[0:1]
	v_cmp_le_u32_e32 vcc, s37, v7
	v_add_co_u32_e64 v14, s[0:1], 1, v3
	v_cndmask_b32_e64 v9, 0, -1, vcc
	v_cmp_le_u32_e32 vcc, s36, v8
	v_addc_co_u32_e64 v15, s[0:1], 0, v5, s[0:1]
	v_cndmask_b32_e64 v8, 0, -1, vcc
	v_cmp_eq_u32_e32 vcc, s37, v7
	v_cmp_ne_u32_e64 s[0:1], 0, v10
	v_cndmask_b32_e32 v7, v9, v8, vcc
	v_cmp_ne_u32_e32 vcc, 0, v7
	v_cndmask_b32_e64 v7, v14, v11, s[0:1]
	v_cndmask_b32_e64 v10, v15, v13, s[0:1]
	v_cndmask_b32_e32 v3, v3, v7, vcc
	v_xor_b32_e32 v8, s34, v12
	v_cndmask_b32_e32 v5, v5, v10, vcc
	v_xor_b32_e32 v7, s35, v12
	v_xor_b32_e32 v3, v3, v8
	;; [unrolled: 1-line block ×3, first 2 shown]
	v_sub_co_u32_e32 v8, vcc, v3, v8
	v_subb_co_u32_e32 v9, vcc, v5, v7, vcc
.LBB92_25:                              ;   in Loop: Header=BB92_23 Depth=2
	s_andn2_saveexec_b64 s[0:1], s[30:31]
	s_cbranch_execz .LBB92_27
; %bb.26:                               ;   in Loop: Header=BB92_23 Depth=2
	v_cvt_f32_u32_e32 v3, s50
	s_sub_i32 s16, 0, s50
	v_mov_b32_e32 v9, v2
	v_rcp_iflag_f32_e32 v3, v3
	v_mul_f32_e32 v3, 0x4f7ffffe, v3
	v_cvt_u32_f32_e32 v3, v3
	v_mul_lo_u32 v5, s16, v3
	v_mul_hi_u32 v5, v3, v5
	v_add_u32_e32 v3, v3, v5
	v_mul_hi_u32 v3, v6, v3
	v_mul_lo_u32 v5, v3, s50
	v_sub_u32_e32 v5, v6, v5
	v_add_u32_e32 v7, 1, v3
	v_subrev_u32_e32 v8, s50, v5
	v_cmp_le_u32_e32 vcc, s50, v5
	v_cndmask_b32_e32 v5, v5, v8, vcc
	v_cndmask_b32_e32 v3, v3, v7, vcc
	v_add_u32_e32 v7, 1, v3
	v_cmp_le_u32_e32 vcc, s50, v5
	v_cndmask_b32_e32 v8, v3, v7, vcc
.LBB92_27:                              ;   in Loop: Header=BB92_23 Depth=2
	s_or_b64 exec, exec, s[0:1]
	s_add_u32 s0, s43, s28
	s_addc_u32 s1, s44, s29
	s_add_i32 s16, s26, 6
	s_lshl_b64 s[28:29], s[16:17], 2
	s_add_u32 s30, s39, s28
	s_addc_u32 s31, s40, s29
	s_load_dword s51, s[30:31], 0x0
	s_load_dword s52, s[0:1], 0x0
                                        ; implicit-def: $vgpr10_vgpr11
	s_waitcnt lgkmcnt(0)
	s_ashr_i32 s0, s51, 31
	v_or_b32_e32 v3, s0, v9
	v_cmp_ne_u64_e32 vcc, 0, v[2:3]
	s_and_saveexec_b64 s[30:31], vcc
	s_xor_b64 s[30:31], exec, s[30:31]
	s_cbranch_execz .LBB92_29
; %bb.28:                               ;   in Loop: Header=BB92_23 Depth=2
	s_add_u32 s36, s51, s0
	s_mov_b32 s34, s0
	s_mov_b32 s35, s0
	s_addc_u32 s37, s0, s0
	s_xor_b64 s[36:37], s[36:37], s[34:35]
	v_cvt_f32_u32_e32 v3, s36
	v_cvt_f32_u32_e32 v5, s37
	s_sub_u32 s0, 0, s36
	s_subb_u32 s1, 0, s37
	v_mac_f32_e32 v3, 0x4f800000, v5
	v_rcp_f32_e32 v3, v3
	v_mul_f32_e32 v3, 0x5f7ffffc, v3
	v_mul_f32_e32 v5, 0x2f800000, v3
	v_trunc_f32_e32 v5, v5
	v_mac_f32_e32 v3, 0xcf800000, v5
	v_cvt_u32_f32_e32 v5, v5
	v_cvt_u32_f32_e32 v3, v3
	v_mul_lo_u32 v7, s0, v5
	v_mul_hi_u32 v11, s0, v3
	v_mul_lo_u32 v10, s1, v3
	v_add_u32_e32 v7, v11, v7
	v_mul_lo_u32 v12, s0, v3
	v_add_u32_e32 v7, v7, v10
	v_mul_lo_u32 v11, v3, v7
	v_mul_hi_u32 v13, v3, v12
	v_mul_hi_u32 v10, v3, v7
	v_add_co_u32_e32 v11, vcc, v13, v11
	v_addc_co_u32_e32 v10, vcc, 0, v10, vcc
	v_mul_hi_u32 v14, v5, v12
	v_mul_lo_u32 v12, v5, v12
	v_add_co_u32_e32 v11, vcc, v11, v12
	v_mul_hi_u32 v13, v5, v7
	v_addc_co_u32_e32 v10, vcc, v10, v14, vcc
	v_addc_co_u32_e32 v11, vcc, 0, v13, vcc
	v_mul_lo_u32 v7, v5, v7
	v_add_co_u32_e32 v7, vcc, v10, v7
	v_addc_co_u32_e32 v10, vcc, 0, v11, vcc
	v_add_co_u32_e32 v3, vcc, v3, v7
	v_addc_co_u32_e32 v5, vcc, v5, v10, vcc
	v_mul_lo_u32 v7, s0, v5
	v_mul_hi_u32 v10, s0, v3
	v_add_u32_e32 v7, v10, v7
	v_mul_lo_u32 v10, s1, v3
	v_add_u32_e32 v7, v7, v10
	v_mul_lo_u32 v11, s0, v3
	v_mul_hi_u32 v12, v5, v11
	v_mul_lo_u32 v13, v5, v11
	v_mul_lo_u32 v15, v3, v7
	v_mul_hi_u32 v11, v3, v11
	v_mul_hi_u32 v14, v3, v7
	v_add_co_u32_e32 v11, vcc, v11, v15
	v_addc_co_u32_e32 v14, vcc, 0, v14, vcc
	v_add_co_u32_e32 v11, vcc, v11, v13
	v_mul_hi_u32 v10, v5, v7
	v_addc_co_u32_e32 v11, vcc, v14, v12, vcc
	v_addc_co_u32_e32 v10, vcc, 0, v10, vcc
	v_mul_lo_u32 v7, v5, v7
	v_add_co_u32_e32 v7, vcc, v11, v7
	v_addc_co_u32_e32 v10, vcc, 0, v10, vcc
	v_add_co_u32_e32 v3, vcc, v3, v7
	v_addc_co_u32_e32 v5, vcc, v5, v10, vcc
	v_ashrrev_i32_e32 v7, 31, v9
	v_add_co_u32_e32 v10, vcc, v8, v7
	v_xor_b32_e32 v14, v10, v7
	v_addc_co_u32_e32 v9, vcc, v9, v7, vcc
	v_mad_u64_u32 v[10:11], s[0:1], v14, v5, 0
	v_mul_hi_u32 v12, v14, v3
	v_xor_b32_e32 v9, v9, v7
	v_add_co_u32_e32 v15, vcc, v12, v10
	v_addc_co_u32_e32 v16, vcc, 0, v11, vcc
	v_mad_u64_u32 v[12:13], s[0:1], v9, v3, 0
	v_add_co_u32_e32 v3, vcc, v15, v12
	v_mad_u64_u32 v[10:11], s[0:1], v9, v5, 0
	v_addc_co_u32_e32 v3, vcc, v16, v13, vcc
	v_addc_co_u32_e32 v5, vcc, 0, v11, vcc
	v_add_co_u32_e32 v3, vcc, v3, v10
	v_addc_co_u32_e32 v5, vcc, 0, v5, vcc
	v_mul_lo_u32 v12, s37, v3
	v_mul_lo_u32 v13, s36, v5
	v_mad_u64_u32 v[10:11], s[0:1], s36, v3, 0
	v_add3_u32 v11, v11, v13, v12
	v_sub_u32_e32 v12, v9, v11
	v_mov_b32_e32 v13, s37
	v_sub_co_u32_e32 v10, vcc, v14, v10
	v_subb_co_u32_e64 v12, s[0:1], v12, v13, vcc
	v_subrev_co_u32_e64 v13, s[0:1], s36, v10
	v_subbrev_co_u32_e64 v12, s[0:1], 0, v12, s[0:1]
	v_cmp_le_u32_e64 s[0:1], s37, v12
	v_cndmask_b32_e64 v14, 0, -1, s[0:1]
	v_cmp_le_u32_e64 s[0:1], s36, v13
	v_cndmask_b32_e64 v13, 0, -1, s[0:1]
	v_cmp_eq_u32_e64 s[0:1], s37, v12
	v_cndmask_b32_e64 v12, v14, v13, s[0:1]
	v_add_co_u32_e64 v13, s[0:1], 2, v3
	v_subb_co_u32_e32 v9, vcc, v9, v11, vcc
	v_addc_co_u32_e64 v14, s[0:1], 0, v5, s[0:1]
	v_cmp_le_u32_e32 vcc, s37, v9
	v_add_co_u32_e64 v15, s[0:1], 1, v3
	v_cndmask_b32_e64 v11, 0, -1, vcc
	v_cmp_le_u32_e32 vcc, s36, v10
	v_addc_co_u32_e64 v16, s[0:1], 0, v5, s[0:1]
	v_cndmask_b32_e64 v10, 0, -1, vcc
	v_cmp_eq_u32_e32 vcc, s37, v9
	v_cmp_ne_u32_e64 s[0:1], 0, v12
	v_cndmask_b32_e32 v9, v11, v10, vcc
	v_cmp_ne_u32_e32 vcc, 0, v9
	v_cndmask_b32_e64 v9, v15, v13, s[0:1]
	v_cndmask_b32_e64 v12, v16, v14, s[0:1]
	v_cndmask_b32_e32 v3, v3, v9, vcc
	v_xor_b32_e32 v9, s35, v7
	v_xor_b32_e32 v7, s34, v7
	v_cndmask_b32_e32 v5, v5, v12, vcc
	v_xor_b32_e32 v3, v3, v7
	v_xor_b32_e32 v5, v5, v9
	v_sub_co_u32_e32 v10, vcc, v3, v7
	v_subb_co_u32_e32 v11, vcc, v5, v9, vcc
.LBB92_29:                              ;   in Loop: Header=BB92_23 Depth=2
	s_andn2_saveexec_b64 s[0:1], s[30:31]
	s_cbranch_execz .LBB92_31
; %bb.30:                               ;   in Loop: Header=BB92_23 Depth=2
	v_cvt_f32_u32_e32 v3, s51
	s_sub_i32 s16, 0, s51
	v_mov_b32_e32 v11, v2
	v_rcp_iflag_f32_e32 v3, v3
	v_mul_f32_e32 v3, 0x4f7ffffe, v3
	v_cvt_u32_f32_e32 v3, v3
	v_mul_lo_u32 v5, s16, v3
	v_mul_hi_u32 v5, v3, v5
	v_add_u32_e32 v3, v3, v5
	v_mul_hi_u32 v3, v8, v3
	v_mul_lo_u32 v5, v3, s51
	v_sub_u32_e32 v5, v8, v5
	v_add_u32_e32 v7, 1, v3
	v_subrev_u32_e32 v9, s51, v5
	v_cmp_le_u32_e32 vcc, s51, v5
	v_cndmask_b32_e32 v5, v5, v9, vcc
	v_cndmask_b32_e32 v3, v3, v7, vcc
	v_add_u32_e32 v7, 1, v3
	v_cmp_le_u32_e32 vcc, s51, v5
	v_cndmask_b32_e32 v10, v3, v7, vcc
.LBB92_31:                              ;   in Loop: Header=BB92_23 Depth=2
	s_or_b64 exec, exec, s[0:1]
	s_add_u32 s0, s43, s28
	s_addc_u32 s1, s44, s29
	s_add_i32 s16, s26, 5
	s_lshl_b64 s[28:29], s[16:17], 2
	s_add_u32 s30, s39, s28
	s_addc_u32 s31, s40, s29
	s_load_dword s53, s[30:31], 0x0
	s_load_dword s54, s[0:1], 0x0
                                        ; implicit-def: $vgpr12_vgpr13
	s_waitcnt lgkmcnt(0)
	s_ashr_i32 s0, s53, 31
	v_or_b32_e32 v3, s0, v11
	v_cmp_ne_u64_e32 vcc, 0, v[2:3]
	s_and_saveexec_b64 s[30:31], vcc
	s_xor_b64 s[30:31], exec, s[30:31]
	s_cbranch_execz .LBB92_33
; %bb.32:                               ;   in Loop: Header=BB92_23 Depth=2
	s_add_u32 s36, s53, s0
	s_mov_b32 s34, s0
	s_mov_b32 s35, s0
	s_addc_u32 s37, s0, s0
	s_xor_b64 s[36:37], s[36:37], s[34:35]
	v_cvt_f32_u32_e32 v3, s36
	v_cvt_f32_u32_e32 v5, s37
	s_sub_u32 s0, 0, s36
	s_subb_u32 s1, 0, s37
	v_mac_f32_e32 v3, 0x4f800000, v5
	v_rcp_f32_e32 v3, v3
	v_mul_f32_e32 v3, 0x5f7ffffc, v3
	v_mul_f32_e32 v5, 0x2f800000, v3
	v_trunc_f32_e32 v5, v5
	v_mac_f32_e32 v3, 0xcf800000, v5
	v_cvt_u32_f32_e32 v5, v5
	v_cvt_u32_f32_e32 v3, v3
	v_mul_lo_u32 v7, s0, v5
	v_mul_hi_u32 v12, s0, v3
	v_mul_lo_u32 v9, s1, v3
	v_add_u32_e32 v7, v12, v7
	v_mul_lo_u32 v13, s0, v3
	v_add_u32_e32 v7, v7, v9
	v_mul_lo_u32 v12, v3, v7
	v_mul_hi_u32 v14, v3, v13
	v_mul_hi_u32 v9, v3, v7
	v_add_co_u32_e32 v12, vcc, v14, v12
	v_addc_co_u32_e32 v9, vcc, 0, v9, vcc
	v_mul_hi_u32 v15, v5, v13
	v_mul_lo_u32 v13, v5, v13
	v_add_co_u32_e32 v12, vcc, v12, v13
	v_mul_hi_u32 v14, v5, v7
	v_addc_co_u32_e32 v9, vcc, v9, v15, vcc
	v_addc_co_u32_e32 v12, vcc, 0, v14, vcc
	v_mul_lo_u32 v7, v5, v7
	v_add_co_u32_e32 v7, vcc, v9, v7
	v_addc_co_u32_e32 v9, vcc, 0, v12, vcc
	v_add_co_u32_e32 v3, vcc, v3, v7
	v_addc_co_u32_e32 v5, vcc, v5, v9, vcc
	v_mul_lo_u32 v7, s0, v5
	v_mul_hi_u32 v9, s0, v3
	v_add_u32_e32 v7, v9, v7
	v_mul_lo_u32 v9, s1, v3
	v_add_u32_e32 v7, v7, v9
	v_mul_lo_u32 v12, s0, v3
	v_mul_hi_u32 v13, v5, v12
	v_mul_lo_u32 v14, v5, v12
	v_mul_lo_u32 v16, v3, v7
	v_mul_hi_u32 v12, v3, v12
	v_mul_hi_u32 v15, v3, v7
	v_add_co_u32_e32 v12, vcc, v12, v16
	v_addc_co_u32_e32 v15, vcc, 0, v15, vcc
	v_add_co_u32_e32 v12, vcc, v12, v14
	v_mul_hi_u32 v9, v5, v7
	v_addc_co_u32_e32 v12, vcc, v15, v13, vcc
	v_addc_co_u32_e32 v9, vcc, 0, v9, vcc
	v_mul_lo_u32 v7, v5, v7
	v_add_co_u32_e32 v7, vcc, v12, v7
	v_addc_co_u32_e32 v9, vcc, 0, v9, vcc
	v_add_co_u32_e32 v3, vcc, v3, v7
	v_addc_co_u32_e32 v5, vcc, v5, v9, vcc
	v_ashrrev_i32_e32 v7, 31, v11
	v_add_co_u32_e32 v9, vcc, v10, v7
	v_xor_b32_e32 v9, v9, v7
	v_addc_co_u32_e32 v11, vcc, v11, v7, vcc
	v_mad_u64_u32 v[12:13], s[0:1], v9, v5, 0
	v_mul_hi_u32 v14, v9, v3
	v_xor_b32_e32 v11, v11, v7
	v_add_co_u32_e32 v16, vcc, v14, v12
	v_addc_co_u32_e32 v17, vcc, 0, v13, vcc
	v_mad_u64_u32 v[14:15], s[0:1], v11, v3, 0
	v_add_co_u32_e32 v3, vcc, v16, v14
	v_mad_u64_u32 v[12:13], s[0:1], v11, v5, 0
	v_addc_co_u32_e32 v3, vcc, v17, v15, vcc
	v_addc_co_u32_e32 v5, vcc, 0, v13, vcc
	v_add_co_u32_e32 v3, vcc, v3, v12
	v_addc_co_u32_e32 v5, vcc, 0, v5, vcc
	v_mul_lo_u32 v14, s37, v3
	v_mul_lo_u32 v15, s36, v5
	v_mad_u64_u32 v[12:13], s[0:1], s36, v3, 0
	v_add3_u32 v13, v13, v15, v14
	v_sub_u32_e32 v14, v11, v13
	v_mov_b32_e32 v15, s37
	v_sub_co_u32_e32 v9, vcc, v9, v12
	v_subb_co_u32_e64 v12, s[0:1], v14, v15, vcc
	v_subrev_co_u32_e64 v14, s[0:1], s36, v9
	v_subbrev_co_u32_e64 v12, s[0:1], 0, v12, s[0:1]
	v_cmp_le_u32_e64 s[0:1], s37, v12
	v_cndmask_b32_e64 v15, 0, -1, s[0:1]
	v_cmp_le_u32_e64 s[0:1], s36, v14
	v_cndmask_b32_e64 v14, 0, -1, s[0:1]
	v_cmp_eq_u32_e64 s[0:1], s37, v12
	v_cndmask_b32_e64 v12, v15, v14, s[0:1]
	v_add_co_u32_e64 v14, s[0:1], 2, v3
	v_subb_co_u32_e32 v11, vcc, v11, v13, vcc
	v_addc_co_u32_e64 v15, s[0:1], 0, v5, s[0:1]
	v_cmp_le_u32_e32 vcc, s37, v11
	v_add_co_u32_e64 v16, s[0:1], 1, v3
	v_cndmask_b32_e64 v13, 0, -1, vcc
	v_cmp_le_u32_e32 vcc, s36, v9
	v_addc_co_u32_e64 v17, s[0:1], 0, v5, s[0:1]
	v_cndmask_b32_e64 v9, 0, -1, vcc
	v_cmp_eq_u32_e32 vcc, s37, v11
	v_cmp_ne_u32_e64 s[0:1], 0, v12
	v_cndmask_b32_e32 v9, v13, v9, vcc
	v_cmp_ne_u32_e32 vcc, 0, v9
	v_cndmask_b32_e64 v9, v16, v14, s[0:1]
	v_cndmask_b32_e64 v12, v17, v15, s[0:1]
	v_cndmask_b32_e32 v3, v3, v9, vcc
	v_xor_b32_e32 v9, s35, v7
	v_xor_b32_e32 v7, s34, v7
	v_cndmask_b32_e32 v5, v5, v12, vcc
	v_xor_b32_e32 v3, v3, v7
	v_xor_b32_e32 v5, v5, v9
	v_sub_co_u32_e32 v12, vcc, v3, v7
	v_subb_co_u32_e32 v13, vcc, v5, v9, vcc
.LBB92_33:                              ;   in Loop: Header=BB92_23 Depth=2
	s_andn2_saveexec_b64 s[0:1], s[30:31]
	s_cbranch_execz .LBB92_35
; %bb.34:                               ;   in Loop: Header=BB92_23 Depth=2
	v_cvt_f32_u32_e32 v3, s53
	s_sub_i32 s16, 0, s53
	v_mov_b32_e32 v13, v2
	v_rcp_iflag_f32_e32 v3, v3
	v_mul_f32_e32 v3, 0x4f7ffffe, v3
	v_cvt_u32_f32_e32 v3, v3
	v_mul_lo_u32 v5, s16, v3
	v_mul_hi_u32 v5, v3, v5
	v_add_u32_e32 v3, v3, v5
	v_mul_hi_u32 v3, v10, v3
	v_mul_lo_u32 v5, v3, s53
	v_sub_u32_e32 v5, v10, v5
	v_add_u32_e32 v7, 1, v3
	v_subrev_u32_e32 v9, s53, v5
	v_cmp_le_u32_e32 vcc, s53, v5
	v_cndmask_b32_e32 v5, v5, v9, vcc
	v_cndmask_b32_e32 v3, v3, v7, vcc
	v_add_u32_e32 v7, 1, v3
	v_cmp_le_u32_e32 vcc, s53, v5
	v_cndmask_b32_e32 v12, v3, v7, vcc
.LBB92_35:                              ;   in Loop: Header=BB92_23 Depth=2
	s_or_b64 exec, exec, s[0:1]
	s_add_u32 s0, s43, s28
	s_addc_u32 s1, s44, s29
	s_add_i32 s16, s26, 4
	s_lshl_b64 s[28:29], s[16:17], 2
	s_add_u32 s30, s39, s28
	s_addc_u32 s31, s40, s29
	s_load_dword s55, s[30:31], 0x0
	s_load_dword s56, s[0:1], 0x0
                                        ; implicit-def: $vgpr14_vgpr15
	s_waitcnt lgkmcnt(0)
	s_ashr_i32 s0, s55, 31
	v_or_b32_e32 v3, s0, v13
	v_cmp_ne_u64_e32 vcc, 0, v[2:3]
	s_and_saveexec_b64 s[30:31], vcc
	s_xor_b64 s[30:31], exec, s[30:31]
	s_cbranch_execz .LBB92_37
; %bb.36:                               ;   in Loop: Header=BB92_23 Depth=2
	s_add_u32 s36, s55, s0
	s_mov_b32 s34, s0
	s_mov_b32 s35, s0
	s_addc_u32 s37, s0, s0
	s_xor_b64 s[36:37], s[36:37], s[34:35]
	v_cvt_f32_u32_e32 v3, s36
	v_cvt_f32_u32_e32 v5, s37
	s_sub_u32 s0, 0, s36
	s_subb_u32 s1, 0, s37
	v_mac_f32_e32 v3, 0x4f800000, v5
	v_rcp_f32_e32 v3, v3
	v_mul_f32_e32 v3, 0x5f7ffffc, v3
	v_mul_f32_e32 v5, 0x2f800000, v3
	v_trunc_f32_e32 v5, v5
	v_mac_f32_e32 v3, 0xcf800000, v5
	v_cvt_u32_f32_e32 v5, v5
	v_cvt_u32_f32_e32 v3, v3
	v_mul_lo_u32 v7, s0, v5
	v_mul_hi_u32 v11, s0, v3
	v_mul_lo_u32 v9, s1, v3
	v_add_u32_e32 v7, v11, v7
	v_mul_lo_u32 v14, s0, v3
	v_add_u32_e32 v7, v7, v9
	v_mul_lo_u32 v11, v3, v7
	v_mul_hi_u32 v15, v3, v14
	v_mul_hi_u32 v9, v3, v7
	v_add_co_u32_e32 v11, vcc, v15, v11
	v_addc_co_u32_e32 v9, vcc, 0, v9, vcc
	v_mul_hi_u32 v16, v5, v14
	v_mul_lo_u32 v14, v5, v14
	v_add_co_u32_e32 v11, vcc, v11, v14
	v_mul_hi_u32 v15, v5, v7
	v_addc_co_u32_e32 v9, vcc, v9, v16, vcc
	v_addc_co_u32_e32 v11, vcc, 0, v15, vcc
	v_mul_lo_u32 v7, v5, v7
	v_add_co_u32_e32 v7, vcc, v9, v7
	v_addc_co_u32_e32 v9, vcc, 0, v11, vcc
	v_add_co_u32_e32 v3, vcc, v3, v7
	v_addc_co_u32_e32 v5, vcc, v5, v9, vcc
	v_mul_lo_u32 v7, s0, v5
	v_mul_hi_u32 v9, s0, v3
	v_add_u32_e32 v7, v9, v7
	v_mul_lo_u32 v9, s1, v3
	v_add_u32_e32 v7, v7, v9
	v_mul_lo_u32 v11, s0, v3
	v_mul_hi_u32 v14, v5, v11
	v_mul_lo_u32 v15, v5, v11
	v_mul_lo_u32 v17, v3, v7
	v_mul_hi_u32 v11, v3, v11
	v_mul_hi_u32 v16, v3, v7
	v_add_co_u32_e32 v11, vcc, v11, v17
	v_addc_co_u32_e32 v16, vcc, 0, v16, vcc
	v_add_co_u32_e32 v11, vcc, v11, v15
	v_mul_hi_u32 v9, v5, v7
	v_addc_co_u32_e32 v11, vcc, v16, v14, vcc
	v_addc_co_u32_e32 v9, vcc, 0, v9, vcc
	v_mul_lo_u32 v7, v5, v7
	v_add_co_u32_e32 v7, vcc, v11, v7
	v_addc_co_u32_e32 v9, vcc, 0, v9, vcc
	v_add_co_u32_e32 v3, vcc, v3, v7
	v_addc_co_u32_e32 v5, vcc, v5, v9, vcc
	v_ashrrev_i32_e32 v7, 31, v13
	v_add_co_u32_e32 v9, vcc, v12, v7
	v_xor_b32_e32 v9, v9, v7
	v_addc_co_u32_e32 v11, vcc, v13, v7, vcc
	v_mad_u64_u32 v[14:15], s[0:1], v9, v5, 0
	v_mul_hi_u32 v13, v9, v3
	v_xor_b32_e32 v11, v11, v7
	v_add_co_u32_e32 v13, vcc, v13, v14
	v_addc_co_u32_e32 v18, vcc, 0, v15, vcc
	v_mad_u64_u32 v[16:17], s[0:1], v11, v3, 0
	v_add_co_u32_e32 v3, vcc, v13, v16
	v_mad_u64_u32 v[14:15], s[0:1], v11, v5, 0
	v_addc_co_u32_e32 v3, vcc, v18, v17, vcc
	v_addc_co_u32_e32 v5, vcc, 0, v15, vcc
	v_add_co_u32_e32 v3, vcc, v3, v14
	v_addc_co_u32_e32 v5, vcc, 0, v5, vcc
	v_mul_lo_u32 v13, s37, v3
	v_mul_lo_u32 v16, s36, v5
	v_mad_u64_u32 v[14:15], s[0:1], s36, v3, 0
	v_add3_u32 v13, v15, v16, v13
	v_sub_u32_e32 v15, v11, v13
	v_mov_b32_e32 v16, s37
	v_sub_co_u32_e32 v9, vcc, v9, v14
	v_subb_co_u32_e64 v14, s[0:1], v15, v16, vcc
	v_subrev_co_u32_e64 v15, s[0:1], s36, v9
	v_subbrev_co_u32_e64 v14, s[0:1], 0, v14, s[0:1]
	v_cmp_le_u32_e64 s[0:1], s37, v14
	v_cndmask_b32_e64 v16, 0, -1, s[0:1]
	v_cmp_le_u32_e64 s[0:1], s36, v15
	v_cndmask_b32_e64 v15, 0, -1, s[0:1]
	v_cmp_eq_u32_e64 s[0:1], s37, v14
	v_cndmask_b32_e64 v14, v16, v15, s[0:1]
	v_add_co_u32_e64 v15, s[0:1], 2, v3
	v_subb_co_u32_e32 v11, vcc, v11, v13, vcc
	v_addc_co_u32_e64 v16, s[0:1], 0, v5, s[0:1]
	v_cmp_le_u32_e32 vcc, s37, v11
	v_add_co_u32_e64 v17, s[0:1], 1, v3
	v_cndmask_b32_e64 v13, 0, -1, vcc
	v_cmp_le_u32_e32 vcc, s36, v9
	v_addc_co_u32_e64 v18, s[0:1], 0, v5, s[0:1]
	v_cndmask_b32_e64 v9, 0, -1, vcc
	v_cmp_eq_u32_e32 vcc, s37, v11
	v_cmp_ne_u32_e64 s[0:1], 0, v14
	v_cndmask_b32_e32 v9, v13, v9, vcc
	v_cmp_ne_u32_e32 vcc, 0, v9
	v_cndmask_b32_e64 v9, v17, v15, s[0:1]
	v_cndmask_b32_e64 v14, v18, v16, s[0:1]
	v_cndmask_b32_e32 v3, v3, v9, vcc
	v_xor_b32_e32 v9, s35, v7
	v_xor_b32_e32 v7, s34, v7
	v_cndmask_b32_e32 v5, v5, v14, vcc
	v_xor_b32_e32 v3, v3, v7
	v_xor_b32_e32 v5, v5, v9
	v_sub_co_u32_e32 v14, vcc, v3, v7
	v_subb_co_u32_e32 v15, vcc, v5, v9, vcc
.LBB92_37:                              ;   in Loop: Header=BB92_23 Depth=2
	s_andn2_saveexec_b64 s[0:1], s[30:31]
	s_cbranch_execz .LBB92_39
; %bb.38:                               ;   in Loop: Header=BB92_23 Depth=2
	v_cvt_f32_u32_e32 v3, s55
	s_sub_i32 s16, 0, s55
	v_mov_b32_e32 v15, v2
	v_rcp_iflag_f32_e32 v3, v3
	v_mul_f32_e32 v3, 0x4f7ffffe, v3
	v_cvt_u32_f32_e32 v3, v3
	v_mul_lo_u32 v5, s16, v3
	v_mul_hi_u32 v5, v3, v5
	v_add_u32_e32 v3, v3, v5
	v_mul_hi_u32 v3, v12, v3
	v_mul_lo_u32 v5, v3, s55
	v_sub_u32_e32 v5, v12, v5
	v_add_u32_e32 v7, 1, v3
	v_subrev_u32_e32 v9, s55, v5
	v_cmp_le_u32_e32 vcc, s55, v5
	v_cndmask_b32_e32 v5, v5, v9, vcc
	v_cndmask_b32_e32 v3, v3, v7, vcc
	v_add_u32_e32 v7, 1, v3
	v_cmp_le_u32_e32 vcc, s55, v5
	v_cndmask_b32_e32 v14, v3, v7, vcc
.LBB92_39:                              ;   in Loop: Header=BB92_23 Depth=2
	s_or_b64 exec, exec, s[0:1]
	s_add_u32 s0, s43, s28
	s_addc_u32 s1, s44, s29
	s_add_i32 s16, s26, 3
	s_lshl_b64 s[28:29], s[16:17], 2
	s_add_u32 s30, s39, s28
	s_addc_u32 s31, s40, s29
	s_load_dword s57, s[30:31], 0x0
	s_load_dword s58, s[0:1], 0x0
                                        ; implicit-def: $vgpr16_vgpr17
	s_waitcnt lgkmcnt(0)
	s_ashr_i32 s0, s57, 31
	v_or_b32_e32 v3, s0, v15
	v_cmp_ne_u64_e32 vcc, 0, v[2:3]
	s_and_saveexec_b64 s[30:31], vcc
	s_xor_b64 s[30:31], exec, s[30:31]
	s_cbranch_execz .LBB92_41
; %bb.40:                               ;   in Loop: Header=BB92_23 Depth=2
	s_add_u32 s36, s57, s0
	s_mov_b32 s34, s0
	s_mov_b32 s35, s0
	s_addc_u32 s37, s0, s0
	s_xor_b64 s[36:37], s[36:37], s[34:35]
	v_cvt_f32_u32_e32 v3, s36
	v_cvt_f32_u32_e32 v5, s37
	s_sub_u32 s0, 0, s36
	s_subb_u32 s1, 0, s37
	v_mac_f32_e32 v3, 0x4f800000, v5
	v_rcp_f32_e32 v3, v3
	v_mul_f32_e32 v3, 0x5f7ffffc, v3
	v_mul_f32_e32 v5, 0x2f800000, v3
	v_trunc_f32_e32 v5, v5
	v_mac_f32_e32 v3, 0xcf800000, v5
	v_cvt_u32_f32_e32 v5, v5
	v_cvt_u32_f32_e32 v3, v3
	v_mul_lo_u32 v7, s0, v5
	v_mul_hi_u32 v11, s0, v3
	v_mul_lo_u32 v9, s1, v3
	v_add_u32_e32 v7, v11, v7
	v_mul_lo_u32 v13, s0, v3
	v_add_u32_e32 v7, v7, v9
	v_mul_lo_u32 v11, v3, v7
	v_mul_hi_u32 v16, v3, v13
	v_mul_hi_u32 v9, v3, v7
	v_add_co_u32_e32 v11, vcc, v16, v11
	v_addc_co_u32_e32 v9, vcc, 0, v9, vcc
	v_mul_hi_u32 v17, v5, v13
	v_mul_lo_u32 v13, v5, v13
	v_add_co_u32_e32 v11, vcc, v11, v13
	v_mul_hi_u32 v16, v5, v7
	v_addc_co_u32_e32 v9, vcc, v9, v17, vcc
	v_addc_co_u32_e32 v11, vcc, 0, v16, vcc
	v_mul_lo_u32 v7, v5, v7
	v_add_co_u32_e32 v7, vcc, v9, v7
	v_addc_co_u32_e32 v9, vcc, 0, v11, vcc
	v_add_co_u32_e32 v3, vcc, v3, v7
	v_addc_co_u32_e32 v5, vcc, v5, v9, vcc
	v_mul_lo_u32 v7, s0, v5
	v_mul_hi_u32 v9, s0, v3
	v_add_u32_e32 v7, v9, v7
	v_mul_lo_u32 v9, s1, v3
	v_add_u32_e32 v7, v7, v9
	v_mul_lo_u32 v11, s0, v3
	v_mul_hi_u32 v13, v5, v11
	v_mul_lo_u32 v16, v5, v11
	v_mul_lo_u32 v18, v3, v7
	v_mul_hi_u32 v11, v3, v11
	v_mul_hi_u32 v17, v3, v7
	v_add_co_u32_e32 v11, vcc, v11, v18
	v_addc_co_u32_e32 v17, vcc, 0, v17, vcc
	v_add_co_u32_e32 v11, vcc, v11, v16
	v_mul_hi_u32 v9, v5, v7
	v_addc_co_u32_e32 v11, vcc, v17, v13, vcc
	v_addc_co_u32_e32 v9, vcc, 0, v9, vcc
	v_mul_lo_u32 v7, v5, v7
	v_add_co_u32_e32 v7, vcc, v11, v7
	v_addc_co_u32_e32 v9, vcc, 0, v9, vcc
	v_add_co_u32_e32 v3, vcc, v3, v7
	v_addc_co_u32_e32 v5, vcc, v5, v9, vcc
	v_ashrrev_i32_e32 v7, 31, v15
	v_add_co_u32_e32 v9, vcc, v14, v7
	v_xor_b32_e32 v9, v9, v7
	v_addc_co_u32_e32 v11, vcc, v15, v7, vcc
	v_mad_u64_u32 v[16:17], s[0:1], v9, v5, 0
	v_mul_hi_u32 v13, v9, v3
	v_xor_b32_e32 v11, v11, v7
	v_add_co_u32_e32 v13, vcc, v13, v16
	v_addc_co_u32_e32 v15, vcc, 0, v17, vcc
	v_mad_u64_u32 v[18:19], s[0:1], v11, v3, 0
	v_add_co_u32_e32 v3, vcc, v13, v18
	v_mad_u64_u32 v[16:17], s[0:1], v11, v5, 0
	v_addc_co_u32_e32 v3, vcc, v15, v19, vcc
	v_addc_co_u32_e32 v5, vcc, 0, v17, vcc
	v_add_co_u32_e32 v3, vcc, v3, v16
	v_addc_co_u32_e32 v5, vcc, 0, v5, vcc
	v_mul_lo_u32 v13, s37, v3
	v_mul_lo_u32 v15, s36, v5
	v_mad_u64_u32 v[16:17], s[0:1], s36, v3, 0
	v_add3_u32 v13, v17, v15, v13
	v_sub_u32_e32 v15, v11, v13
	v_mov_b32_e32 v17, s37
	v_sub_co_u32_e32 v9, vcc, v9, v16
	v_subb_co_u32_e64 v15, s[0:1], v15, v17, vcc
	v_subrev_co_u32_e64 v16, s[0:1], s36, v9
	v_subbrev_co_u32_e64 v15, s[0:1], 0, v15, s[0:1]
	v_cmp_le_u32_e64 s[0:1], s37, v15
	v_cndmask_b32_e64 v17, 0, -1, s[0:1]
	v_cmp_le_u32_e64 s[0:1], s36, v16
	v_cndmask_b32_e64 v16, 0, -1, s[0:1]
	v_cmp_eq_u32_e64 s[0:1], s37, v15
	v_cndmask_b32_e64 v15, v17, v16, s[0:1]
	v_add_co_u32_e64 v16, s[0:1], 2, v3
	v_subb_co_u32_e32 v11, vcc, v11, v13, vcc
	v_addc_co_u32_e64 v17, s[0:1], 0, v5, s[0:1]
	v_cmp_le_u32_e32 vcc, s37, v11
	v_add_co_u32_e64 v18, s[0:1], 1, v3
	v_cndmask_b32_e64 v13, 0, -1, vcc
	v_cmp_le_u32_e32 vcc, s36, v9
	v_addc_co_u32_e64 v19, s[0:1], 0, v5, s[0:1]
	v_cndmask_b32_e64 v9, 0, -1, vcc
	v_cmp_eq_u32_e32 vcc, s37, v11
	v_cmp_ne_u32_e64 s[0:1], 0, v15
	v_cndmask_b32_e32 v9, v13, v9, vcc
	v_cmp_ne_u32_e32 vcc, 0, v9
	v_cndmask_b32_e64 v9, v18, v16, s[0:1]
	v_cndmask_b32_e64 v15, v19, v17, s[0:1]
	v_cndmask_b32_e32 v3, v3, v9, vcc
	v_xor_b32_e32 v9, s35, v7
	v_xor_b32_e32 v7, s34, v7
	v_cndmask_b32_e32 v5, v5, v15, vcc
	v_xor_b32_e32 v3, v3, v7
	v_xor_b32_e32 v5, v5, v9
	v_sub_co_u32_e32 v16, vcc, v3, v7
	v_subb_co_u32_e32 v17, vcc, v5, v9, vcc
.LBB92_41:                              ;   in Loop: Header=BB92_23 Depth=2
	s_andn2_saveexec_b64 s[0:1], s[30:31]
	s_cbranch_execz .LBB92_43
; %bb.42:                               ;   in Loop: Header=BB92_23 Depth=2
	v_cvt_f32_u32_e32 v3, s57
	s_sub_i32 s16, 0, s57
	v_mov_b32_e32 v17, v2
	v_rcp_iflag_f32_e32 v3, v3
	v_mul_f32_e32 v3, 0x4f7ffffe, v3
	v_cvt_u32_f32_e32 v3, v3
	v_mul_lo_u32 v5, s16, v3
	v_mul_hi_u32 v5, v3, v5
	v_add_u32_e32 v3, v3, v5
	v_mul_hi_u32 v3, v14, v3
	v_mul_lo_u32 v5, v3, s57
	v_sub_u32_e32 v5, v14, v5
	v_add_u32_e32 v7, 1, v3
	v_subrev_u32_e32 v9, s57, v5
	v_cmp_le_u32_e32 vcc, s57, v5
	v_cndmask_b32_e32 v5, v5, v9, vcc
	v_cndmask_b32_e32 v3, v3, v7, vcc
	v_add_u32_e32 v7, 1, v3
	v_cmp_le_u32_e32 vcc, s57, v5
	v_cndmask_b32_e32 v16, v3, v7, vcc
.LBB92_43:                              ;   in Loop: Header=BB92_23 Depth=2
	s_or_b64 exec, exec, s[0:1]
	s_add_u32 s0, s43, s28
	s_addc_u32 s1, s44, s29
	s_add_i32 s16, s26, 2
	s_lshl_b64 s[28:29], s[16:17], 2
	s_add_u32 s30, s39, s28
	s_addc_u32 s31, s40, s29
	s_load_dword s59, s[30:31], 0x0
	s_load_dword s60, s[0:1], 0x0
                                        ; implicit-def: $vgpr18_vgpr19
	s_waitcnt lgkmcnt(0)
	s_ashr_i32 s0, s59, 31
	v_or_b32_e32 v3, s0, v17
	v_cmp_ne_u64_e32 vcc, 0, v[2:3]
	s_and_saveexec_b64 s[30:31], vcc
	s_xor_b64 s[30:31], exec, s[30:31]
	s_cbranch_execz .LBB92_45
; %bb.44:                               ;   in Loop: Header=BB92_23 Depth=2
	s_add_u32 s36, s59, s0
	s_mov_b32 s34, s0
	s_mov_b32 s35, s0
	s_addc_u32 s37, s0, s0
	s_xor_b64 s[36:37], s[36:37], s[34:35]
	v_cvt_f32_u32_e32 v3, s36
	v_cvt_f32_u32_e32 v5, s37
	s_sub_u32 s0, 0, s36
	s_subb_u32 s1, 0, s37
	v_mac_f32_e32 v3, 0x4f800000, v5
	v_rcp_f32_e32 v3, v3
	v_mul_f32_e32 v3, 0x5f7ffffc, v3
	v_mul_f32_e32 v5, 0x2f800000, v3
	v_trunc_f32_e32 v5, v5
	v_mac_f32_e32 v3, 0xcf800000, v5
	v_cvt_u32_f32_e32 v5, v5
	v_cvt_u32_f32_e32 v3, v3
	v_mul_lo_u32 v7, s0, v5
	v_mul_hi_u32 v11, s0, v3
	v_mul_lo_u32 v9, s1, v3
	v_add_u32_e32 v7, v11, v7
	v_mul_lo_u32 v13, s0, v3
	v_add_u32_e32 v7, v7, v9
	v_mul_lo_u32 v11, v3, v7
	v_mul_hi_u32 v15, v3, v13
	v_mul_hi_u32 v9, v3, v7
	v_add_co_u32_e32 v11, vcc, v15, v11
	v_addc_co_u32_e32 v9, vcc, 0, v9, vcc
	v_mul_hi_u32 v18, v5, v13
	v_mul_lo_u32 v13, v5, v13
	v_add_co_u32_e32 v11, vcc, v11, v13
	v_mul_hi_u32 v15, v5, v7
	v_addc_co_u32_e32 v9, vcc, v9, v18, vcc
	v_addc_co_u32_e32 v11, vcc, 0, v15, vcc
	v_mul_lo_u32 v7, v5, v7
	v_add_co_u32_e32 v7, vcc, v9, v7
	v_addc_co_u32_e32 v9, vcc, 0, v11, vcc
	v_add_co_u32_e32 v3, vcc, v3, v7
	v_addc_co_u32_e32 v5, vcc, v5, v9, vcc
	v_mul_lo_u32 v7, s0, v5
	v_mul_hi_u32 v9, s0, v3
	v_add_u32_e32 v7, v9, v7
	v_mul_lo_u32 v9, s1, v3
	v_add_u32_e32 v7, v7, v9
	v_mul_lo_u32 v11, s0, v3
	v_mul_hi_u32 v13, v5, v11
	v_mul_lo_u32 v15, v5, v11
	v_mul_lo_u32 v19, v3, v7
	v_mul_hi_u32 v11, v3, v11
	v_mul_hi_u32 v18, v3, v7
	v_add_co_u32_e32 v11, vcc, v11, v19
	v_addc_co_u32_e32 v18, vcc, 0, v18, vcc
	v_add_co_u32_e32 v11, vcc, v11, v15
	v_mul_hi_u32 v9, v5, v7
	v_addc_co_u32_e32 v11, vcc, v18, v13, vcc
	v_addc_co_u32_e32 v9, vcc, 0, v9, vcc
	v_mul_lo_u32 v7, v5, v7
	v_add_co_u32_e32 v7, vcc, v11, v7
	v_addc_co_u32_e32 v9, vcc, 0, v9, vcc
	v_add_co_u32_e32 v3, vcc, v3, v7
	v_addc_co_u32_e32 v5, vcc, v5, v9, vcc
	v_ashrrev_i32_e32 v7, 31, v17
	v_add_co_u32_e32 v9, vcc, v16, v7
	v_xor_b32_e32 v9, v9, v7
	v_addc_co_u32_e32 v11, vcc, v17, v7, vcc
	v_mad_u64_u32 v[18:19], s[0:1], v9, v5, 0
	v_mul_hi_u32 v13, v9, v3
	v_xor_b32_e32 v11, v11, v7
	v_add_co_u32_e32 v13, vcc, v13, v18
	v_addc_co_u32_e32 v15, vcc, 0, v19, vcc
	v_mad_u64_u32 v[20:21], s[0:1], v11, v3, 0
	v_add_co_u32_e32 v3, vcc, v13, v20
	v_mad_u64_u32 v[18:19], s[0:1], v11, v5, 0
	v_addc_co_u32_e32 v3, vcc, v15, v21, vcc
	v_addc_co_u32_e32 v5, vcc, 0, v19, vcc
	v_add_co_u32_e32 v3, vcc, v3, v18
	v_addc_co_u32_e32 v5, vcc, 0, v5, vcc
	v_mul_lo_u32 v13, s37, v3
	v_mul_lo_u32 v15, s36, v5
	v_mad_u64_u32 v[18:19], s[0:1], s36, v3, 0
	v_add3_u32 v13, v19, v15, v13
	v_sub_u32_e32 v15, v11, v13
	v_mov_b32_e32 v17, s37
	v_sub_co_u32_e32 v9, vcc, v9, v18
	v_subb_co_u32_e64 v15, s[0:1], v15, v17, vcc
	v_subrev_co_u32_e64 v17, s[0:1], s36, v9
	v_subbrev_co_u32_e64 v15, s[0:1], 0, v15, s[0:1]
	v_cmp_le_u32_e64 s[0:1], s37, v15
	v_cndmask_b32_e64 v18, 0, -1, s[0:1]
	v_cmp_le_u32_e64 s[0:1], s36, v17
	v_cndmask_b32_e64 v17, 0, -1, s[0:1]
	v_cmp_eq_u32_e64 s[0:1], s37, v15
	v_cndmask_b32_e64 v15, v18, v17, s[0:1]
	v_add_co_u32_e64 v17, s[0:1], 2, v3
	v_subb_co_u32_e32 v11, vcc, v11, v13, vcc
	v_addc_co_u32_e64 v18, s[0:1], 0, v5, s[0:1]
	v_cmp_le_u32_e32 vcc, s37, v11
	v_add_co_u32_e64 v19, s[0:1], 1, v3
	v_cndmask_b32_e64 v13, 0, -1, vcc
	v_cmp_le_u32_e32 vcc, s36, v9
	v_addc_co_u32_e64 v20, s[0:1], 0, v5, s[0:1]
	v_cndmask_b32_e64 v9, 0, -1, vcc
	v_cmp_eq_u32_e32 vcc, s37, v11
	v_cmp_ne_u32_e64 s[0:1], 0, v15
	v_cndmask_b32_e32 v9, v13, v9, vcc
	v_cmp_ne_u32_e32 vcc, 0, v9
	v_cndmask_b32_e64 v9, v19, v17, s[0:1]
	v_cndmask_b32_e64 v15, v20, v18, s[0:1]
	v_cndmask_b32_e32 v3, v3, v9, vcc
	v_xor_b32_e32 v9, s35, v7
	v_xor_b32_e32 v7, s34, v7
	v_cndmask_b32_e32 v5, v5, v15, vcc
	v_xor_b32_e32 v3, v3, v7
	v_xor_b32_e32 v5, v5, v9
	v_sub_co_u32_e32 v18, vcc, v3, v7
	v_subb_co_u32_e32 v19, vcc, v5, v9, vcc
.LBB92_45:                              ;   in Loop: Header=BB92_23 Depth=2
	s_andn2_saveexec_b64 s[0:1], s[30:31]
	s_cbranch_execz .LBB92_47
; %bb.46:                               ;   in Loop: Header=BB92_23 Depth=2
	v_cvt_f32_u32_e32 v3, s59
	s_sub_i32 s16, 0, s59
	v_mov_b32_e32 v19, v2
	v_rcp_iflag_f32_e32 v3, v3
	v_mul_f32_e32 v3, 0x4f7ffffe, v3
	v_cvt_u32_f32_e32 v3, v3
	v_mul_lo_u32 v5, s16, v3
	v_mul_hi_u32 v5, v3, v5
	v_add_u32_e32 v3, v3, v5
	v_mul_hi_u32 v3, v16, v3
	v_mul_lo_u32 v5, v3, s59
	v_sub_u32_e32 v5, v16, v5
	v_add_u32_e32 v7, 1, v3
	v_subrev_u32_e32 v9, s59, v5
	v_cmp_le_u32_e32 vcc, s59, v5
	v_cndmask_b32_e32 v5, v5, v9, vcc
	v_cndmask_b32_e32 v3, v3, v7, vcc
	v_add_u32_e32 v7, 1, v3
	v_cmp_le_u32_e32 vcc, s59, v5
	v_cndmask_b32_e32 v18, v3, v7, vcc
.LBB92_47:                              ;   in Loop: Header=BB92_23 Depth=2
	s_or_b64 exec, exec, s[0:1]
	s_add_u32 s0, s43, s28
	s_addc_u32 s1, s44, s29
	s_add_i32 s16, s26, 1
	s_lshl_b64 s[28:29], s[16:17], 2
	s_add_u32 s30, s39, s28
	s_addc_u32 s31, s40, s29
	s_load_dword s16, s[30:31], 0x0
	s_load_dword s61, s[0:1], 0x0
                                        ; implicit-def: $vgpr20_vgpr21
	s_waitcnt lgkmcnt(0)
	s_ashr_i32 s0, s16, 31
	v_or_b32_e32 v3, s0, v19
	v_cmp_ne_u64_e32 vcc, 0, v[2:3]
	s_and_saveexec_b64 s[30:31], vcc
	s_xor_b64 s[30:31], exec, s[30:31]
	s_cbranch_execz .LBB92_49
; %bb.48:                               ;   in Loop: Header=BB92_23 Depth=2
	s_add_u32 s36, s16, s0
	s_mov_b32 s34, s0
	s_mov_b32 s35, s0
	s_addc_u32 s37, s0, s0
	s_xor_b64 s[36:37], s[36:37], s[34:35]
	v_cvt_f32_u32_e32 v3, s36
	v_cvt_f32_u32_e32 v5, s37
	s_sub_u32 s0, 0, s36
	s_subb_u32 s1, 0, s37
	v_mac_f32_e32 v3, 0x4f800000, v5
	v_rcp_f32_e32 v3, v3
	v_mul_f32_e32 v3, 0x5f7ffffc, v3
	v_mul_f32_e32 v5, 0x2f800000, v3
	v_trunc_f32_e32 v5, v5
	v_mac_f32_e32 v3, 0xcf800000, v5
	v_cvt_u32_f32_e32 v5, v5
	v_cvt_u32_f32_e32 v3, v3
	v_mul_lo_u32 v7, s0, v5
	v_mul_hi_u32 v11, s0, v3
	v_mul_lo_u32 v9, s1, v3
	v_add_u32_e32 v7, v11, v7
	v_mul_lo_u32 v13, s0, v3
	v_add_u32_e32 v7, v7, v9
	v_mul_lo_u32 v11, v3, v7
	v_mul_hi_u32 v15, v3, v13
	v_mul_hi_u32 v9, v3, v7
	v_add_co_u32_e32 v11, vcc, v15, v11
	v_addc_co_u32_e32 v9, vcc, 0, v9, vcc
	v_mul_hi_u32 v17, v5, v13
	v_mul_lo_u32 v13, v5, v13
	v_add_co_u32_e32 v11, vcc, v11, v13
	v_mul_hi_u32 v15, v5, v7
	v_addc_co_u32_e32 v9, vcc, v9, v17, vcc
	v_addc_co_u32_e32 v11, vcc, 0, v15, vcc
	v_mul_lo_u32 v7, v5, v7
	v_add_co_u32_e32 v7, vcc, v9, v7
	v_addc_co_u32_e32 v9, vcc, 0, v11, vcc
	v_add_co_u32_e32 v3, vcc, v3, v7
	v_addc_co_u32_e32 v5, vcc, v5, v9, vcc
	v_mul_lo_u32 v7, s0, v5
	v_mul_hi_u32 v9, s0, v3
	v_add_u32_e32 v7, v9, v7
	v_mul_lo_u32 v9, s1, v3
	v_add_u32_e32 v7, v7, v9
	v_mul_lo_u32 v11, s0, v3
	v_mul_hi_u32 v13, v5, v11
	v_mul_lo_u32 v15, v5, v11
	v_mul_lo_u32 v20, v3, v7
	v_mul_hi_u32 v11, v3, v11
	v_mul_hi_u32 v17, v3, v7
	v_add_co_u32_e32 v11, vcc, v11, v20
	v_addc_co_u32_e32 v17, vcc, 0, v17, vcc
	v_add_co_u32_e32 v11, vcc, v11, v15
	v_mul_hi_u32 v9, v5, v7
	v_addc_co_u32_e32 v11, vcc, v17, v13, vcc
	v_addc_co_u32_e32 v9, vcc, 0, v9, vcc
	v_mul_lo_u32 v7, v5, v7
	v_add_co_u32_e32 v7, vcc, v11, v7
	v_addc_co_u32_e32 v9, vcc, 0, v9, vcc
	v_add_co_u32_e32 v3, vcc, v3, v7
	v_addc_co_u32_e32 v5, vcc, v5, v9, vcc
	v_ashrrev_i32_e32 v7, 31, v19
	v_add_co_u32_e32 v9, vcc, v18, v7
	v_xor_b32_e32 v9, v9, v7
	v_addc_co_u32_e32 v11, vcc, v19, v7, vcc
	v_mad_u64_u32 v[20:21], s[0:1], v9, v5, 0
	v_mul_hi_u32 v13, v9, v3
	v_xor_b32_e32 v11, v11, v7
	v_add_co_u32_e32 v13, vcc, v13, v20
	v_addc_co_u32_e32 v15, vcc, 0, v21, vcc
	v_mad_u64_u32 v[22:23], s[0:1], v11, v3, 0
	v_add_co_u32_e32 v3, vcc, v13, v22
	v_mad_u64_u32 v[20:21], s[0:1], v11, v5, 0
	v_addc_co_u32_e32 v3, vcc, v15, v23, vcc
	v_addc_co_u32_e32 v5, vcc, 0, v21, vcc
	v_add_co_u32_e32 v3, vcc, v3, v20
	v_addc_co_u32_e32 v5, vcc, 0, v5, vcc
	v_mul_lo_u32 v13, s37, v3
	v_mul_lo_u32 v15, s36, v5
	v_mad_u64_u32 v[20:21], s[0:1], s36, v3, 0
	v_add3_u32 v13, v21, v15, v13
	v_sub_u32_e32 v15, v11, v13
	v_mov_b32_e32 v17, s37
	v_sub_co_u32_e32 v9, vcc, v9, v20
	v_subb_co_u32_e64 v15, s[0:1], v15, v17, vcc
	v_subrev_co_u32_e64 v17, s[0:1], s36, v9
	v_subbrev_co_u32_e64 v15, s[0:1], 0, v15, s[0:1]
	v_cmp_le_u32_e64 s[0:1], s37, v15
	v_cndmask_b32_e64 v19, 0, -1, s[0:1]
	v_cmp_le_u32_e64 s[0:1], s36, v17
	v_cndmask_b32_e64 v17, 0, -1, s[0:1]
	v_cmp_eq_u32_e64 s[0:1], s37, v15
	v_cndmask_b32_e64 v15, v19, v17, s[0:1]
	v_add_co_u32_e64 v17, s[0:1], 2, v3
	v_subb_co_u32_e32 v11, vcc, v11, v13, vcc
	v_addc_co_u32_e64 v19, s[0:1], 0, v5, s[0:1]
	v_cmp_le_u32_e32 vcc, s37, v11
	v_add_co_u32_e64 v20, s[0:1], 1, v3
	v_cndmask_b32_e64 v13, 0, -1, vcc
	v_cmp_le_u32_e32 vcc, s36, v9
	v_addc_co_u32_e64 v21, s[0:1], 0, v5, s[0:1]
	v_cndmask_b32_e64 v9, 0, -1, vcc
	v_cmp_eq_u32_e32 vcc, s37, v11
	v_cmp_ne_u32_e64 s[0:1], 0, v15
	v_cndmask_b32_e32 v9, v13, v9, vcc
	v_cmp_ne_u32_e32 vcc, 0, v9
	v_cndmask_b32_e64 v9, v20, v17, s[0:1]
	v_cndmask_b32_e64 v15, v21, v19, s[0:1]
	v_cndmask_b32_e32 v3, v3, v9, vcc
	v_xor_b32_e32 v9, s35, v7
	v_xor_b32_e32 v7, s34, v7
	v_cndmask_b32_e32 v5, v5, v15, vcc
	v_xor_b32_e32 v3, v3, v7
	v_xor_b32_e32 v5, v5, v9
	v_sub_co_u32_e32 v20, vcc, v3, v7
	v_subb_co_u32_e32 v21, vcc, v5, v9, vcc
.LBB92_49:                              ;   in Loop: Header=BB92_23 Depth=2
	s_andn2_saveexec_b64 s[0:1], s[30:31]
	s_cbranch_execz .LBB92_51
; %bb.50:                               ;   in Loop: Header=BB92_23 Depth=2
	v_cvt_f32_u32_e32 v3, s16
	s_sub_i32 s27, 0, s16
	v_mov_b32_e32 v21, v2
	v_rcp_iflag_f32_e32 v3, v3
	v_mul_f32_e32 v3, 0x4f7ffffe, v3
	v_cvt_u32_f32_e32 v3, v3
	v_mul_lo_u32 v5, s27, v3
	v_mul_hi_u32 v5, v3, v5
	v_add_u32_e32 v3, v3, v5
	v_mul_hi_u32 v3, v18, v3
	v_mul_lo_u32 v5, v3, s16
	v_sub_u32_e32 v5, v18, v5
	v_add_u32_e32 v7, 1, v3
	v_subrev_u32_e32 v9, s16, v5
	v_cmp_le_u32_e32 vcc, s16, v5
	v_cndmask_b32_e32 v5, v5, v9, vcc
	v_cndmask_b32_e32 v3, v3, v7, vcc
	v_add_u32_e32 v7, 1, v3
	v_cmp_le_u32_e32 vcc, s16, v5
	v_cndmask_b32_e32 v20, v3, v7, vcc
.LBB92_51:                              ;   in Loop: Header=BB92_23 Depth=2
	s_or_b64 exec, exec, s[0:1]
	s_add_u32 s0, s43, s28
	s_mov_b32 s27, s17
	s_addc_u32 s1, s44, s29
	s_lshl_b64 s[28:29], s[26:27], 2
	s_add_u32 s30, s39, s28
	s_addc_u32 s31, s40, s29
	s_load_dword s27, s[30:31], 0x0
	s_load_dword s62, s[0:1], 0x0
                                        ; implicit-def: $vgpr22_vgpr23
	s_waitcnt lgkmcnt(0)
	s_ashr_i32 s0, s27, 31
	v_or_b32_e32 v3, s0, v21
	v_cmp_ne_u64_e32 vcc, 0, v[2:3]
	s_and_saveexec_b64 s[30:31], vcc
	s_xor_b64 s[30:31], exec, s[30:31]
	s_cbranch_execz .LBB92_53
; %bb.52:                               ;   in Loop: Header=BB92_23 Depth=2
	s_add_u32 s36, s27, s0
	s_mov_b32 s34, s0
	s_mov_b32 s35, s0
	s_addc_u32 s37, s0, s0
	s_xor_b64 s[36:37], s[36:37], s[34:35]
	v_cvt_f32_u32_e32 v3, s36
	v_cvt_f32_u32_e32 v5, s37
	s_sub_u32 s0, 0, s36
	s_subb_u32 s1, 0, s37
	v_mac_f32_e32 v3, 0x4f800000, v5
	v_rcp_f32_e32 v3, v3
	v_mul_f32_e32 v3, 0x5f7ffffc, v3
	v_mul_f32_e32 v5, 0x2f800000, v3
	v_trunc_f32_e32 v5, v5
	v_mac_f32_e32 v3, 0xcf800000, v5
	v_cvt_u32_f32_e32 v5, v5
	v_cvt_u32_f32_e32 v3, v3
	v_mul_lo_u32 v7, s0, v5
	v_mul_hi_u32 v11, s0, v3
	v_mul_lo_u32 v9, s1, v3
	v_add_u32_e32 v7, v11, v7
	v_mul_lo_u32 v13, s0, v3
	v_add_u32_e32 v7, v7, v9
	v_mul_lo_u32 v11, v3, v7
	v_mul_hi_u32 v15, v3, v13
	v_mul_hi_u32 v9, v3, v7
	v_add_co_u32_e32 v11, vcc, v15, v11
	v_addc_co_u32_e32 v9, vcc, 0, v9, vcc
	v_mul_hi_u32 v17, v5, v13
	v_mul_lo_u32 v13, v5, v13
	v_add_co_u32_e32 v11, vcc, v11, v13
	v_mul_hi_u32 v15, v5, v7
	v_addc_co_u32_e32 v9, vcc, v9, v17, vcc
	v_addc_co_u32_e32 v11, vcc, 0, v15, vcc
	v_mul_lo_u32 v7, v5, v7
	v_add_co_u32_e32 v7, vcc, v9, v7
	v_addc_co_u32_e32 v9, vcc, 0, v11, vcc
	v_add_co_u32_e32 v3, vcc, v3, v7
	v_addc_co_u32_e32 v5, vcc, v5, v9, vcc
	v_mul_lo_u32 v7, s0, v5
	v_mul_hi_u32 v9, s0, v3
	v_add_u32_e32 v7, v9, v7
	v_mul_lo_u32 v9, s1, v3
	v_add_u32_e32 v7, v7, v9
	v_mul_lo_u32 v11, s0, v3
	v_mul_hi_u32 v13, v5, v11
	v_mul_lo_u32 v15, v5, v11
	v_mul_lo_u32 v19, v3, v7
	v_mul_hi_u32 v11, v3, v11
	v_mul_hi_u32 v17, v3, v7
	v_add_co_u32_e32 v11, vcc, v11, v19
	v_addc_co_u32_e32 v17, vcc, 0, v17, vcc
	v_add_co_u32_e32 v11, vcc, v11, v15
	v_mul_hi_u32 v9, v5, v7
	v_addc_co_u32_e32 v11, vcc, v17, v13, vcc
	v_addc_co_u32_e32 v9, vcc, 0, v9, vcc
	v_mul_lo_u32 v7, v5, v7
	v_add_co_u32_e32 v7, vcc, v11, v7
	v_addc_co_u32_e32 v9, vcc, 0, v9, vcc
	v_add_co_u32_e32 v3, vcc, v3, v7
	v_addc_co_u32_e32 v5, vcc, v5, v9, vcc
	v_ashrrev_i32_e32 v7, 31, v21
	v_add_co_u32_e32 v9, vcc, v20, v7
	v_xor_b32_e32 v9, v9, v7
	v_addc_co_u32_e32 v11, vcc, v21, v7, vcc
	v_mad_u64_u32 v[22:23], s[0:1], v9, v5, 0
	v_mul_hi_u32 v13, v9, v3
	v_xor_b32_e32 v11, v11, v7
	v_add_co_u32_e32 v13, vcc, v13, v22
	v_addc_co_u32_e32 v15, vcc, 0, v23, vcc
	v_mad_u64_u32 v[28:29], s[0:1], v11, v3, 0
	v_add_co_u32_e32 v3, vcc, v13, v28
	v_mad_u64_u32 v[22:23], s[0:1], v11, v5, 0
	v_addc_co_u32_e32 v3, vcc, v15, v29, vcc
	v_addc_co_u32_e32 v5, vcc, 0, v23, vcc
	v_add_co_u32_e32 v3, vcc, v3, v22
	v_addc_co_u32_e32 v5, vcc, 0, v5, vcc
	v_mul_lo_u32 v13, s37, v3
	v_mul_lo_u32 v15, s36, v5
	v_mad_u64_u32 v[22:23], s[0:1], s36, v3, 0
	v_add3_u32 v13, v23, v15, v13
	v_sub_u32_e32 v15, v11, v13
	v_mov_b32_e32 v17, s37
	v_sub_co_u32_e32 v9, vcc, v9, v22
	v_subb_co_u32_e64 v15, s[0:1], v15, v17, vcc
	v_subrev_co_u32_e64 v17, s[0:1], s36, v9
	v_subbrev_co_u32_e64 v15, s[0:1], 0, v15, s[0:1]
	v_cmp_le_u32_e64 s[0:1], s37, v15
	v_cndmask_b32_e64 v19, 0, -1, s[0:1]
	v_cmp_le_u32_e64 s[0:1], s36, v17
	v_cndmask_b32_e64 v17, 0, -1, s[0:1]
	v_cmp_eq_u32_e64 s[0:1], s37, v15
	v_cndmask_b32_e64 v15, v19, v17, s[0:1]
	v_add_co_u32_e64 v17, s[0:1], 2, v3
	v_subb_co_u32_e32 v11, vcc, v11, v13, vcc
	v_addc_co_u32_e64 v19, s[0:1], 0, v5, s[0:1]
	v_cmp_le_u32_e32 vcc, s37, v11
	v_add_co_u32_e64 v21, s[0:1], 1, v3
	v_cndmask_b32_e64 v13, 0, -1, vcc
	v_cmp_le_u32_e32 vcc, s36, v9
	v_addc_co_u32_e64 v22, s[0:1], 0, v5, s[0:1]
	v_cndmask_b32_e64 v9, 0, -1, vcc
	v_cmp_eq_u32_e32 vcc, s37, v11
	v_cmp_ne_u32_e64 s[0:1], 0, v15
	v_cndmask_b32_e32 v9, v13, v9, vcc
	v_cmp_ne_u32_e32 vcc, 0, v9
	v_cndmask_b32_e64 v9, v21, v17, s[0:1]
	v_cndmask_b32_e64 v15, v22, v19, s[0:1]
	v_cndmask_b32_e32 v3, v3, v9, vcc
	v_xor_b32_e32 v9, s35, v7
	v_xor_b32_e32 v7, s34, v7
	v_cndmask_b32_e32 v5, v5, v15, vcc
	v_xor_b32_e32 v3, v3, v7
	v_xor_b32_e32 v5, v5, v9
	v_sub_co_u32_e32 v22, vcc, v3, v7
	v_subb_co_u32_e32 v23, vcc, v5, v9, vcc
.LBB92_53:                              ;   in Loop: Header=BB92_23 Depth=2
	s_andn2_saveexec_b64 s[0:1], s[30:31]
	s_cbranch_execz .LBB92_55
; %bb.54:                               ;   in Loop: Header=BB92_23 Depth=2
	v_cvt_f32_u32_e32 v3, s27
	s_sub_i32 s30, 0, s27
	v_mov_b32_e32 v23, v2
	v_rcp_iflag_f32_e32 v3, v3
	v_mul_f32_e32 v3, 0x4f7ffffe, v3
	v_cvt_u32_f32_e32 v3, v3
	v_mul_lo_u32 v5, s30, v3
	v_mul_hi_u32 v5, v3, v5
	v_add_u32_e32 v3, v3, v5
	v_mul_hi_u32 v3, v20, v3
	v_mul_lo_u32 v5, v3, s27
	v_sub_u32_e32 v5, v20, v5
	v_add_u32_e32 v7, 1, v3
	v_subrev_u32_e32 v9, s27, v5
	v_cmp_le_u32_e32 vcc, s27, v5
	v_cndmask_b32_e32 v5, v5, v9, vcc
	v_cndmask_b32_e32 v3, v3, v7, vcc
	v_add_u32_e32 v7, 1, v3
	v_cmp_le_u32_e32 vcc, s27, v5
	v_cndmask_b32_e32 v22, v3, v7, vcc
.LBB92_55:                              ;   in Loop: Header=BB92_23 Depth=2
	s_or_b64 exec, exec, s[0:1]
	v_mul_lo_u32 v3, v8, s50
	v_mul_lo_u32 v5, v10, s51
	v_sub_u32_e32 v3, v6, v3
	v_sub_u32_e32 v5, v8, v5
	v_mul_lo_u32 v3, s52, v3
	v_mul_lo_u32 v5, s54, v5
	v_add3_u32 v3, v3, v4, v5
	v_mul_lo_u32 v4, v12, s53
	v_mul_lo_u32 v5, v14, s55
	v_sub_u32_e32 v4, v10, v4
	v_sub_u32_e32 v5, v12, v5
	s_add_u32 s0, s43, s28
	v_mul_lo_u32 v4, s56, v4
	v_mul_lo_u32 v5, s58, v5
	s_addc_u32 s1, s44, s29
	v_add3_u32 v3, v4, v3, v5
	v_mul_lo_u32 v4, v16, s57
	v_mul_lo_u32 v5, v18, s59
	s_load_dword s0, s[0:1], 0x0
	v_sub_u32_e32 v4, v14, v4
	v_sub_u32_e32 v5, v16, v5
	v_mul_lo_u32 v4, s60, v4
	v_mul_lo_u32 v5, s61, v5
	v_add3_u32 v3, v4, v3, v5
	v_mul_lo_u32 v4, v20, s16
	v_mul_lo_u32 v5, v22, s27
	v_sub_u32_e32 v4, v18, v4
	v_sub_u32_e32 v5, v20, v5
	v_mul_lo_u32 v4, s62, v4
	s_waitcnt lgkmcnt(0)
	v_mul_lo_u32 v5, s0, v5
	s_add_i32 s26, s26, -8
	s_cmp_eq_u32 s26, -8
	v_add3_u32 v4, v4, v3, v5
	s_cbranch_scc1 .LBB92_57
; %bb.56:                               ;   in Loop: Header=BB92_23 Depth=2
	v_pk_mov_b32 v[6:7], v[22:23], v[22:23] op_sel:[0,1]
	s_branch .LBB92_23
.LBB92_57:                              ;   in Loop: Header=BB92_3 Depth=1
	s_load_dword s16, s[14:15], 0x0
	s_waitcnt lgkmcnt(0)
	v_cmp_gt_i32_e32 vcc, s16, v26
	s_and_b64 exec, exec, vcc
	s_cbranch_execz .LBB92_2
; %bb.58:                               ;   in Loop: Header=BB92_3 Depth=1
	v_ashrrev_i32_e32 v5, 31, v4
	v_lshlrev_b64 v[6:7], 1, v[4:5]
	v_mov_b32_e32 v3, s3
	v_add_co_u32_e32 v6, vcc, s2, v6
	v_addc_co_u32_e32 v7, vcc, v3, v7, vcc
	v_add_u32_e32 v3, 1, v26
	v_cmp_gt_i32_e32 vcc, s16, v3
	global_store_short v[6:7], v2, off
	s_and_b64 exec, exec, vcc
	s_cbranch_execz .LBB92_2
; %bb.59:                               ;   in Loop: Header=BB92_3 Depth=1
	v_sub_u32_e32 v6, v3, v25
	v_ashrrev_i32_e32 v7, 31, v6
	v_cmp_gt_i64_e32 vcc, s[8:9], v[6:7]
	s_and_saveexec_b64 s[0:1], vcc
	s_cbranch_execz .LBB92_61
; %bb.60:                               ;   in Loop: Header=BB92_3 Depth=1
	v_add_u32_e32 v6, s49, v4
	v_ashrrev_i32_e32 v7, 31, v6
	v_lshlrev_b64 v[6:7], 1, v[6:7]
	v_mov_b32_e32 v3, s3
	v_add_co_u32_e32 v6, vcc, s2, v6
	v_addc_co_u32_e32 v7, vcc, v3, v7, vcc
	global_store_short v[6:7], v2, off
.LBB92_61:                              ;   in Loop: Header=BB92_3 Depth=1
	s_or_b64 exec, exec, s[0:1]
	v_add_u32_e32 v3, 2, v26
	v_cmp_gt_i32_e32 vcc, s16, v3
	s_and_b64 exec, exec, vcc
	s_cbranch_execz .LBB92_2
; %bb.62:                               ;   in Loop: Header=BB92_3 Depth=1
	v_sub_u32_e32 v6, v3, v25
	v_ashrrev_i32_e32 v7, 31, v6
	v_cmp_gt_i64_e32 vcc, s[8:9], v[6:7]
	s_and_saveexec_b64 s[0:1], vcc
	s_cbranch_execz .LBB92_64
; %bb.63:                               ;   in Loop: Header=BB92_3 Depth=1
	v_lshl_add_u32 v6, s49, 1, v4
	v_ashrrev_i32_e32 v7, 31, v6
	v_lshlrev_b64 v[6:7], 1, v[6:7]
	v_mov_b32_e32 v3, s3
	v_add_co_u32_e32 v6, vcc, s2, v6
	v_addc_co_u32_e32 v7, vcc, v3, v7, vcc
	global_store_short v[6:7], v2, off
.LBB92_64:                              ;   in Loop: Header=BB92_3 Depth=1
	s_or_b64 exec, exec, s[0:1]
	v_add_u32_e32 v3, 3, v26
	v_cmp_gt_i32_e32 vcc, s16, v3
	s_and_b64 exec, exec, vcc
	s_cbranch_execz .LBB92_2
; %bb.65:                               ;   in Loop: Header=BB92_3 Depth=1
	v_sub_u32_e32 v6, v3, v25
	v_ashrrev_i32_e32 v7, 31, v6
	v_cmp_gt_i64_e32 vcc, s[8:9], v[6:7]
	s_and_b64 exec, exec, vcc
	s_cbranch_execz .LBB92_2
; %bb.66:                               ;   in Loop: Header=BB92_3 Depth=1
	v_mad_u64_u32 v[4:5], s[0:1], s49, 3, v[4:5]
	v_ashrrev_i32_e32 v5, 31, v4
	v_lshlrev_b64 v[4:5], 1, v[4:5]
	v_mov_b32_e32 v3, s3
	v_add_co_u32_e32 v4, vcc, s2, v4
	v_addc_co_u32_e32 v5, vcc, v3, v5, vcc
	global_store_short v[4:5], v2, off
	s_branch .LBB92_2
.LBB92_67:
	s_endpgm
	.section	.rodata,"a",@progbits
	.p2align	6, 0x0
	.amdhsa_kernel _ZN2at6native16triu_tril_kernelIN3c104HalfEiLb1ELi4ELb1EEEvNS_4cuda6detail10TensorInfoIT_T0_EENS6_IKS7_S8_EEllS8_
		.amdhsa_group_segment_fixed_size 0
		.amdhsa_private_segment_fixed_size 0
		.amdhsa_kernarg_size 712
		.amdhsa_user_sgpr_count 6
		.amdhsa_user_sgpr_private_segment_buffer 1
		.amdhsa_user_sgpr_dispatch_ptr 0
		.amdhsa_user_sgpr_queue_ptr 0
		.amdhsa_user_sgpr_kernarg_segment_ptr 1
		.amdhsa_user_sgpr_dispatch_id 0
		.amdhsa_user_sgpr_flat_scratch_init 0
		.amdhsa_user_sgpr_kernarg_preload_length 0
		.amdhsa_user_sgpr_kernarg_preload_offset 0
		.amdhsa_user_sgpr_private_segment_size 0
		.amdhsa_uses_dynamic_stack 0
		.amdhsa_system_sgpr_private_segment_wavefront_offset 0
		.amdhsa_system_sgpr_workgroup_id_x 1
		.amdhsa_system_sgpr_workgroup_id_y 0
		.amdhsa_system_sgpr_workgroup_id_z 0
		.amdhsa_system_sgpr_workgroup_info 0
		.amdhsa_system_vgpr_workitem_id 0
		.amdhsa_next_free_vgpr 30
		.amdhsa_next_free_sgpr 63
		.amdhsa_accum_offset 32
		.amdhsa_reserve_vcc 1
		.amdhsa_reserve_flat_scratch 0
		.amdhsa_float_round_mode_32 0
		.amdhsa_float_round_mode_16_64 0
		.amdhsa_float_denorm_mode_32 3
		.amdhsa_float_denorm_mode_16_64 3
		.amdhsa_dx10_clamp 1
		.amdhsa_ieee_mode 1
		.amdhsa_fp16_overflow 0
		.amdhsa_tg_split 0
		.amdhsa_exception_fp_ieee_invalid_op 0
		.amdhsa_exception_fp_denorm_src 0
		.amdhsa_exception_fp_ieee_div_zero 0
		.amdhsa_exception_fp_ieee_overflow 0
		.amdhsa_exception_fp_ieee_underflow 0
		.amdhsa_exception_fp_ieee_inexact 0
		.amdhsa_exception_int_div_zero 0
	.end_amdhsa_kernel
	.section	.text._ZN2at6native16triu_tril_kernelIN3c104HalfEiLb1ELi4ELb1EEEvNS_4cuda6detail10TensorInfoIT_T0_EENS6_IKS7_S8_EEllS8_,"axG",@progbits,_ZN2at6native16triu_tril_kernelIN3c104HalfEiLb1ELi4ELb1EEEvNS_4cuda6detail10TensorInfoIT_T0_EENS6_IKS7_S8_EEllS8_,comdat
.Lfunc_end92:
	.size	_ZN2at6native16triu_tril_kernelIN3c104HalfEiLb1ELi4ELb1EEEvNS_4cuda6detail10TensorInfoIT_T0_EENS6_IKS7_S8_EEllS8_, .Lfunc_end92-_ZN2at6native16triu_tril_kernelIN3c104HalfEiLb1ELi4ELb1EEEvNS_4cuda6detail10TensorInfoIT_T0_EENS6_IKS7_S8_EEllS8_
                                        ; -- End function
	.section	.AMDGPU.csdata,"",@progbits
; Kernel info:
; codeLenInByte = 10272
; NumSgprs: 67
; NumVgprs: 30
; NumAgprs: 0
; TotalNumVgprs: 30
; ScratchSize: 0
; MemoryBound: 0
; FloatMode: 240
; IeeeMode: 1
; LDSByteSize: 0 bytes/workgroup (compile time only)
; SGPRBlocks: 8
; VGPRBlocks: 3
; NumSGPRsForWavesPerEU: 67
; NumVGPRsForWavesPerEU: 30
; AccumOffset: 32
; Occupancy: 8
; WaveLimiterHint : 0
; COMPUTE_PGM_RSRC2:SCRATCH_EN: 0
; COMPUTE_PGM_RSRC2:USER_SGPR: 6
; COMPUTE_PGM_RSRC2:TRAP_HANDLER: 0
; COMPUTE_PGM_RSRC2:TGID_X_EN: 1
; COMPUTE_PGM_RSRC2:TGID_Y_EN: 0
; COMPUTE_PGM_RSRC2:TGID_Z_EN: 0
; COMPUTE_PGM_RSRC2:TIDIG_COMP_CNT: 0
; COMPUTE_PGM_RSRC3_GFX90A:ACCUM_OFFSET: 7
; COMPUTE_PGM_RSRC3_GFX90A:TG_SPLIT: 0
	.section	.text._ZN2at6native16triu_tril_kernelIN3c104HalfEiLb1ELi4ELb0EEEvNS_4cuda6detail10TensorInfoIT_T0_EENS6_IKS7_S8_EEllS8_,"axG",@progbits,_ZN2at6native16triu_tril_kernelIN3c104HalfEiLb1ELi4ELb0EEEvNS_4cuda6detail10TensorInfoIT_T0_EENS6_IKS7_S8_EEllS8_,comdat
	.protected	_ZN2at6native16triu_tril_kernelIN3c104HalfEiLb1ELi4ELb0EEEvNS_4cuda6detail10TensorInfoIT_T0_EENS6_IKS7_S8_EEllS8_ ; -- Begin function _ZN2at6native16triu_tril_kernelIN3c104HalfEiLb1ELi4ELb0EEEvNS_4cuda6detail10TensorInfoIT_T0_EENS6_IKS7_S8_EEllS8_
	.globl	_ZN2at6native16triu_tril_kernelIN3c104HalfEiLb1ELi4ELb0EEEvNS_4cuda6detail10TensorInfoIT_T0_EENS6_IKS7_S8_EEllS8_
	.p2align	8
	.type	_ZN2at6native16triu_tril_kernelIN3c104HalfEiLb1ELi4ELb0EEEvNS_4cuda6detail10TensorInfoIT_T0_EENS6_IKS7_S8_EEllS8_,@function
_ZN2at6native16triu_tril_kernelIN3c104HalfEiLb1ELi4ELb0EEEvNS_4cuda6detail10TensorInfoIT_T0_EENS6_IKS7_S8_EEllS8_: ; @_ZN2at6native16triu_tril_kernelIN3c104HalfEiLb1ELi4ELb0EEEvNS_4cuda6detail10TensorInfoIT_T0_EENS6_IKS7_S8_EEllS8_
; %bb.0:
	s_load_dword s2, s[4:5], 0x1d4
	s_load_dwordx4 s[8:11], s[4:5], 0x1b0
	s_add_u32 s0, s4, 0x1c8
	v_mov_b32_e32 v2, 0
	s_addc_u32 s1, s5, 0
	s_waitcnt lgkmcnt(0)
	s_and_b32 s2, s2, 0xffff
	v_mov_b32_e32 v1, v2
	v_mov_b32_e32 v3, s6
	v_mad_u64_u32 v[0:1], s[6:7], s2, v3, v[0:1]
	v_lshlrev_b64 v[0:1], 2, v[0:1]
	v_cmp_gt_i64_e32 vcc, s[10:11], v[0:1]
	s_and_saveexec_b64 s[6:7], vcc
	s_cbranch_execz .LBB93_58
; %bb.1:
	s_load_dword s20, s[4:5], 0x1a8
	s_add_u32 s33, s4, 0xd8
	s_addc_u32 s42, s5, 0
	s_load_dword s3, s[0:1], 0x0
	s_load_dwordx2 s[6:7], s[4:5], 0xd8
	s_mov_b64 s[30:31], 0
	s_waitcnt lgkmcnt(0)
	s_ashr_i32 s21, s20, 31
	s_lshl_b64 s[0:1], s[20:21], 2
	s_add_u32 s18, s0, -8
	s_addc_u32 s19, s1, -1
	s_add_u32 s0, s33, s18
	s_addc_u32 s1, s42, s19
	s_load_dwordx2 s[12:13], s[0:1], 0x8
	s_load_dword s43, s[4:5], 0x1c0
	s_load_dwordx2 s[16:17], s[0:1], 0x6c
	s_mul_i32 s3, s3, s2
	v_cmp_gt_i64_e64 s[14:15], s[20:21], 2
	s_waitcnt lgkmcnt(0)
	s_ashr_i32 s44, s12, 31
	v_cvt_f32_u32_e32 v3, s43
	s_ashr_i32 s45, s43, 31
	s_add_u32 s46, s4, 0x6c
	s_addc_u32 s47, s5, 0
	v_rcp_iflag_f32_e32 v3, v3
	s_add_u32 s0, s46, s18
	s_addc_u32 s1, s47, s19
	s_load_dwordx2 s[18:19], s[0:1], 0x0
	v_mul_f32_e32 v3, 0x4f7ffffe, v3
	s_load_dwordx2 s[4:5], s[4:5], 0x0
	s_add_i32 s48, s20, -3
	s_lshl_b32 s49, s3, 2
	s_and_b32 s51, s20, 3
	v_cvt_u32_f32_e32 v22, v3
	s_cmp_lg_u32 s51, 2
	s_mov_b32 s21, 0
	s_cselect_b64 s[22:23], -1, 0
	s_cmp_gt_u32 s48, 2
	s_mov_b32 s50, s21
	s_cselect_b64 s[24:25], -1, 0
	s_ashr_i32 s27, s17, 31
	s_mov_b32 s26, s17
	s_waitcnt lgkmcnt(0)
	s_ashr_i32 s29, s19, 31
	s_mov_b32 s28, s19
	s_branch .LBB93_3
.LBB93_2:                               ;   in Loop: Header=BB93_3 Depth=1
	s_or_b64 exec, exec, s[0:1]
	v_mov_b32_e32 v3, s50
	v_add_co_u32_e32 v0, vcc, s49, v0
	v_addc_co_u32_e32 v1, vcc, v1, v3, vcc
	v_cmp_le_i64_e32 vcc, s[10:11], v[0:1]
	s_or_b64 s[30:31], vcc, s[30:31]
	s_andn2_b64 exec, exec, s[30:31]
	s_cbranch_execz .LBB93_58
.LBB93_3:                               ; =>This Loop Header: Depth=1
                                        ;     Child Loop BB93_37 Depth 2
                                        ;     Child Loop BB93_18 Depth 2
	v_or_b32_e32 v3, s45, v1
	v_cmp_ne_u64_e32 vcc, 0, v[2:3]
                                        ; implicit-def: $vgpr4_vgpr5
                                        ; implicit-def: $vgpr14_vgpr15
	s_and_saveexec_b64 s[0:1], vcc
	s_xor_b64 s[34:35], exec, s[0:1]
	s_cbranch_execz .LBB93_5
; %bb.4:                                ;   in Loop: Header=BB93_3 Depth=1
	s_add_u32 s0, s43, s45
	s_mov_b32 s2, s45
	s_mov_b32 s3, s45
	s_addc_u32 s1, s45, s45
	s_xor_b64 s[36:37], s[0:1], s[2:3]
	v_cvt_f32_u32_e32 v3, s36
	v_cvt_f32_u32_e32 v4, s37
	s_sub_u32 s0, 0, s36
	s_subb_u32 s1, 0, s37
	v_mac_f32_e32 v3, 0x4f800000, v4
	v_rcp_f32_e32 v3, v3
	v_mul_f32_e32 v3, 0x5f7ffffc, v3
	v_mul_f32_e32 v4, 0x2f800000, v3
	v_trunc_f32_e32 v4, v4
	v_mac_f32_e32 v3, 0xcf800000, v4
	v_cvt_u32_f32_e32 v4, v4
	v_cvt_u32_f32_e32 v3, v3
	v_mul_lo_u32 v5, s0, v4
	v_mul_hi_u32 v7, s0, v3
	v_mul_lo_u32 v6, s1, v3
	v_add_u32_e32 v5, v7, v5
	v_mul_lo_u32 v8, s0, v3
	v_add_u32_e32 v5, v5, v6
	v_mul_lo_u32 v7, v3, v5
	v_mul_hi_u32 v9, v3, v8
	v_mul_hi_u32 v6, v3, v5
	v_add_co_u32_e32 v7, vcc, v9, v7
	v_addc_co_u32_e32 v6, vcc, 0, v6, vcc
	v_mul_hi_u32 v10, v4, v8
	v_mul_lo_u32 v8, v4, v8
	v_add_co_u32_e32 v7, vcc, v7, v8
	v_mul_hi_u32 v9, v4, v5
	v_addc_co_u32_e32 v6, vcc, v6, v10, vcc
	v_addc_co_u32_e32 v7, vcc, 0, v9, vcc
	v_mul_lo_u32 v5, v4, v5
	v_add_co_u32_e32 v5, vcc, v6, v5
	v_addc_co_u32_e32 v6, vcc, 0, v7, vcc
	v_add_co_u32_e32 v3, vcc, v3, v5
	v_addc_co_u32_e32 v4, vcc, v4, v6, vcc
	v_mul_lo_u32 v5, s0, v4
	v_mul_hi_u32 v6, s0, v3
	v_add_u32_e32 v5, v6, v5
	v_mul_lo_u32 v6, s1, v3
	v_add_u32_e32 v5, v5, v6
	v_mul_lo_u32 v7, s0, v3
	v_mul_hi_u32 v8, v4, v7
	v_mul_lo_u32 v9, v4, v7
	v_mul_lo_u32 v11, v3, v5
	v_mul_hi_u32 v7, v3, v7
	v_mul_hi_u32 v10, v3, v5
	v_add_co_u32_e32 v7, vcc, v7, v11
	v_addc_co_u32_e32 v10, vcc, 0, v10, vcc
	v_add_co_u32_e32 v7, vcc, v7, v9
	v_mul_hi_u32 v6, v4, v5
	v_addc_co_u32_e32 v7, vcc, v10, v8, vcc
	v_addc_co_u32_e32 v6, vcc, 0, v6, vcc
	v_mul_lo_u32 v5, v4, v5
	v_add_co_u32_e32 v5, vcc, v7, v5
	v_addc_co_u32_e32 v6, vcc, 0, v6, vcc
	v_add_co_u32_e32 v3, vcc, v3, v5
	v_addc_co_u32_e32 v6, vcc, v4, v6, vcc
	v_ashrrev_i32_e32 v8, 31, v1
	v_add_co_u32_e32 v4, vcc, v0, v8
	v_addc_co_u32_e32 v5, vcc, v1, v8, vcc
	v_xor_b32_e32 v10, v4, v8
	v_xor_b32_e32 v9, v5, v8
	v_mad_u64_u32 v[4:5], s[0:1], v10, v6, 0
	v_mul_hi_u32 v7, v10, v3
	v_add_co_u32_e32 v11, vcc, v7, v4
	v_addc_co_u32_e32 v12, vcc, 0, v5, vcc
	v_mad_u64_u32 v[4:5], s[0:1], v9, v6, 0
	v_mad_u64_u32 v[6:7], s[0:1], v9, v3, 0
	v_add_co_u32_e32 v3, vcc, v11, v6
	v_addc_co_u32_e32 v3, vcc, v12, v7, vcc
	v_addc_co_u32_e32 v5, vcc, 0, v5, vcc
	v_add_co_u32_e32 v3, vcc, v3, v4
	v_addc_co_u32_e32 v6, vcc, 0, v5, vcc
	v_mul_lo_u32 v7, s37, v3
	v_mul_lo_u32 v11, s36, v6
	v_mad_u64_u32 v[4:5], s[0:1], s36, v3, 0
	v_add3_u32 v5, v5, v11, v7
	v_sub_u32_e32 v7, v9, v5
	v_mov_b32_e32 v11, s37
	v_sub_co_u32_e32 v4, vcc, v10, v4
	v_subb_co_u32_e64 v7, s[0:1], v7, v11, vcc
	v_subrev_co_u32_e64 v10, s[0:1], s36, v4
	v_subbrev_co_u32_e64 v7, s[0:1], 0, v7, s[0:1]
	v_cmp_le_u32_e64 s[0:1], s37, v7
	v_cndmask_b32_e64 v11, 0, -1, s[0:1]
	v_cmp_le_u32_e64 s[0:1], s36, v10
	v_cndmask_b32_e64 v12, 0, -1, s[0:1]
	v_cmp_eq_u32_e64 s[0:1], s37, v7
	v_cndmask_b32_e64 v7, v11, v12, s[0:1]
	v_add_co_u32_e64 v11, s[0:1], 2, v3
	v_addc_co_u32_e64 v12, s[0:1], 0, v6, s[0:1]
	v_add_co_u32_e64 v13, s[0:1], 1, v3
	v_subb_co_u32_e32 v5, vcc, v9, v5, vcc
	v_addc_co_u32_e64 v14, s[0:1], 0, v6, s[0:1]
	v_cmp_le_u32_e32 vcc, s37, v5
	v_cmp_ne_u32_e64 s[0:1], 0, v7
	v_cndmask_b32_e64 v9, 0, -1, vcc
	v_cmp_le_u32_e32 vcc, s36, v4
	v_cndmask_b32_e64 v7, v14, v12, s[0:1]
	v_cndmask_b32_e64 v12, 0, -1, vcc
	v_cmp_eq_u32_e32 vcc, s37, v5
	v_cndmask_b32_e32 v5, v9, v12, vcc
	v_cmp_ne_u32_e32 vcc, 0, v5
	v_cndmask_b32_e32 v5, v6, v7, vcc
	v_cndmask_b32_e64 v6, v13, v11, s[0:1]
	v_cndmask_b32_e32 v3, v3, v6, vcc
	v_xor_b32_e32 v7, s2, v8
	v_xor_b32_e32 v6, s3, v8
	;; [unrolled: 1-line block ×4, first 2 shown]
	v_sub_co_u32_e64 v14, s[2:3], v3, v7
	v_subb_co_u32_e64 v15, s[2:3], v5, v6, s[2:3]
	v_subrev_co_u32_e64 v3, s[2:3], s36, v10
	v_cndmask_b32_e64 v3, v10, v3, s[0:1]
	v_cndmask_b32_e32 v3, v4, v3, vcc
	v_xor_b32_e32 v3, v3, v8
	v_sub_co_u32_e32 v4, vcc, v3, v8
.LBB93_5:                               ;   in Loop: Header=BB93_3 Depth=1
	s_andn2_saveexec_b64 s[2:3], s[34:35]
	s_cbranch_execz .LBB93_7
; %bb.6:                                ;   in Loop: Header=BB93_3 Depth=1
	s_sub_i32 s0, 0, s43
	v_mul_lo_u32 v3, s0, v22
	v_mul_hi_u32 v3, v22, v3
	v_add_u32_e32 v3, v22, v3
	v_mul_hi_u32 v3, v0, v3
	v_mul_lo_u32 v4, v3, s43
	v_sub_u32_e32 v4, v0, v4
	v_subrev_u32_e32 v5, s43, v4
	v_cmp_le_u32_e32 vcc, s43, v4
	v_cndmask_b32_e32 v4, v4, v5, vcc
	v_subrev_u32_e32 v5, s43, v4
	v_cmp_le_u32_e64 s[0:1], s43, v4
	v_cndmask_b32_e64 v4, v4, v5, s[0:1]
	v_add_u32_e32 v5, 1, v3
	v_cndmask_b32_e32 v3, v3, v5, vcc
	v_add_u32_e32 v5, 1, v3
	v_cndmask_b32_e64 v14, v3, v5, s[0:1]
	v_mov_b32_e32 v15, v2
.LBB93_7:                               ;   in Loop: Header=BB93_3 Depth=1
	s_or_b64 exec, exec, s[2:3]
	v_or_b32_e32 v3, s44, v15
	v_cmp_ne_u64_e32 vcc, 0, v[2:3]
                                        ; implicit-def: $vgpr8_vgpr9
	s_and_saveexec_b64 s[0:1], vcc
	s_xor_b64 s[2:3], exec, s[0:1]
	s_cbranch_execz .LBB93_9
; %bb.8:                                ;   in Loop: Header=BB93_3 Depth=1
	s_add_u32 s34, s12, s44
	s_mov_b32 s0, s44
	s_mov_b32 s1, s44
	s_addc_u32 s35, s44, s44
	s_xor_b64 s[34:35], s[34:35], s[0:1]
	v_cvt_f32_u32_e32 v5, s34
	v_cvt_f32_u32_e32 v6, s35
	s_sub_u32 s0, 0, s34
	s_subb_u32 s1, 0, s35
	v_mac_f32_e32 v5, 0x4f800000, v6
	v_rcp_f32_e32 v5, v5
	v_mul_f32_e32 v5, 0x5f7ffffc, v5
	v_mul_f32_e32 v6, 0x2f800000, v5
	v_trunc_f32_e32 v6, v6
	v_mac_f32_e32 v5, 0xcf800000, v6
	v_cvt_u32_f32_e32 v6, v6
	v_cvt_u32_f32_e32 v5, v5
	v_mul_lo_u32 v7, s0, v6
	v_mul_hi_u32 v9, s0, v5
	v_mul_lo_u32 v8, s1, v5
	v_add_u32_e32 v7, v9, v7
	v_mul_lo_u32 v10, s0, v5
	v_add_u32_e32 v7, v7, v8
	v_mul_lo_u32 v9, v5, v7
	v_mul_hi_u32 v11, v5, v10
	v_mul_hi_u32 v8, v5, v7
	v_add_co_u32_e32 v9, vcc, v11, v9
	v_addc_co_u32_e32 v8, vcc, 0, v8, vcc
	v_mul_hi_u32 v12, v6, v10
	v_mul_lo_u32 v10, v6, v10
	v_add_co_u32_e32 v9, vcc, v9, v10
	v_mul_hi_u32 v11, v6, v7
	v_addc_co_u32_e32 v8, vcc, v8, v12, vcc
	v_addc_co_u32_e32 v9, vcc, 0, v11, vcc
	v_mul_lo_u32 v7, v6, v7
	v_add_co_u32_e32 v7, vcc, v8, v7
	v_addc_co_u32_e32 v8, vcc, 0, v9, vcc
	v_add_co_u32_e32 v5, vcc, v5, v7
	v_addc_co_u32_e32 v6, vcc, v6, v8, vcc
	v_mul_lo_u32 v7, s0, v6
	v_mul_hi_u32 v8, s0, v5
	v_add_u32_e32 v7, v8, v7
	v_mul_lo_u32 v8, s1, v5
	v_add_u32_e32 v7, v7, v8
	v_mul_lo_u32 v9, s0, v5
	v_mul_hi_u32 v10, v6, v9
	v_mul_lo_u32 v11, v6, v9
	v_mul_lo_u32 v13, v5, v7
	v_mul_hi_u32 v9, v5, v9
	v_mul_hi_u32 v12, v5, v7
	v_add_co_u32_e32 v9, vcc, v9, v13
	v_addc_co_u32_e32 v12, vcc, 0, v12, vcc
	v_add_co_u32_e32 v9, vcc, v9, v11
	v_mul_hi_u32 v8, v6, v7
	v_addc_co_u32_e32 v9, vcc, v12, v10, vcc
	v_addc_co_u32_e32 v8, vcc, 0, v8, vcc
	v_mul_lo_u32 v7, v6, v7
	v_add_co_u32_e32 v7, vcc, v9, v7
	v_addc_co_u32_e32 v8, vcc, 0, v8, vcc
	v_add_co_u32_e32 v5, vcc, v5, v7
	v_addc_co_u32_e32 v8, vcc, v6, v8, vcc
	v_ashrrev_i32_e32 v10, 31, v15
	v_add_co_u32_e32 v6, vcc, v14, v10
	v_addc_co_u32_e32 v7, vcc, v15, v10, vcc
	v_xor_b32_e32 v12, v6, v10
	v_xor_b32_e32 v11, v7, v10
	v_mad_u64_u32 v[6:7], s[0:1], v12, v8, 0
	v_mul_hi_u32 v9, v12, v5
	v_add_co_u32_e32 v13, vcc, v9, v6
	v_addc_co_u32_e32 v16, vcc, 0, v7, vcc
	v_mad_u64_u32 v[6:7], s[0:1], v11, v8, 0
	v_mad_u64_u32 v[8:9], s[0:1], v11, v5, 0
	v_add_co_u32_e32 v5, vcc, v13, v8
	v_addc_co_u32_e32 v5, vcc, v16, v9, vcc
	v_addc_co_u32_e32 v7, vcc, 0, v7, vcc
	v_add_co_u32_e32 v5, vcc, v5, v6
	v_addc_co_u32_e32 v6, vcc, 0, v7, vcc
	v_mul_lo_u32 v8, s35, v5
	v_mul_lo_u32 v9, s34, v6
	v_mad_u64_u32 v[6:7], s[0:1], s34, v5, 0
	v_add3_u32 v5, v7, v9, v8
	v_sub_u32_e32 v7, v11, v5
	v_mov_b32_e32 v8, s35
	v_sub_co_u32_e32 v6, vcc, v12, v6
	v_subb_co_u32_e64 v7, s[0:1], v7, v8, vcc
	v_subrev_co_u32_e64 v8, s[0:1], s34, v6
	v_subbrev_co_u32_e64 v7, s[0:1], 0, v7, s[0:1]
	v_cmp_le_u32_e64 s[0:1], s35, v7
	v_subb_co_u32_e32 v5, vcc, v11, v5, vcc
	v_cndmask_b32_e64 v9, 0, -1, s[0:1]
	v_cmp_le_u32_e64 s[0:1], s34, v8
	v_cmp_le_u32_e32 vcc, s35, v5
	v_cndmask_b32_e64 v12, 0, -1, s[0:1]
	v_cmp_eq_u32_e64 s[0:1], s35, v7
	v_cndmask_b32_e64 v11, 0, -1, vcc
	v_cmp_le_u32_e32 vcc, s34, v6
	v_cndmask_b32_e64 v7, v9, v12, s[0:1]
	v_cndmask_b32_e64 v12, 0, -1, vcc
	v_cmp_eq_u32_e32 vcc, s35, v5
	v_subrev_co_u32_e64 v9, s[0:1], s34, v8
	v_cndmask_b32_e32 v5, v11, v12, vcc
	v_cmp_ne_u32_e32 vcc, 0, v7
	v_cndmask_b32_e32 v7, v8, v9, vcc
	v_cmp_ne_u32_e32 vcc, 0, v5
	v_cndmask_b32_e32 v5, v6, v7, vcc
	v_xor_b32_e32 v5, v5, v10
	v_sub_co_u32_e32 v8, vcc, v5, v10
.LBB93_9:                               ;   in Loop: Header=BB93_3 Depth=1
	s_andn2_saveexec_b64 s[0:1], s[2:3]
	s_cbranch_execz .LBB93_11
; %bb.10:                               ;   in Loop: Header=BB93_3 Depth=1
	v_cvt_f32_u32_e32 v5, s12
	s_sub_i32 s2, 0, s12
	v_rcp_iflag_f32_e32 v5, v5
	v_mul_f32_e32 v5, 0x4f7ffffe, v5
	v_cvt_u32_f32_e32 v5, v5
	v_mul_lo_u32 v6, s2, v5
	v_mul_hi_u32 v6, v5, v6
	v_add_u32_e32 v5, v5, v6
	v_mul_hi_u32 v5, v14, v5
	v_mul_lo_u32 v5, v5, s12
	v_sub_u32_e32 v5, v14, v5
	v_subrev_u32_e32 v6, s12, v5
	v_cmp_le_u32_e32 vcc, s12, v5
	v_cndmask_b32_e32 v5, v5, v6, vcc
	v_subrev_u32_e32 v6, s12, v5
	v_cmp_le_u32_e32 vcc, s12, v5
	v_cndmask_b32_e32 v8, v5, v6, vcc
.LBB93_11:                              ;   in Loop: Header=BB93_3 Depth=1
	s_or_b64 exec, exec, s[0:1]
	v_mul_lo_u32 v6, s17, v4
	v_mad_u64_u32 v[10:11], s[0:1], s16, v8, v[6:7]
	v_mul_lo_u32 v6, s19, v4
	s_andn2_b64 vcc, exec, s[14:15]
	v_mad_u64_u32 v[6:7], s[0:1], s18, v8, v[6:7]
	s_cbranch_vccnz .LBB93_41
; %bb.12:                               ;   in Loop: Header=BB93_3 Depth=1
	v_cmp_ne_u64_e32 vcc, 0, v[2:3]
                                        ; implicit-def: $vgpr12_vgpr13
	s_and_saveexec_b64 s[0:1], vcc
	s_xor_b64 s[2:3], exec, s[0:1]
	s_cbranch_execz .LBB93_14
; %bb.13:                               ;   in Loop: Header=BB93_3 Depth=1
	s_add_u32 s0, s12, s44
	s_mov_b32 s34, s44
	s_mov_b32 s35, s44
	s_addc_u32 s1, s44, s44
	s_xor_b64 s[36:37], s[0:1], s[34:35]
	v_cvt_f32_u32_e32 v3, s36
	v_cvt_f32_u32_e32 v5, s37
	s_sub_u32 s0, 0, s36
	s_subb_u32 s1, 0, s37
	v_mac_f32_e32 v3, 0x4f800000, v5
	v_rcp_f32_e32 v3, v3
	v_mul_f32_e32 v3, 0x5f7ffffc, v3
	v_mul_f32_e32 v5, 0x2f800000, v3
	v_trunc_f32_e32 v5, v5
	v_mac_f32_e32 v3, 0xcf800000, v5
	v_cvt_u32_f32_e32 v5, v5
	v_cvt_u32_f32_e32 v3, v3
	v_mul_lo_u32 v7, s0, v5
	v_mul_hi_u32 v11, s0, v3
	v_mul_lo_u32 v9, s1, v3
	v_add_u32_e32 v7, v11, v7
	v_mul_lo_u32 v12, s0, v3
	v_add_u32_e32 v7, v7, v9
	v_mul_lo_u32 v11, v3, v7
	v_mul_hi_u32 v13, v3, v12
	v_mul_hi_u32 v9, v3, v7
	v_add_co_u32_e32 v11, vcc, v13, v11
	v_addc_co_u32_e32 v9, vcc, 0, v9, vcc
	v_mul_hi_u32 v16, v5, v12
	v_mul_lo_u32 v12, v5, v12
	v_add_co_u32_e32 v11, vcc, v11, v12
	v_mul_hi_u32 v13, v5, v7
	v_addc_co_u32_e32 v9, vcc, v9, v16, vcc
	v_addc_co_u32_e32 v11, vcc, 0, v13, vcc
	v_mul_lo_u32 v7, v5, v7
	v_add_co_u32_e32 v7, vcc, v9, v7
	v_addc_co_u32_e32 v9, vcc, 0, v11, vcc
	v_add_co_u32_e32 v3, vcc, v3, v7
	v_addc_co_u32_e32 v5, vcc, v5, v9, vcc
	v_mul_lo_u32 v7, s0, v5
	v_mul_hi_u32 v9, s0, v3
	v_add_u32_e32 v7, v9, v7
	v_mul_lo_u32 v9, s1, v3
	v_add_u32_e32 v7, v7, v9
	v_mul_lo_u32 v11, s0, v3
	v_mul_hi_u32 v12, v5, v11
	v_mul_lo_u32 v13, v5, v11
	v_mul_lo_u32 v17, v3, v7
	v_mul_hi_u32 v11, v3, v11
	v_mul_hi_u32 v16, v3, v7
	v_add_co_u32_e32 v11, vcc, v11, v17
	v_addc_co_u32_e32 v16, vcc, 0, v16, vcc
	v_add_co_u32_e32 v11, vcc, v11, v13
	v_mul_hi_u32 v9, v5, v7
	v_addc_co_u32_e32 v11, vcc, v16, v12, vcc
	v_addc_co_u32_e32 v9, vcc, 0, v9, vcc
	v_mul_lo_u32 v7, v5, v7
	v_add_co_u32_e32 v7, vcc, v11, v7
	v_addc_co_u32_e32 v9, vcc, 0, v9, vcc
	v_add_co_u32_e32 v3, vcc, v3, v7
	v_addc_co_u32_e32 v5, vcc, v5, v9, vcc
	v_ashrrev_i32_e32 v7, 31, v15
	v_add_co_u32_e32 v9, vcc, v14, v7
	v_xor_b32_e32 v9, v9, v7
	v_addc_co_u32_e32 v11, vcc, v15, v7, vcc
	v_mad_u64_u32 v[12:13], s[0:1], v9, v5, 0
	v_mul_hi_u32 v14, v9, v3
	v_xor_b32_e32 v11, v11, v7
	v_add_co_u32_e32 v16, vcc, v14, v12
	v_addc_co_u32_e32 v17, vcc, 0, v13, vcc
	v_mad_u64_u32 v[14:15], s[0:1], v11, v3, 0
	v_add_co_u32_e32 v3, vcc, v16, v14
	v_mad_u64_u32 v[12:13], s[0:1], v11, v5, 0
	v_addc_co_u32_e32 v3, vcc, v17, v15, vcc
	v_addc_co_u32_e32 v5, vcc, 0, v13, vcc
	v_add_co_u32_e32 v3, vcc, v3, v12
	v_addc_co_u32_e32 v5, vcc, 0, v5, vcc
	v_mul_lo_u32 v14, s37, v3
	v_mul_lo_u32 v15, s36, v5
	v_mad_u64_u32 v[12:13], s[0:1], s36, v3, 0
	v_add3_u32 v13, v13, v15, v14
	v_sub_u32_e32 v14, v11, v13
	v_mov_b32_e32 v15, s37
	v_sub_co_u32_e32 v9, vcc, v9, v12
	v_subb_co_u32_e64 v12, s[0:1], v14, v15, vcc
	v_subrev_co_u32_e64 v14, s[0:1], s36, v9
	v_subbrev_co_u32_e64 v12, s[0:1], 0, v12, s[0:1]
	v_cmp_le_u32_e64 s[0:1], s37, v12
	v_cndmask_b32_e64 v15, 0, -1, s[0:1]
	v_cmp_le_u32_e64 s[0:1], s36, v14
	v_cndmask_b32_e64 v14, 0, -1, s[0:1]
	v_cmp_eq_u32_e64 s[0:1], s37, v12
	v_cndmask_b32_e64 v12, v15, v14, s[0:1]
	v_add_co_u32_e64 v14, s[0:1], 2, v3
	v_subb_co_u32_e32 v11, vcc, v11, v13, vcc
	v_addc_co_u32_e64 v15, s[0:1], 0, v5, s[0:1]
	v_cmp_le_u32_e32 vcc, s37, v11
	v_add_co_u32_e64 v16, s[0:1], 1, v3
	v_cndmask_b32_e64 v13, 0, -1, vcc
	v_cmp_le_u32_e32 vcc, s36, v9
	v_addc_co_u32_e64 v17, s[0:1], 0, v5, s[0:1]
	v_cndmask_b32_e64 v9, 0, -1, vcc
	v_cmp_eq_u32_e32 vcc, s37, v11
	v_cmp_ne_u32_e64 s[0:1], 0, v12
	v_cndmask_b32_e32 v9, v13, v9, vcc
	v_cmp_ne_u32_e32 vcc, 0, v9
	v_cndmask_b32_e64 v9, v16, v14, s[0:1]
	v_cndmask_b32_e64 v12, v17, v15, s[0:1]
	v_cndmask_b32_e32 v3, v3, v9, vcc
	v_xor_b32_e32 v9, s35, v7
	v_xor_b32_e32 v7, s34, v7
	v_cndmask_b32_e32 v5, v5, v12, vcc
	v_xor_b32_e32 v3, v3, v7
	v_xor_b32_e32 v5, v5, v9
	v_sub_co_u32_e32 v12, vcc, v3, v7
	v_subb_co_u32_e32 v13, vcc, v5, v9, vcc
                                        ; implicit-def: $vgpr14_vgpr15
.LBB93_14:                              ;   in Loop: Header=BB93_3 Depth=1
	s_andn2_saveexec_b64 s[0:1], s[2:3]
	s_cbranch_execz .LBB93_16
; %bb.15:                               ;   in Loop: Header=BB93_3 Depth=1
	v_cvt_f32_u32_e32 v3, s12
	s_sub_i32 s2, 0, s12
	v_mov_b32_e32 v13, v2
	v_rcp_iflag_f32_e32 v3, v3
	v_mul_f32_e32 v3, 0x4f7ffffe, v3
	v_cvt_u32_f32_e32 v3, v3
	v_mul_lo_u32 v5, s2, v3
	v_mul_hi_u32 v5, v3, v5
	v_add_u32_e32 v3, v3, v5
	v_mul_hi_u32 v3, v14, v3
	v_mul_lo_u32 v5, v3, s12
	v_sub_u32_e32 v5, v14, v5
	v_add_u32_e32 v7, 1, v3
	v_subrev_u32_e32 v9, s12, v5
	v_cmp_le_u32_e32 vcc, s12, v5
	v_cndmask_b32_e32 v5, v5, v9, vcc
	v_cndmask_b32_e32 v3, v3, v7, vcc
	v_add_u32_e32 v7, 1, v3
	v_cmp_le_u32_e32 vcc, s12, v5
	v_cndmask_b32_e32 v12, v3, v7, vcc
.LBB93_16:                              ;   in Loop: Header=BB93_3 Depth=1
	s_or_b64 exec, exec, s[0:1]
	s_andn2_b64 vcc, exec, s[22:23]
	s_mov_b32 s52, 1
	s_mov_b32 s20, s48
	s_cbranch_vccz .LBB93_37
.LBB93_17:                              ;   in Loop: Header=BB93_3 Depth=1
	s_and_b64 vcc, exec, s[24:25]
	s_cbranch_vccz .LBB93_41
.LBB93_18:                              ;   Parent Loop BB93_3 Depth=1
                                        ; =>  This Inner Loop Header: Depth=2
	s_lshl_b64 s[2:3], s[20:21], 2
	s_add_u32 s34, s33, s2
	s_addc_u32 s35, s42, s3
	s_load_dword s52, s[34:35], 0x8
                                        ; implicit-def: $vgpr14_vgpr15
	s_waitcnt lgkmcnt(0)
	s_ashr_i32 s0, s52, 31
	v_or_b32_e32 v3, s0, v13
	v_cmp_ne_u64_e32 vcc, 0, v[2:3]
	s_and_saveexec_b64 s[36:37], vcc
	s_xor_b64 s[36:37], exec, s[36:37]
	s_cbranch_execz .LBB93_20
; %bb.19:                               ;   in Loop: Header=BB93_18 Depth=2
	s_add_u32 s40, s52, s0
	s_mov_b32 s38, s0
	s_mov_b32 s39, s0
	s_addc_u32 s41, s0, s0
	s_xor_b64 s[40:41], s[40:41], s[38:39]
	v_cvt_f32_u32_e32 v3, s40
	v_cvt_f32_u32_e32 v5, s41
	s_sub_u32 s0, 0, s40
	s_subb_u32 s1, 0, s41
	v_mac_f32_e32 v3, 0x4f800000, v5
	v_rcp_f32_e32 v3, v3
	v_mul_f32_e32 v3, 0x5f7ffffc, v3
	v_mul_f32_e32 v5, 0x2f800000, v3
	v_trunc_f32_e32 v5, v5
	v_mac_f32_e32 v3, 0xcf800000, v5
	v_cvt_u32_f32_e32 v5, v5
	v_cvt_u32_f32_e32 v3, v3
	v_mul_lo_u32 v7, s0, v5
	v_mul_hi_u32 v11, s0, v3
	v_mul_lo_u32 v9, s1, v3
	v_add_u32_e32 v7, v11, v7
	v_mul_lo_u32 v14, s0, v3
	v_add_u32_e32 v7, v7, v9
	v_mul_lo_u32 v11, v3, v7
	v_mul_hi_u32 v15, v3, v14
	v_mul_hi_u32 v9, v3, v7
	v_add_co_u32_e32 v11, vcc, v15, v11
	v_addc_co_u32_e32 v9, vcc, 0, v9, vcc
	v_mul_hi_u32 v16, v5, v14
	v_mul_lo_u32 v14, v5, v14
	v_add_co_u32_e32 v11, vcc, v11, v14
	v_mul_hi_u32 v15, v5, v7
	v_addc_co_u32_e32 v9, vcc, v9, v16, vcc
	v_addc_co_u32_e32 v11, vcc, 0, v15, vcc
	v_mul_lo_u32 v7, v5, v7
	v_add_co_u32_e32 v7, vcc, v9, v7
	v_addc_co_u32_e32 v9, vcc, 0, v11, vcc
	v_add_co_u32_e32 v3, vcc, v3, v7
	v_addc_co_u32_e32 v5, vcc, v5, v9, vcc
	v_mul_lo_u32 v7, s0, v5
	v_mul_hi_u32 v9, s0, v3
	v_add_u32_e32 v7, v9, v7
	v_mul_lo_u32 v9, s1, v3
	v_add_u32_e32 v7, v7, v9
	v_mul_lo_u32 v11, s0, v3
	v_mul_hi_u32 v14, v5, v11
	v_mul_lo_u32 v15, v5, v11
	v_mul_lo_u32 v17, v3, v7
	v_mul_hi_u32 v11, v3, v11
	v_mul_hi_u32 v16, v3, v7
	v_add_co_u32_e32 v11, vcc, v11, v17
	v_addc_co_u32_e32 v16, vcc, 0, v16, vcc
	v_add_co_u32_e32 v11, vcc, v11, v15
	v_mul_hi_u32 v9, v5, v7
	v_addc_co_u32_e32 v11, vcc, v16, v14, vcc
	v_addc_co_u32_e32 v9, vcc, 0, v9, vcc
	v_mul_lo_u32 v7, v5, v7
	v_add_co_u32_e32 v7, vcc, v11, v7
	v_addc_co_u32_e32 v9, vcc, 0, v9, vcc
	v_add_co_u32_e32 v3, vcc, v3, v7
	v_addc_co_u32_e32 v5, vcc, v5, v9, vcc
	v_ashrrev_i32_e32 v7, 31, v13
	v_add_co_u32_e32 v9, vcc, v12, v7
	v_xor_b32_e32 v9, v9, v7
	v_addc_co_u32_e32 v11, vcc, v13, v7, vcc
	v_mad_u64_u32 v[14:15], s[0:1], v9, v5, 0
	v_mul_hi_u32 v13, v9, v3
	v_xor_b32_e32 v11, v11, v7
	v_add_co_u32_e32 v13, vcc, v13, v14
	v_addc_co_u32_e32 v18, vcc, 0, v15, vcc
	v_mad_u64_u32 v[16:17], s[0:1], v11, v3, 0
	v_add_co_u32_e32 v3, vcc, v13, v16
	v_mad_u64_u32 v[14:15], s[0:1], v11, v5, 0
	v_addc_co_u32_e32 v3, vcc, v18, v17, vcc
	v_addc_co_u32_e32 v5, vcc, 0, v15, vcc
	v_add_co_u32_e32 v3, vcc, v3, v14
	v_addc_co_u32_e32 v5, vcc, 0, v5, vcc
	v_mul_lo_u32 v13, s41, v3
	v_mul_lo_u32 v16, s40, v5
	v_mad_u64_u32 v[14:15], s[0:1], s40, v3, 0
	v_add3_u32 v13, v15, v16, v13
	v_sub_u32_e32 v15, v11, v13
	v_mov_b32_e32 v16, s41
	v_sub_co_u32_e32 v9, vcc, v9, v14
	v_subb_co_u32_e64 v14, s[0:1], v15, v16, vcc
	v_subrev_co_u32_e64 v15, s[0:1], s40, v9
	v_subbrev_co_u32_e64 v14, s[0:1], 0, v14, s[0:1]
	v_cmp_le_u32_e64 s[0:1], s41, v14
	v_cndmask_b32_e64 v16, 0, -1, s[0:1]
	v_cmp_le_u32_e64 s[0:1], s40, v15
	v_cndmask_b32_e64 v15, 0, -1, s[0:1]
	v_cmp_eq_u32_e64 s[0:1], s41, v14
	v_cndmask_b32_e64 v14, v16, v15, s[0:1]
	v_add_co_u32_e64 v15, s[0:1], 2, v3
	v_subb_co_u32_e32 v11, vcc, v11, v13, vcc
	v_addc_co_u32_e64 v16, s[0:1], 0, v5, s[0:1]
	v_cmp_le_u32_e32 vcc, s41, v11
	v_add_co_u32_e64 v17, s[0:1], 1, v3
	v_cndmask_b32_e64 v13, 0, -1, vcc
	v_cmp_le_u32_e32 vcc, s40, v9
	v_addc_co_u32_e64 v18, s[0:1], 0, v5, s[0:1]
	v_cndmask_b32_e64 v9, 0, -1, vcc
	v_cmp_eq_u32_e32 vcc, s41, v11
	v_cmp_ne_u32_e64 s[0:1], 0, v14
	v_cndmask_b32_e32 v9, v13, v9, vcc
	v_cmp_ne_u32_e32 vcc, 0, v9
	v_cndmask_b32_e64 v9, v17, v15, s[0:1]
	v_cndmask_b32_e64 v14, v18, v16, s[0:1]
	v_cndmask_b32_e32 v3, v3, v9, vcc
	v_xor_b32_e32 v9, s39, v7
	v_xor_b32_e32 v7, s38, v7
	v_cndmask_b32_e32 v5, v5, v14, vcc
	v_xor_b32_e32 v3, v3, v7
	v_xor_b32_e32 v5, v5, v9
	v_sub_co_u32_e32 v14, vcc, v3, v7
	v_subb_co_u32_e32 v15, vcc, v5, v9, vcc
.LBB93_20:                              ;   in Loop: Header=BB93_18 Depth=2
	s_andn2_saveexec_b64 s[0:1], s[36:37]
	s_cbranch_execz .LBB93_22
; %bb.21:                               ;   in Loop: Header=BB93_18 Depth=2
	v_cvt_f32_u32_e32 v3, s52
	s_sub_i32 s36, 0, s52
	v_mov_b32_e32 v15, v2
	v_rcp_iflag_f32_e32 v3, v3
	v_mul_f32_e32 v3, 0x4f7ffffe, v3
	v_cvt_u32_f32_e32 v3, v3
	v_mul_lo_u32 v5, s36, v3
	v_mul_hi_u32 v5, v3, v5
	v_add_u32_e32 v3, v3, v5
	v_mul_hi_u32 v3, v12, v3
	v_mul_lo_u32 v5, v3, s52
	v_sub_u32_e32 v5, v12, v5
	v_add_u32_e32 v7, 1, v3
	v_subrev_u32_e32 v9, s52, v5
	v_cmp_le_u32_e32 vcc, s52, v5
	v_cndmask_b32_e32 v5, v5, v9, vcc
	v_cndmask_b32_e32 v3, v3, v7, vcc
	v_add_u32_e32 v7, 1, v3
	v_cmp_le_u32_e32 vcc, s52, v5
	v_cndmask_b32_e32 v14, v3, v7, vcc
.LBB93_22:                              ;   in Loop: Header=BB93_18 Depth=2
	s_or_b64 exec, exec, s[0:1]
	s_add_u32 s0, s46, s2
	s_addc_u32 s1, s47, s3
	s_add_i32 s2, s20, -1
	s_mov_b32 s3, s21
	s_lshl_b64 s[36:37], s[2:3], 2
	s_add_u32 s2, s33, s36
	s_addc_u32 s3, s42, s37
	s_load_dword s53, s[2:3], 0x8
	s_load_dword s54, s[34:35], 0x6c
	;; [unrolled: 1-line block ×3, first 2 shown]
                                        ; implicit-def: $vgpr16_vgpr17
	s_waitcnt lgkmcnt(0)
	s_ashr_i32 s0, s53, 31
	v_or_b32_e32 v3, s0, v15
	v_cmp_ne_u64_e32 vcc, 0, v[2:3]
	s_and_saveexec_b64 s[34:35], vcc
	s_xor_b64 s[34:35], exec, s[34:35]
	s_cbranch_execz .LBB93_24
; %bb.23:                               ;   in Loop: Header=BB93_18 Depth=2
	s_add_u32 s40, s53, s0
	s_mov_b32 s38, s0
	s_mov_b32 s39, s0
	s_addc_u32 s41, s0, s0
	s_xor_b64 s[40:41], s[40:41], s[38:39]
	v_cvt_f32_u32_e32 v3, s40
	v_cvt_f32_u32_e32 v5, s41
	s_sub_u32 s0, 0, s40
	s_subb_u32 s1, 0, s41
	v_mac_f32_e32 v3, 0x4f800000, v5
	v_rcp_f32_e32 v3, v3
	v_mul_f32_e32 v3, 0x5f7ffffc, v3
	v_mul_f32_e32 v5, 0x2f800000, v3
	v_trunc_f32_e32 v5, v5
	v_mac_f32_e32 v3, 0xcf800000, v5
	v_cvt_u32_f32_e32 v5, v5
	v_cvt_u32_f32_e32 v3, v3
	v_mul_lo_u32 v7, s0, v5
	v_mul_hi_u32 v11, s0, v3
	v_mul_lo_u32 v9, s1, v3
	v_add_u32_e32 v7, v11, v7
	v_mul_lo_u32 v13, s0, v3
	v_add_u32_e32 v7, v7, v9
	v_mul_lo_u32 v11, v3, v7
	v_mul_hi_u32 v16, v3, v13
	v_mul_hi_u32 v9, v3, v7
	v_add_co_u32_e32 v11, vcc, v16, v11
	v_addc_co_u32_e32 v9, vcc, 0, v9, vcc
	v_mul_hi_u32 v17, v5, v13
	v_mul_lo_u32 v13, v5, v13
	v_add_co_u32_e32 v11, vcc, v11, v13
	v_mul_hi_u32 v16, v5, v7
	v_addc_co_u32_e32 v9, vcc, v9, v17, vcc
	v_addc_co_u32_e32 v11, vcc, 0, v16, vcc
	v_mul_lo_u32 v7, v5, v7
	v_add_co_u32_e32 v7, vcc, v9, v7
	v_addc_co_u32_e32 v9, vcc, 0, v11, vcc
	v_add_co_u32_e32 v3, vcc, v3, v7
	v_addc_co_u32_e32 v5, vcc, v5, v9, vcc
	v_mul_lo_u32 v7, s0, v5
	v_mul_hi_u32 v9, s0, v3
	v_add_u32_e32 v7, v9, v7
	v_mul_lo_u32 v9, s1, v3
	v_add_u32_e32 v7, v7, v9
	v_mul_lo_u32 v11, s0, v3
	v_mul_hi_u32 v13, v5, v11
	v_mul_lo_u32 v16, v5, v11
	v_mul_lo_u32 v18, v3, v7
	v_mul_hi_u32 v11, v3, v11
	v_mul_hi_u32 v17, v3, v7
	v_add_co_u32_e32 v11, vcc, v11, v18
	v_addc_co_u32_e32 v17, vcc, 0, v17, vcc
	v_add_co_u32_e32 v11, vcc, v11, v16
	v_mul_hi_u32 v9, v5, v7
	v_addc_co_u32_e32 v11, vcc, v17, v13, vcc
	v_addc_co_u32_e32 v9, vcc, 0, v9, vcc
	v_mul_lo_u32 v7, v5, v7
	v_add_co_u32_e32 v7, vcc, v11, v7
	v_addc_co_u32_e32 v9, vcc, 0, v9, vcc
	v_add_co_u32_e32 v3, vcc, v3, v7
	v_addc_co_u32_e32 v5, vcc, v5, v9, vcc
	v_ashrrev_i32_e32 v7, 31, v15
	v_add_co_u32_e32 v9, vcc, v14, v7
	v_xor_b32_e32 v9, v9, v7
	v_addc_co_u32_e32 v11, vcc, v15, v7, vcc
	v_mad_u64_u32 v[16:17], s[0:1], v9, v5, 0
	v_mul_hi_u32 v13, v9, v3
	v_xor_b32_e32 v11, v11, v7
	v_add_co_u32_e32 v13, vcc, v13, v16
	v_addc_co_u32_e32 v15, vcc, 0, v17, vcc
	v_mad_u64_u32 v[18:19], s[0:1], v11, v3, 0
	v_add_co_u32_e32 v3, vcc, v13, v18
	v_mad_u64_u32 v[16:17], s[0:1], v11, v5, 0
	v_addc_co_u32_e32 v3, vcc, v15, v19, vcc
	v_addc_co_u32_e32 v5, vcc, 0, v17, vcc
	v_add_co_u32_e32 v3, vcc, v3, v16
	v_addc_co_u32_e32 v5, vcc, 0, v5, vcc
	v_mul_lo_u32 v13, s41, v3
	v_mul_lo_u32 v15, s40, v5
	v_mad_u64_u32 v[16:17], s[0:1], s40, v3, 0
	v_add3_u32 v13, v17, v15, v13
	v_sub_u32_e32 v15, v11, v13
	v_mov_b32_e32 v17, s41
	v_sub_co_u32_e32 v9, vcc, v9, v16
	v_subb_co_u32_e64 v15, s[0:1], v15, v17, vcc
	v_subrev_co_u32_e64 v16, s[0:1], s40, v9
	v_subbrev_co_u32_e64 v15, s[0:1], 0, v15, s[0:1]
	v_cmp_le_u32_e64 s[0:1], s41, v15
	v_cndmask_b32_e64 v17, 0, -1, s[0:1]
	v_cmp_le_u32_e64 s[0:1], s40, v16
	v_cndmask_b32_e64 v16, 0, -1, s[0:1]
	v_cmp_eq_u32_e64 s[0:1], s41, v15
	v_cndmask_b32_e64 v15, v17, v16, s[0:1]
	v_add_co_u32_e64 v16, s[0:1], 2, v3
	v_subb_co_u32_e32 v11, vcc, v11, v13, vcc
	v_addc_co_u32_e64 v17, s[0:1], 0, v5, s[0:1]
	v_cmp_le_u32_e32 vcc, s41, v11
	v_add_co_u32_e64 v18, s[0:1], 1, v3
	v_cndmask_b32_e64 v13, 0, -1, vcc
	v_cmp_le_u32_e32 vcc, s40, v9
	v_addc_co_u32_e64 v19, s[0:1], 0, v5, s[0:1]
	v_cndmask_b32_e64 v9, 0, -1, vcc
	v_cmp_eq_u32_e32 vcc, s41, v11
	v_cmp_ne_u32_e64 s[0:1], 0, v15
	v_cndmask_b32_e32 v9, v13, v9, vcc
	v_cmp_ne_u32_e32 vcc, 0, v9
	v_cndmask_b32_e64 v9, v18, v16, s[0:1]
	v_cndmask_b32_e64 v15, v19, v17, s[0:1]
	v_cndmask_b32_e32 v3, v3, v9, vcc
	v_xor_b32_e32 v9, s39, v7
	v_xor_b32_e32 v7, s38, v7
	v_cndmask_b32_e32 v5, v5, v15, vcc
	v_xor_b32_e32 v3, v3, v7
	v_xor_b32_e32 v5, v5, v9
	v_sub_co_u32_e32 v16, vcc, v3, v7
	v_subb_co_u32_e32 v17, vcc, v5, v9, vcc
.LBB93_24:                              ;   in Loop: Header=BB93_18 Depth=2
	s_andn2_saveexec_b64 s[0:1], s[34:35]
	s_cbranch_execz .LBB93_26
; %bb.25:                               ;   in Loop: Header=BB93_18 Depth=2
	v_cvt_f32_u32_e32 v3, s53
	s_sub_i32 s34, 0, s53
	v_mov_b32_e32 v17, v2
	v_rcp_iflag_f32_e32 v3, v3
	v_mul_f32_e32 v3, 0x4f7ffffe, v3
	v_cvt_u32_f32_e32 v3, v3
	v_mul_lo_u32 v5, s34, v3
	v_mul_hi_u32 v5, v3, v5
	v_add_u32_e32 v3, v3, v5
	v_mul_hi_u32 v3, v14, v3
	v_mul_lo_u32 v5, v3, s53
	v_sub_u32_e32 v5, v14, v5
	v_add_u32_e32 v7, 1, v3
	v_subrev_u32_e32 v9, s53, v5
	v_cmp_le_u32_e32 vcc, s53, v5
	v_cndmask_b32_e32 v5, v5, v9, vcc
	v_cndmask_b32_e32 v3, v3, v7, vcc
	v_add_u32_e32 v7, 1, v3
	v_cmp_le_u32_e32 vcc, s53, v5
	v_cndmask_b32_e32 v16, v3, v7, vcc
.LBB93_26:                              ;   in Loop: Header=BB93_18 Depth=2
	s_or_b64 exec, exec, s[0:1]
	s_add_u32 s0, s46, s36
	s_addc_u32 s1, s47, s37
	s_add_i32 s34, s20, -2
	s_mov_b32 s35, s21
	s_lshl_b64 s[34:35], s[34:35], 2
	s_add_u32 s36, s33, s34
	s_addc_u32 s37, s42, s35
	s_load_dword s56, s[36:37], 0x8
	s_load_dword s58, s[2:3], 0x6c
	;; [unrolled: 1-line block ×3, first 2 shown]
                                        ; implicit-def: $vgpr18_vgpr19
	s_waitcnt lgkmcnt(0)
	s_ashr_i32 s0, s56, 31
	v_or_b32_e32 v3, s0, v17
	v_cmp_ne_u64_e32 vcc, 0, v[2:3]
	s_and_saveexec_b64 s[2:3], vcc
	s_xor_b64 s[2:3], exec, s[2:3]
	s_cbranch_execz .LBB93_28
; %bb.27:                               ;   in Loop: Header=BB93_18 Depth=2
	s_add_u32 s40, s56, s0
	s_mov_b32 s38, s0
	s_mov_b32 s39, s0
	s_addc_u32 s41, s0, s0
	s_xor_b64 s[40:41], s[40:41], s[38:39]
	v_cvt_f32_u32_e32 v3, s40
	v_cvt_f32_u32_e32 v5, s41
	s_sub_u32 s0, 0, s40
	s_subb_u32 s1, 0, s41
	v_mac_f32_e32 v3, 0x4f800000, v5
	v_rcp_f32_e32 v3, v3
	v_mul_f32_e32 v3, 0x5f7ffffc, v3
	v_mul_f32_e32 v5, 0x2f800000, v3
	v_trunc_f32_e32 v5, v5
	v_mac_f32_e32 v3, 0xcf800000, v5
	v_cvt_u32_f32_e32 v5, v5
	v_cvt_u32_f32_e32 v3, v3
	v_mul_lo_u32 v7, s0, v5
	v_mul_hi_u32 v11, s0, v3
	v_mul_lo_u32 v9, s1, v3
	v_add_u32_e32 v7, v11, v7
	v_mul_lo_u32 v13, s0, v3
	v_add_u32_e32 v7, v7, v9
	v_mul_lo_u32 v11, v3, v7
	v_mul_hi_u32 v15, v3, v13
	v_mul_hi_u32 v9, v3, v7
	v_add_co_u32_e32 v11, vcc, v15, v11
	v_addc_co_u32_e32 v9, vcc, 0, v9, vcc
	v_mul_hi_u32 v18, v5, v13
	v_mul_lo_u32 v13, v5, v13
	v_add_co_u32_e32 v11, vcc, v11, v13
	v_mul_hi_u32 v15, v5, v7
	v_addc_co_u32_e32 v9, vcc, v9, v18, vcc
	v_addc_co_u32_e32 v11, vcc, 0, v15, vcc
	v_mul_lo_u32 v7, v5, v7
	v_add_co_u32_e32 v7, vcc, v9, v7
	v_addc_co_u32_e32 v9, vcc, 0, v11, vcc
	v_add_co_u32_e32 v3, vcc, v3, v7
	v_addc_co_u32_e32 v5, vcc, v5, v9, vcc
	v_mul_lo_u32 v7, s0, v5
	v_mul_hi_u32 v9, s0, v3
	v_add_u32_e32 v7, v9, v7
	v_mul_lo_u32 v9, s1, v3
	v_add_u32_e32 v7, v7, v9
	v_mul_lo_u32 v11, s0, v3
	v_mul_hi_u32 v13, v5, v11
	v_mul_lo_u32 v15, v5, v11
	v_mul_lo_u32 v19, v3, v7
	v_mul_hi_u32 v11, v3, v11
	v_mul_hi_u32 v18, v3, v7
	v_add_co_u32_e32 v11, vcc, v11, v19
	v_addc_co_u32_e32 v18, vcc, 0, v18, vcc
	v_add_co_u32_e32 v11, vcc, v11, v15
	v_mul_hi_u32 v9, v5, v7
	v_addc_co_u32_e32 v11, vcc, v18, v13, vcc
	v_addc_co_u32_e32 v9, vcc, 0, v9, vcc
	v_mul_lo_u32 v7, v5, v7
	v_add_co_u32_e32 v7, vcc, v11, v7
	v_addc_co_u32_e32 v9, vcc, 0, v9, vcc
	v_add_co_u32_e32 v3, vcc, v3, v7
	v_addc_co_u32_e32 v5, vcc, v5, v9, vcc
	v_ashrrev_i32_e32 v7, 31, v17
	v_add_co_u32_e32 v9, vcc, v16, v7
	v_xor_b32_e32 v9, v9, v7
	v_addc_co_u32_e32 v11, vcc, v17, v7, vcc
	v_mad_u64_u32 v[18:19], s[0:1], v9, v5, 0
	v_mul_hi_u32 v13, v9, v3
	v_xor_b32_e32 v11, v11, v7
	v_add_co_u32_e32 v13, vcc, v13, v18
	v_addc_co_u32_e32 v15, vcc, 0, v19, vcc
	v_mad_u64_u32 v[20:21], s[0:1], v11, v3, 0
	v_add_co_u32_e32 v3, vcc, v13, v20
	v_mad_u64_u32 v[18:19], s[0:1], v11, v5, 0
	v_addc_co_u32_e32 v3, vcc, v15, v21, vcc
	v_addc_co_u32_e32 v5, vcc, 0, v19, vcc
	v_add_co_u32_e32 v3, vcc, v3, v18
	v_addc_co_u32_e32 v5, vcc, 0, v5, vcc
	v_mul_lo_u32 v13, s41, v3
	v_mul_lo_u32 v15, s40, v5
	v_mad_u64_u32 v[18:19], s[0:1], s40, v3, 0
	v_add3_u32 v13, v19, v15, v13
	v_sub_u32_e32 v15, v11, v13
	v_mov_b32_e32 v17, s41
	v_sub_co_u32_e32 v9, vcc, v9, v18
	v_subb_co_u32_e64 v15, s[0:1], v15, v17, vcc
	v_subrev_co_u32_e64 v17, s[0:1], s40, v9
	v_subbrev_co_u32_e64 v15, s[0:1], 0, v15, s[0:1]
	v_cmp_le_u32_e64 s[0:1], s41, v15
	v_cndmask_b32_e64 v18, 0, -1, s[0:1]
	v_cmp_le_u32_e64 s[0:1], s40, v17
	v_cndmask_b32_e64 v17, 0, -1, s[0:1]
	v_cmp_eq_u32_e64 s[0:1], s41, v15
	v_cndmask_b32_e64 v15, v18, v17, s[0:1]
	v_add_co_u32_e64 v17, s[0:1], 2, v3
	v_subb_co_u32_e32 v11, vcc, v11, v13, vcc
	v_addc_co_u32_e64 v18, s[0:1], 0, v5, s[0:1]
	v_cmp_le_u32_e32 vcc, s41, v11
	v_add_co_u32_e64 v19, s[0:1], 1, v3
	v_cndmask_b32_e64 v13, 0, -1, vcc
	v_cmp_le_u32_e32 vcc, s40, v9
	v_addc_co_u32_e64 v20, s[0:1], 0, v5, s[0:1]
	v_cndmask_b32_e64 v9, 0, -1, vcc
	v_cmp_eq_u32_e32 vcc, s41, v11
	v_cmp_ne_u32_e64 s[0:1], 0, v15
	v_cndmask_b32_e32 v9, v13, v9, vcc
	v_cmp_ne_u32_e32 vcc, 0, v9
	v_cndmask_b32_e64 v9, v19, v17, s[0:1]
	v_cndmask_b32_e64 v15, v20, v18, s[0:1]
	v_cndmask_b32_e32 v3, v3, v9, vcc
	v_xor_b32_e32 v9, s39, v7
	v_xor_b32_e32 v7, s38, v7
	v_cndmask_b32_e32 v5, v5, v15, vcc
	v_xor_b32_e32 v3, v3, v7
	v_xor_b32_e32 v5, v5, v9
	v_sub_co_u32_e32 v18, vcc, v3, v7
	v_subb_co_u32_e32 v19, vcc, v5, v9, vcc
.LBB93_28:                              ;   in Loop: Header=BB93_18 Depth=2
	s_andn2_saveexec_b64 s[0:1], s[2:3]
	s_cbranch_execz .LBB93_30
; %bb.29:                               ;   in Loop: Header=BB93_18 Depth=2
	v_cvt_f32_u32_e32 v3, s56
	s_sub_i32 s2, 0, s56
	v_mov_b32_e32 v19, v2
	v_rcp_iflag_f32_e32 v3, v3
	v_mul_f32_e32 v3, 0x4f7ffffe, v3
	v_cvt_u32_f32_e32 v3, v3
	v_mul_lo_u32 v5, s2, v3
	v_mul_hi_u32 v5, v3, v5
	v_add_u32_e32 v3, v3, v5
	v_mul_hi_u32 v3, v16, v3
	v_mul_lo_u32 v5, v3, s56
	v_sub_u32_e32 v5, v16, v5
	v_add_u32_e32 v7, 1, v3
	v_subrev_u32_e32 v9, s56, v5
	v_cmp_le_u32_e32 vcc, s56, v5
	v_cndmask_b32_e32 v5, v5, v9, vcc
	v_cndmask_b32_e32 v3, v3, v7, vcc
	v_add_u32_e32 v7, 1, v3
	v_cmp_le_u32_e32 vcc, s56, v5
	v_cndmask_b32_e32 v18, v3, v7, vcc
.LBB93_30:                              ;   in Loop: Header=BB93_18 Depth=2
	s_or_b64 exec, exec, s[0:1]
	s_add_u32 s0, s46, s34
	s_addc_u32 s1, s47, s35
	s_add_i32 s2, s20, -3
	s_mov_b32 s3, s21
	s_lshl_b64 s[2:3], s[2:3], 2
	s_add_u32 s34, s33, s2
	s_addc_u32 s35, s42, s3
	s_load_dword s59, s[34:35], 0x8
	s_load_dword s60, s[36:37], 0x6c
	;; [unrolled: 1-line block ×3, first 2 shown]
                                        ; implicit-def: $vgpr20_vgpr21
	s_waitcnt lgkmcnt(0)
	s_ashr_i32 s0, s59, 31
	v_or_b32_e32 v3, s0, v19
	v_cmp_ne_u64_e32 vcc, 0, v[2:3]
	s_and_saveexec_b64 s[36:37], vcc
	s_xor_b64 s[36:37], exec, s[36:37]
	s_cbranch_execz .LBB93_32
; %bb.31:                               ;   in Loop: Header=BB93_18 Depth=2
	s_add_u32 s40, s59, s0
	s_mov_b32 s38, s0
	s_mov_b32 s39, s0
	s_addc_u32 s41, s0, s0
	s_xor_b64 s[40:41], s[40:41], s[38:39]
	v_cvt_f32_u32_e32 v3, s40
	v_cvt_f32_u32_e32 v5, s41
	s_sub_u32 s0, 0, s40
	s_subb_u32 s1, 0, s41
	v_mac_f32_e32 v3, 0x4f800000, v5
	v_rcp_f32_e32 v3, v3
	v_mul_f32_e32 v3, 0x5f7ffffc, v3
	v_mul_f32_e32 v5, 0x2f800000, v3
	v_trunc_f32_e32 v5, v5
	v_mac_f32_e32 v3, 0xcf800000, v5
	v_cvt_u32_f32_e32 v5, v5
	v_cvt_u32_f32_e32 v3, v3
	v_mul_lo_u32 v7, s0, v5
	v_mul_hi_u32 v11, s0, v3
	v_mul_lo_u32 v9, s1, v3
	v_add_u32_e32 v7, v11, v7
	v_mul_lo_u32 v13, s0, v3
	v_add_u32_e32 v7, v7, v9
	v_mul_lo_u32 v11, v3, v7
	v_mul_hi_u32 v15, v3, v13
	v_mul_hi_u32 v9, v3, v7
	v_add_co_u32_e32 v11, vcc, v15, v11
	v_addc_co_u32_e32 v9, vcc, 0, v9, vcc
	v_mul_hi_u32 v17, v5, v13
	v_mul_lo_u32 v13, v5, v13
	v_add_co_u32_e32 v11, vcc, v11, v13
	v_mul_hi_u32 v15, v5, v7
	v_addc_co_u32_e32 v9, vcc, v9, v17, vcc
	v_addc_co_u32_e32 v11, vcc, 0, v15, vcc
	v_mul_lo_u32 v7, v5, v7
	v_add_co_u32_e32 v7, vcc, v9, v7
	v_addc_co_u32_e32 v9, vcc, 0, v11, vcc
	v_add_co_u32_e32 v3, vcc, v3, v7
	v_addc_co_u32_e32 v5, vcc, v5, v9, vcc
	v_mul_lo_u32 v7, s0, v5
	v_mul_hi_u32 v9, s0, v3
	v_add_u32_e32 v7, v9, v7
	v_mul_lo_u32 v9, s1, v3
	v_add_u32_e32 v7, v7, v9
	v_mul_lo_u32 v11, s0, v3
	v_mul_hi_u32 v13, v5, v11
	v_mul_lo_u32 v15, v5, v11
	v_mul_lo_u32 v20, v3, v7
	v_mul_hi_u32 v11, v3, v11
	v_mul_hi_u32 v17, v3, v7
	v_add_co_u32_e32 v11, vcc, v11, v20
	v_addc_co_u32_e32 v17, vcc, 0, v17, vcc
	v_add_co_u32_e32 v11, vcc, v11, v15
	v_mul_hi_u32 v9, v5, v7
	v_addc_co_u32_e32 v11, vcc, v17, v13, vcc
	v_addc_co_u32_e32 v9, vcc, 0, v9, vcc
	v_mul_lo_u32 v7, v5, v7
	v_add_co_u32_e32 v7, vcc, v11, v7
	v_addc_co_u32_e32 v9, vcc, 0, v9, vcc
	v_add_co_u32_e32 v3, vcc, v3, v7
	v_addc_co_u32_e32 v5, vcc, v5, v9, vcc
	v_ashrrev_i32_e32 v7, 31, v19
	v_add_co_u32_e32 v9, vcc, v18, v7
	v_xor_b32_e32 v9, v9, v7
	v_addc_co_u32_e32 v11, vcc, v19, v7, vcc
	v_mad_u64_u32 v[20:21], s[0:1], v9, v5, 0
	v_mul_hi_u32 v13, v9, v3
	v_xor_b32_e32 v11, v11, v7
	v_add_co_u32_e32 v13, vcc, v13, v20
	v_addc_co_u32_e32 v15, vcc, 0, v21, vcc
	v_mad_u64_u32 v[24:25], s[0:1], v11, v3, 0
	v_add_co_u32_e32 v3, vcc, v13, v24
	v_mad_u64_u32 v[20:21], s[0:1], v11, v5, 0
	v_addc_co_u32_e32 v3, vcc, v15, v25, vcc
	v_addc_co_u32_e32 v5, vcc, 0, v21, vcc
	v_add_co_u32_e32 v3, vcc, v3, v20
	v_addc_co_u32_e32 v5, vcc, 0, v5, vcc
	v_mul_lo_u32 v13, s41, v3
	v_mul_lo_u32 v15, s40, v5
	v_mad_u64_u32 v[20:21], s[0:1], s40, v3, 0
	v_add3_u32 v13, v21, v15, v13
	v_sub_u32_e32 v15, v11, v13
	v_mov_b32_e32 v17, s41
	v_sub_co_u32_e32 v9, vcc, v9, v20
	v_subb_co_u32_e64 v15, s[0:1], v15, v17, vcc
	v_subrev_co_u32_e64 v17, s[0:1], s40, v9
	v_subbrev_co_u32_e64 v15, s[0:1], 0, v15, s[0:1]
	v_cmp_le_u32_e64 s[0:1], s41, v15
	v_cndmask_b32_e64 v19, 0, -1, s[0:1]
	v_cmp_le_u32_e64 s[0:1], s40, v17
	v_cndmask_b32_e64 v17, 0, -1, s[0:1]
	v_cmp_eq_u32_e64 s[0:1], s41, v15
	v_cndmask_b32_e64 v15, v19, v17, s[0:1]
	v_add_co_u32_e64 v17, s[0:1], 2, v3
	v_subb_co_u32_e32 v11, vcc, v11, v13, vcc
	v_addc_co_u32_e64 v19, s[0:1], 0, v5, s[0:1]
	v_cmp_le_u32_e32 vcc, s41, v11
	v_add_co_u32_e64 v20, s[0:1], 1, v3
	v_cndmask_b32_e64 v13, 0, -1, vcc
	v_cmp_le_u32_e32 vcc, s40, v9
	v_addc_co_u32_e64 v21, s[0:1], 0, v5, s[0:1]
	v_cndmask_b32_e64 v9, 0, -1, vcc
	v_cmp_eq_u32_e32 vcc, s41, v11
	v_cmp_ne_u32_e64 s[0:1], 0, v15
	v_cndmask_b32_e32 v9, v13, v9, vcc
	v_cmp_ne_u32_e32 vcc, 0, v9
	v_cndmask_b32_e64 v9, v20, v17, s[0:1]
	v_cndmask_b32_e64 v15, v21, v19, s[0:1]
	v_cndmask_b32_e32 v3, v3, v9, vcc
	v_xor_b32_e32 v9, s39, v7
	v_xor_b32_e32 v7, s38, v7
	v_cndmask_b32_e32 v5, v5, v15, vcc
	v_xor_b32_e32 v3, v3, v7
	v_xor_b32_e32 v5, v5, v9
	v_sub_co_u32_e32 v20, vcc, v3, v7
	v_subb_co_u32_e32 v21, vcc, v5, v9, vcc
.LBB93_32:                              ;   in Loop: Header=BB93_18 Depth=2
	s_andn2_saveexec_b64 s[0:1], s[36:37]
	s_cbranch_execz .LBB93_34
; %bb.33:                               ;   in Loop: Header=BB93_18 Depth=2
	v_cvt_f32_u32_e32 v3, s59
	s_sub_i32 s36, 0, s59
	v_mov_b32_e32 v21, v2
	v_rcp_iflag_f32_e32 v3, v3
	v_mul_f32_e32 v3, 0x4f7ffffe, v3
	v_cvt_u32_f32_e32 v3, v3
	v_mul_lo_u32 v5, s36, v3
	v_mul_hi_u32 v5, v3, v5
	v_add_u32_e32 v3, v3, v5
	v_mul_hi_u32 v3, v18, v3
	v_mul_lo_u32 v5, v3, s59
	v_sub_u32_e32 v5, v18, v5
	v_add_u32_e32 v7, 1, v3
	v_subrev_u32_e32 v9, s59, v5
	v_cmp_le_u32_e32 vcc, s59, v5
	v_cndmask_b32_e32 v5, v5, v9, vcc
	v_cndmask_b32_e32 v3, v3, v7, vcc
	v_add_u32_e32 v7, 1, v3
	v_cmp_le_u32_e32 vcc, s59, v5
	v_cndmask_b32_e32 v20, v3, v7, vcc
.LBB93_34:                              ;   in Loop: Header=BB93_18 Depth=2
	s_or_b64 exec, exec, s[0:1]
	s_add_u32 s0, s46, s2
	v_mul_lo_u32 v3, v14, s52
	v_mul_lo_u32 v7, v16, s53
	s_load_dword s2, s[34:35], 0x6c
	s_addc_u32 s1, s47, s3
	s_load_dword s0, s[0:1], 0x0
	v_sub_u32_e32 v3, v12, v3
	v_sub_u32_e32 v7, v14, v7
	v_mul_lo_u32 v5, s54, v3
	v_mul_lo_u32 v3, s55, v3
	;; [unrolled: 1-line block ×4, first 2 shown]
	v_add3_u32 v5, v5, v10, v9
	v_add3_u32 v3, v3, v6, v7
	v_mul_lo_u32 v6, v18, s56
	v_mul_lo_u32 v9, v20, s59
	v_sub_u32_e32 v6, v16, v6
	v_sub_u32_e32 v9, v18, v9
	v_mul_lo_u32 v7, s60, v6
	s_waitcnt lgkmcnt(0)
	v_mul_lo_u32 v10, s2, v9
	v_mul_lo_u32 v6, s61, v6
	v_add3_u32 v10, v7, v5, v10
	v_mul_lo_u32 v5, s0, v9
	s_add_i32 s20, s20, -4
	s_cmp_eq_u32 s20, -1
	v_add3_u32 v6, v6, v3, v5
	s_cbranch_scc1 .LBB93_41
; %bb.35:                               ;   in Loop: Header=BB93_18 Depth=2
	v_pk_mov_b32 v[12:13], v[20:21], v[20:21] op_sel:[0,1]
	s_branch .LBB93_18
.LBB93_36:                              ;   in Loop: Header=BB93_37 Depth=2
	s_or_b64 exec, exec, s[0:1]
	s_load_dword s34, s[34:35], 0x6c
	s_add_u32 s0, s46, s2
	s_addc_u32 s1, s47, s3
	s_load_dword s2, s[0:1], 0x0
	v_mul_lo_u32 v3, v12, s53
	v_sub_u32_e32 v3, v14, v3
	s_waitcnt lgkmcnt(0)
	v_mad_u64_u32 v[10:11], s[0:1], s34, v3, v[10:11]
	s_add_i32 s20, s20, -1
	s_xor_b32 s0, s51, s52
	s_add_i32 s52, s52, 1
	s_cmp_lg_u32 s0, 2
	v_mad_u64_u32 v[6:7], s[0:1], s2, v3, v[6:7]
	s_cbranch_scc0 .LBB93_17
.LBB93_37:                              ;   Parent Loop BB93_3 Depth=1
                                        ; =>  This Inner Loop Header: Depth=2
	s_lshl_b64 s[2:3], s[20:21], 2
	s_add_u32 s34, s33, s2
	s_addc_u32 s35, s42, s3
	s_load_dword s53, s[34:35], 0x8
	v_pk_mov_b32 v[14:15], v[12:13], v[12:13] op_sel:[0,1]
                                        ; implicit-def: $vgpr12_vgpr13
	s_waitcnt lgkmcnt(0)
	s_ashr_i32 s0, s53, 31
	v_or_b32_e32 v3, s0, v15
	v_cmp_ne_u64_e32 vcc, 0, v[2:3]
	s_and_saveexec_b64 s[36:37], vcc
	s_xor_b64 s[36:37], exec, s[36:37]
	s_cbranch_execz .LBB93_39
; %bb.38:                               ;   in Loop: Header=BB93_37 Depth=2
	s_add_u32 s40, s53, s0
	s_mov_b32 s38, s0
	s_mov_b32 s39, s0
	s_addc_u32 s41, s0, s0
	s_xor_b64 s[40:41], s[40:41], s[38:39]
	v_cvt_f32_u32_e32 v3, s40
	v_cvt_f32_u32_e32 v5, s41
	s_sub_u32 s0, 0, s40
	s_subb_u32 s1, 0, s41
	v_mac_f32_e32 v3, 0x4f800000, v5
	v_rcp_f32_e32 v3, v3
	v_mul_f32_e32 v3, 0x5f7ffffc, v3
	v_mul_f32_e32 v5, 0x2f800000, v3
	v_trunc_f32_e32 v5, v5
	v_mac_f32_e32 v3, 0xcf800000, v5
	v_cvt_u32_f32_e32 v5, v5
	v_cvt_u32_f32_e32 v3, v3
	v_mul_lo_u32 v7, s0, v5
	v_mul_hi_u32 v11, s0, v3
	v_mul_lo_u32 v9, s1, v3
	v_add_u32_e32 v7, v11, v7
	v_mul_lo_u32 v12, s0, v3
	v_add_u32_e32 v7, v7, v9
	v_mul_lo_u32 v11, v3, v7
	v_mul_hi_u32 v13, v3, v12
	v_mul_hi_u32 v9, v3, v7
	v_add_co_u32_e32 v11, vcc, v13, v11
	v_addc_co_u32_e32 v9, vcc, 0, v9, vcc
	v_mul_hi_u32 v16, v5, v12
	v_mul_lo_u32 v12, v5, v12
	v_add_co_u32_e32 v11, vcc, v11, v12
	v_mul_hi_u32 v13, v5, v7
	v_addc_co_u32_e32 v9, vcc, v9, v16, vcc
	v_addc_co_u32_e32 v11, vcc, 0, v13, vcc
	v_mul_lo_u32 v7, v5, v7
	v_add_co_u32_e32 v7, vcc, v9, v7
	v_addc_co_u32_e32 v9, vcc, 0, v11, vcc
	v_add_co_u32_e32 v3, vcc, v3, v7
	v_addc_co_u32_e32 v5, vcc, v5, v9, vcc
	v_mul_lo_u32 v7, s0, v5
	v_mul_hi_u32 v9, s0, v3
	v_add_u32_e32 v7, v9, v7
	v_mul_lo_u32 v9, s1, v3
	v_add_u32_e32 v7, v7, v9
	v_mul_lo_u32 v11, s0, v3
	v_mul_hi_u32 v12, v5, v11
	v_mul_lo_u32 v13, v5, v11
	v_mul_lo_u32 v17, v3, v7
	v_mul_hi_u32 v11, v3, v11
	v_mul_hi_u32 v16, v3, v7
	v_add_co_u32_e32 v11, vcc, v11, v17
	v_addc_co_u32_e32 v16, vcc, 0, v16, vcc
	v_add_co_u32_e32 v11, vcc, v11, v13
	v_mul_hi_u32 v9, v5, v7
	v_addc_co_u32_e32 v11, vcc, v16, v12, vcc
	v_addc_co_u32_e32 v9, vcc, 0, v9, vcc
	v_mul_lo_u32 v7, v5, v7
	v_add_co_u32_e32 v7, vcc, v11, v7
	v_addc_co_u32_e32 v9, vcc, 0, v9, vcc
	v_add_co_u32_e32 v3, vcc, v3, v7
	v_addc_co_u32_e32 v5, vcc, v5, v9, vcc
	v_ashrrev_i32_e32 v7, 31, v15
	v_add_co_u32_e32 v9, vcc, v14, v7
	v_xor_b32_e32 v9, v9, v7
	v_addc_co_u32_e32 v11, vcc, v15, v7, vcc
	v_mad_u64_u32 v[12:13], s[0:1], v9, v5, 0
	v_mul_hi_u32 v15, v9, v3
	v_xor_b32_e32 v11, v11, v7
	v_add_co_u32_e32 v15, vcc, v15, v12
	v_addc_co_u32_e32 v18, vcc, 0, v13, vcc
	v_mad_u64_u32 v[16:17], s[0:1], v11, v3, 0
	v_add_co_u32_e32 v3, vcc, v15, v16
	v_mad_u64_u32 v[12:13], s[0:1], v11, v5, 0
	v_addc_co_u32_e32 v3, vcc, v18, v17, vcc
	v_addc_co_u32_e32 v5, vcc, 0, v13, vcc
	v_add_co_u32_e32 v3, vcc, v3, v12
	v_addc_co_u32_e32 v5, vcc, 0, v5, vcc
	v_mul_lo_u32 v15, s41, v3
	v_mul_lo_u32 v16, s40, v5
	v_mad_u64_u32 v[12:13], s[0:1], s40, v3, 0
	v_add3_u32 v13, v13, v16, v15
	v_sub_u32_e32 v15, v11, v13
	v_mov_b32_e32 v16, s41
	v_sub_co_u32_e32 v9, vcc, v9, v12
	v_subb_co_u32_e64 v12, s[0:1], v15, v16, vcc
	v_subrev_co_u32_e64 v15, s[0:1], s40, v9
	v_subbrev_co_u32_e64 v12, s[0:1], 0, v12, s[0:1]
	v_cmp_le_u32_e64 s[0:1], s41, v12
	v_cndmask_b32_e64 v16, 0, -1, s[0:1]
	v_cmp_le_u32_e64 s[0:1], s40, v15
	v_cndmask_b32_e64 v15, 0, -1, s[0:1]
	v_cmp_eq_u32_e64 s[0:1], s41, v12
	v_cndmask_b32_e64 v12, v16, v15, s[0:1]
	v_add_co_u32_e64 v15, s[0:1], 2, v3
	v_subb_co_u32_e32 v11, vcc, v11, v13, vcc
	v_addc_co_u32_e64 v16, s[0:1], 0, v5, s[0:1]
	v_cmp_le_u32_e32 vcc, s41, v11
	v_add_co_u32_e64 v17, s[0:1], 1, v3
	v_cndmask_b32_e64 v13, 0, -1, vcc
	v_cmp_le_u32_e32 vcc, s40, v9
	v_addc_co_u32_e64 v18, s[0:1], 0, v5, s[0:1]
	v_cndmask_b32_e64 v9, 0, -1, vcc
	v_cmp_eq_u32_e32 vcc, s41, v11
	v_cmp_ne_u32_e64 s[0:1], 0, v12
	v_cndmask_b32_e32 v9, v13, v9, vcc
	v_cmp_ne_u32_e32 vcc, 0, v9
	v_cndmask_b32_e64 v9, v17, v15, s[0:1]
	v_cndmask_b32_e64 v12, v18, v16, s[0:1]
	v_cndmask_b32_e32 v3, v3, v9, vcc
	v_xor_b32_e32 v9, s39, v7
	v_xor_b32_e32 v7, s38, v7
	v_cndmask_b32_e32 v5, v5, v12, vcc
	v_xor_b32_e32 v3, v3, v7
	v_xor_b32_e32 v5, v5, v9
	v_sub_co_u32_e32 v12, vcc, v3, v7
	v_subb_co_u32_e32 v13, vcc, v5, v9, vcc
.LBB93_39:                              ;   in Loop: Header=BB93_37 Depth=2
	s_andn2_saveexec_b64 s[0:1], s[36:37]
	s_cbranch_execz .LBB93_36
; %bb.40:                               ;   in Loop: Header=BB93_37 Depth=2
	v_cvt_f32_u32_e32 v3, s53
	s_sub_i32 s36, 0, s53
	v_mov_b32_e32 v13, v2
	v_rcp_iflag_f32_e32 v3, v3
	v_mul_f32_e32 v3, 0x4f7ffffe, v3
	v_cvt_u32_f32_e32 v3, v3
	v_mul_lo_u32 v5, s36, v3
	v_mul_hi_u32 v5, v3, v5
	v_add_u32_e32 v3, v3, v5
	v_mul_hi_u32 v3, v14, v3
	v_mul_lo_u32 v5, v3, s53
	v_sub_u32_e32 v5, v14, v5
	v_add_u32_e32 v7, 1, v3
	v_subrev_u32_e32 v9, s53, v5
	v_cmp_le_u32_e32 vcc, s53, v5
	v_cndmask_b32_e32 v5, v5, v9, vcc
	v_cndmask_b32_e32 v3, v3, v7, vcc
	v_add_u32_e32 v7, 1, v3
	v_cmp_le_u32_e32 vcc, s53, v5
	v_cndmask_b32_e32 v12, v3, v7, vcc
	s_branch .LBB93_36
.LBB93_41:                              ;   in Loop: Header=BB93_3 Depth=1
	v_mov_b32_e32 v3, v4
	v_sub_u32_e32 v4, v4, v8
	v_add_u32_e32 v4, 4, v4
	v_ashrrev_i32_e32 v5, 31, v4
	v_cmp_le_i64_e32 vcc, s[8:9], v[4:5]
                                        ; implicit-def: $vgpr14
                                        ; implicit-def: $vgpr12
                                        ; implicit-def: $vgpr11
                                        ; implicit-def: $vgpr9
	s_and_saveexec_b64 s[0:1], vcc
	s_xor_b64 s[0:1], exec, s[0:1]
	s_cbranch_execnz .LBB93_44
; %bb.42:                               ;   in Loop: Header=BB93_3 Depth=1
	s_andn2_saveexec_b64 s[0:1], s[0:1]
	s_cbranch_execnz .LBB93_53
.LBB93_43:                              ;   in Loop: Header=BB93_3 Depth=1
	s_or_b64 exec, exec, s[0:1]
	v_cmp_gt_i32_e32 vcc, s13, v3
	s_and_saveexec_b64 s[0:1], vcc
	s_cbranch_execz .LBB93_2
	s_branch .LBB93_54
.LBB93_44:                              ;   in Loop: Header=BB93_3 Depth=1
	v_cmp_gt_i32_e32 vcc, s13, v3
	v_mov_b32_e32 v13, 0
	v_mov_b32_e32 v11, 0
	;; [unrolled: 1-line block ×4, first 2 shown]
	s_and_saveexec_b64 s[2:3], vcc
	s_cbranch_execz .LBB93_52
; %bb.45:                               ;   in Loop: Header=BB93_3 Depth=1
	v_ashrrev_i32_e32 v11, 31, v10
	v_lshlrev_b64 v[4:5], 1, v[10:11]
	v_mov_b32_e32 v7, s7
	v_add_co_u32_e32 v4, vcc, s6, v4
	v_addc_co_u32_e32 v5, vcc, v7, v5, vcc
	global_load_ushort v7, v[4:5], off
	v_add_u32_e32 v9, 1, v3
	v_cmp_gt_i32_e32 vcc, s13, v9
	v_mov_b32_e32 v9, 0
	v_mov_b32_e32 v11, 0
	;; [unrolled: 1-line block ×3, first 2 shown]
	s_and_saveexec_b64 s[34:35], vcc
	s_xor_b64 s[34:35], exec, s[34:35]
	s_cbranch_execz .LBB93_51
; %bb.46:                               ;   in Loop: Header=BB93_3 Depth=1
	s_lshl_b64 s[36:37], s[26:27], 1
	v_mov_b32_e32 v9, s37
	v_add_co_u32_e32 v4, vcc, s36, v4
	v_addc_co_u32_e32 v5, vcc, v5, v9, vcc
	global_load_ushort v9, v[4:5], off
	v_add_u32_e32 v4, 2, v3
	v_cmp_gt_i32_e32 vcc, s13, v4
	v_mov_b32_e32 v11, 0
	v_mov_b32_e32 v13, 0
	s_and_saveexec_b64 s[36:37], vcc
	s_xor_b64 s[36:37], exec, s[36:37]
	s_cbranch_execz .LBB93_50
; %bb.47:                               ;   in Loop: Header=BB93_3 Depth=1
	s_add_i32 s20, s26, s26
	v_add_u32_e32 v4, s20, v10
	v_ashrrev_i32_e32 v5, 31, v4
	v_lshlrev_b64 v[10:11], 1, v[4:5]
	v_mov_b32_e32 v5, s7
	v_add_co_u32_e32 v10, vcc, s6, v10
	v_addc_co_u32_e32 v11, vcc, v5, v11, vcc
	global_load_ushort v11, v[10:11], off
	v_add_u32_e32 v5, 3, v3
	v_cmp_gt_i32_e32 vcc, s13, v5
	v_mov_b32_e32 v13, 0
	s_and_saveexec_b64 s[38:39], vcc
	s_xor_b64 s[38:39], exec, s[38:39]
	s_cbranch_execz .LBB93_49
; %bb.48:                               ;   in Loop: Header=BB93_3 Depth=1
	v_add_u32_e32 v4, s26, v4
	v_ashrrev_i32_e32 v5, 31, v4
	v_lshlrev_b64 v[4:5], 1, v[4:5]
	v_mov_b32_e32 v10, s7
	v_add_co_u32_e32 v4, vcc, s6, v4
	v_addc_co_u32_e32 v5, vcc, v10, v5, vcc
	global_load_ushort v13, v[4:5], off
.LBB93_49:                              ;   in Loop: Header=BB93_3 Depth=1
	s_or_b64 exec, exec, s[38:39]
.LBB93_50:                              ;   in Loop: Header=BB93_3 Depth=1
	s_or_b64 exec, exec, s[36:37]
.LBB93_51:                              ;   in Loop: Header=BB93_3 Depth=1
	s_or_b64 exec, exec, s[34:35]
.LBB93_52:                              ;   in Loop: Header=BB93_3 Depth=1
	s_or_b64 exec, exec, s[2:3]
	v_sub_u32_e32 v4, v3, v8
	v_ashrrev_i32_e32 v5, 31, v4
	v_add_u32_e32 v16, 1, v4
	v_cmp_le_i64_e32 vcc, s[8:9], v[4:5]
	v_ashrrev_i32_e32 v17, 31, v16
	s_waitcnt vmcnt(0)
	v_cndmask_b32_e32 v14, 0, v7, vcc
	v_cmp_le_i64_e32 vcc, s[8:9], v[16:17]
	v_add_u32_e32 v8, 2, v4
	v_cndmask_b32_e32 v12, 0, v9, vcc
	v_ashrrev_i32_e32 v9, 31, v8
	v_add_u32_e32 v4, 3, v4
	v_cmp_le_i64_e32 vcc, s[8:9], v[8:9]
	v_ashrrev_i32_e32 v5, 31, v4
	v_cndmask_b32_e32 v11, 0, v11, vcc
	v_cmp_le_i64_e32 vcc, s[8:9], v[4:5]
	v_cndmask_b32_e32 v9, 0, v13, vcc
	s_andn2_saveexec_b64 s[0:1], s[0:1]
	s_cbranch_execz .LBB93_43
.LBB93_53:                              ;   in Loop: Header=BB93_3 Depth=1
	v_mov_b32_e32 v9, 0
	v_mov_b32_e32 v11, 0
	;; [unrolled: 1-line block ×4, first 2 shown]
	s_or_b64 exec, exec, s[0:1]
	v_cmp_gt_i32_e32 vcc, s13, v3
	s_and_saveexec_b64 s[0:1], vcc
	s_cbranch_execz .LBB93_2
.LBB93_54:                              ;   in Loop: Header=BB93_3 Depth=1
	v_ashrrev_i32_e32 v7, 31, v6
	v_lshlrev_b64 v[4:5], 1, v[6:7]
	v_mov_b32_e32 v7, s5
	v_add_co_u32_e32 v4, vcc, s4, v4
	v_addc_co_u32_e32 v5, vcc, v7, v5, vcc
	v_add_u32_e32 v7, 1, v3
	v_cmp_gt_i32_e32 vcc, s13, v7
	global_store_short v[4:5], v14, off
	s_and_saveexec_b64 s[2:3], vcc
	s_xor_b64 s[2:3], exec, s[2:3]
	s_cbranch_execz .LBB93_2
; %bb.55:                               ;   in Loop: Header=BB93_3 Depth=1
	s_lshl_b64 s[2:3], s[28:29], 1
	v_mov_b32_e32 v7, s3
	v_add_co_u32_e32 v4, vcc, s2, v4
	v_addc_co_u32_e32 v5, vcc, v5, v7, vcc
	global_store_short v[4:5], v12, off
	v_add_u32_e32 v4, 2, v3
	v_cmp_gt_i32_e32 vcc, s13, v4
	s_and_saveexec_b64 s[2:3], vcc
	s_xor_b64 s[2:3], exec, s[2:3]
	s_cbranch_execz .LBB93_2
; %bb.56:                               ;   in Loop: Header=BB93_3 Depth=1
	s_add_i32 s2, s28, s28
	v_add_u32_e32 v4, s2, v6
	v_ashrrev_i32_e32 v5, 31, v4
	v_lshlrev_b64 v[6:7], 1, v[4:5]
	v_mov_b32_e32 v5, s5
	v_add_co_u32_e32 v6, vcc, s4, v6
	v_addc_co_u32_e32 v7, vcc, v5, v7, vcc
	v_add_u32_e32 v3, 3, v3
	v_cmp_gt_i32_e32 vcc, s13, v3
	global_store_short v[6:7], v11, off
	s_and_saveexec_b64 s[2:3], vcc
	s_xor_b64 s[2:3], exec, s[2:3]
	s_cbranch_execz .LBB93_2
; %bb.57:                               ;   in Loop: Header=BB93_3 Depth=1
	v_add_u32_e32 v4, s28, v4
	v_ashrrev_i32_e32 v5, 31, v4
	v_lshlrev_b64 v[4:5], 1, v[4:5]
	v_mov_b32_e32 v3, s5
	v_add_co_u32_e32 v4, vcc, s4, v4
	v_addc_co_u32_e32 v5, vcc, v3, v5, vcc
	global_store_short v[4:5], v9, off
	s_branch .LBB93_2
.LBB93_58:
	s_endpgm
	.section	.rodata,"a",@progbits
	.p2align	6, 0x0
	.amdhsa_kernel _ZN2at6native16triu_tril_kernelIN3c104HalfEiLb1ELi4ELb0EEEvNS_4cuda6detail10TensorInfoIT_T0_EENS6_IKS7_S8_EEllS8_
		.amdhsa_group_segment_fixed_size 0
		.amdhsa_private_segment_fixed_size 0
		.amdhsa_kernarg_size 712
		.amdhsa_user_sgpr_count 6
		.amdhsa_user_sgpr_private_segment_buffer 1
		.amdhsa_user_sgpr_dispatch_ptr 0
		.amdhsa_user_sgpr_queue_ptr 0
		.amdhsa_user_sgpr_kernarg_segment_ptr 1
		.amdhsa_user_sgpr_dispatch_id 0
		.amdhsa_user_sgpr_flat_scratch_init 0
		.amdhsa_user_sgpr_kernarg_preload_length 0
		.amdhsa_user_sgpr_kernarg_preload_offset 0
		.amdhsa_user_sgpr_private_segment_size 0
		.amdhsa_uses_dynamic_stack 0
		.amdhsa_system_sgpr_private_segment_wavefront_offset 0
		.amdhsa_system_sgpr_workgroup_id_x 1
		.amdhsa_system_sgpr_workgroup_id_y 0
		.amdhsa_system_sgpr_workgroup_id_z 0
		.amdhsa_system_sgpr_workgroup_info 0
		.amdhsa_system_vgpr_workitem_id 0
		.amdhsa_next_free_vgpr 26
		.amdhsa_next_free_sgpr 62
		.amdhsa_accum_offset 28
		.amdhsa_reserve_vcc 1
		.amdhsa_reserve_flat_scratch 0
		.amdhsa_float_round_mode_32 0
		.amdhsa_float_round_mode_16_64 0
		.amdhsa_float_denorm_mode_32 3
		.amdhsa_float_denorm_mode_16_64 3
		.amdhsa_dx10_clamp 1
		.amdhsa_ieee_mode 1
		.amdhsa_fp16_overflow 0
		.amdhsa_tg_split 0
		.amdhsa_exception_fp_ieee_invalid_op 0
		.amdhsa_exception_fp_denorm_src 0
		.amdhsa_exception_fp_ieee_div_zero 0
		.amdhsa_exception_fp_ieee_overflow 0
		.amdhsa_exception_fp_ieee_underflow 0
		.amdhsa_exception_fp_ieee_inexact 0
		.amdhsa_exception_int_div_zero 0
	.end_amdhsa_kernel
	.section	.text._ZN2at6native16triu_tril_kernelIN3c104HalfEiLb1ELi4ELb0EEEvNS_4cuda6detail10TensorInfoIT_T0_EENS6_IKS7_S8_EEllS8_,"axG",@progbits,_ZN2at6native16triu_tril_kernelIN3c104HalfEiLb1ELi4ELb0EEEvNS_4cuda6detail10TensorInfoIT_T0_EENS6_IKS7_S8_EEllS8_,comdat
.Lfunc_end93:
	.size	_ZN2at6native16triu_tril_kernelIN3c104HalfEiLb1ELi4ELb0EEEvNS_4cuda6detail10TensorInfoIT_T0_EENS6_IKS7_S8_EEllS8_, .Lfunc_end93-_ZN2at6native16triu_tril_kernelIN3c104HalfEiLb1ELi4ELb0EEEvNS_4cuda6detail10TensorInfoIT_T0_EENS6_IKS7_S8_EEllS8_
                                        ; -- End function
	.section	.AMDGPU.csdata,"",@progbits
; Kernel info:
; codeLenInByte = 7948
; NumSgprs: 66
; NumVgprs: 26
; NumAgprs: 0
; TotalNumVgprs: 26
; ScratchSize: 0
; MemoryBound: 0
; FloatMode: 240
; IeeeMode: 1
; LDSByteSize: 0 bytes/workgroup (compile time only)
; SGPRBlocks: 8
; VGPRBlocks: 3
; NumSGPRsForWavesPerEU: 66
; NumVGPRsForWavesPerEU: 26
; AccumOffset: 28
; Occupancy: 8
; WaveLimiterHint : 0
; COMPUTE_PGM_RSRC2:SCRATCH_EN: 0
; COMPUTE_PGM_RSRC2:USER_SGPR: 6
; COMPUTE_PGM_RSRC2:TRAP_HANDLER: 0
; COMPUTE_PGM_RSRC2:TGID_X_EN: 1
; COMPUTE_PGM_RSRC2:TGID_Y_EN: 0
; COMPUTE_PGM_RSRC2:TGID_Z_EN: 0
; COMPUTE_PGM_RSRC2:TIDIG_COMP_CNT: 0
; COMPUTE_PGM_RSRC3_GFX90A:ACCUM_OFFSET: 6
; COMPUTE_PGM_RSRC3_GFX90A:TG_SPLIT: 0
	.section	.text._ZN2at6native16triu_tril_kernelIN3c104HalfElLb1ELi4ELb1EEEvNS_4cuda6detail10TensorInfoIT_T0_EENS6_IKS7_S8_EEllS8_,"axG",@progbits,_ZN2at6native16triu_tril_kernelIN3c104HalfElLb1ELi4ELb1EEEvNS_4cuda6detail10TensorInfoIT_T0_EENS6_IKS7_S8_EEllS8_,comdat
	.protected	_ZN2at6native16triu_tril_kernelIN3c104HalfElLb1ELi4ELb1EEEvNS_4cuda6detail10TensorInfoIT_T0_EENS6_IKS7_S8_EEllS8_ ; -- Begin function _ZN2at6native16triu_tril_kernelIN3c104HalfElLb1ELi4ELb1EEEvNS_4cuda6detail10TensorInfoIT_T0_EENS6_IKS7_S8_EEllS8_
	.globl	_ZN2at6native16triu_tril_kernelIN3c104HalfElLb1ELi4ELb1EEEvNS_4cuda6detail10TensorInfoIT_T0_EENS6_IKS7_S8_EEllS8_
	.p2align	8
	.type	_ZN2at6native16triu_tril_kernelIN3c104HalfElLb1ELi4ELb1EEEvNS_4cuda6detail10TensorInfoIT_T0_EENS6_IKS7_S8_EEllS8_,@function
_ZN2at6native16triu_tril_kernelIN3c104HalfElLb1ELi4ELb1EEEvNS_4cuda6detail10TensorInfoIT_T0_EENS6_IKS7_S8_EEllS8_: ; @_ZN2at6native16triu_tril_kernelIN3c104HalfElLb1ELi4ELb1EEEvNS_4cuda6detail10TensorInfoIT_T0_EENS6_IKS7_S8_EEllS8_
; %bb.0:
	s_load_dword s2, s[4:5], 0x364
	s_load_dwordx4 s[8:11], s[4:5], 0x340
	s_add_u32 s0, s4, 0x358
	v_mov_b32_e32 v2, 0
	s_addc_u32 s1, s5, 0
	s_waitcnt lgkmcnt(0)
	s_and_b32 s12, s2, 0xffff
	v_mov_b32_e32 v1, v2
	v_mov_b32_e32 v3, s6
	v_mad_u64_u32 v[0:1], s[2:3], s12, v3, v[0:1]
	v_lshlrev_b64 v[0:1], 2, v[0:1]
	v_cmp_gt_i64_e32 vcc, s[10:11], v[0:1]
	s_and_saveexec_b64 s[2:3], vcc
	s_cbranch_execz .LBB94_27
; %bb.1:
	s_load_dword s13, s[0:1], 0x0
	s_load_dword s18, s[4:5], 0x338
	s_load_dwordx2 s[2:3], s[4:5], 0x350
	s_load_dwordx2 s[6:7], s[4:5], 0x0
	s_mov_b32 s48, 0
	s_waitcnt lgkmcnt(0)
	s_mul_i32 s20, s13, s12
	s_ashr_i32 s19, s18, 31
	s_add_u32 s24, s4, 0x1a8
	s_addc_u32 s25, s5, 0
	s_lshl_b64 s[0:1], s[18:19], 3
	s_add_u32 s16, s0, -16
	s_addc_u32 s17, s1, -1
	s_add_u32 s14, s24, s16
	s_addc_u32 s15, s25, s17
	v_cmp_gt_i64_e64 s[12:13], s[18:19], 2
	s_add_u32 s19, s0, -8
	s_addc_u32 s21, s1, -1
	s_add_u32 s26, s4, 0xd0
	s_addc_u32 s27, s5, 0
	s_add_u32 s4, s26, s19
	v_cvt_f32_u32_e32 v3, s2
	s_addc_u32 s5, s27, s21
	s_add_u32 s16, s26, s16
	s_addc_u32 s17, s27, s17
	s_add_i32 s0, s18, -3
	s_ashr_i32 s1, s0, 31
	v_rcp_iflag_f32_e32 v3, v3
	s_add_u32 s18, s24, s19
	s_addc_u32 s19, s25, s21
	s_lshl_b32 s33, s20, 2
	s_lshl_b64 s[22:23], s[0:1], 3
	s_add_u32 s20, s26, s22
	s_load_dwordx2 s[14:15], s[14:15], 0x0
	s_addc_u32 s21, s27, s23
	v_mul_f32_e32 v3, 0x4f7ffffe, v3
	s_add_u32 s22, s24, s22
	v_cvt_u32_f32_e32 v12, v3
	s_addc_u32 s23, s25, s23
	s_add_u32 s24, s0, 1
	s_addc_u32 s25, s1, 0
	s_mov_b64 s[26:27], 0
	s_branch .LBB94_3
.LBB94_2:                               ;   in Loop: Header=BB94_3 Depth=1
	s_or_b64 exec, exec, s[28:29]
	v_mov_b32_e32 v3, s48
	v_add_co_u32_e32 v0, vcc, s33, v0
	v_addc_co_u32_e32 v1, vcc, v1, v3, vcc
	v_cmp_le_i64_e32 vcc, s[10:11], v[0:1]
	s_or_b64 s[26:27], vcc, s[26:27]
	s_andn2_b64 exec, exec, s[26:27]
	s_cbranch_execz .LBB94_27
.LBB94_3:                               ; =>This Loop Header: Depth=1
                                        ;     Child Loop BB94_23 Depth 2
	v_or_b32_e32 v3, s3, v1
	v_cmp_ne_u64_e32 vcc, 0, v[2:3]
                                        ; implicit-def: $vgpr8_vgpr9
	s_and_saveexec_b64 s[0:1], vcc
	s_xor_b64 s[28:29], exec, s[0:1]
	s_cbranch_execz .LBB94_5
; %bb.4:                                ;   in Loop: Header=BB94_3 Depth=1
	s_ashr_i32 s30, s3, 31
	s_add_u32 s0, s2, s30
	s_mov_b32 s31, s30
	s_addc_u32 s1, s3, s30
	s_xor_b64 s[34:35], s[0:1], s[30:31]
	v_cvt_f32_u32_e32 v3, s34
	v_cvt_f32_u32_e32 v4, s35
	s_sub_u32 s0, 0, s34
	s_subb_u32 s1, 0, s35
	v_mac_f32_e32 v3, 0x4f800000, v4
	v_rcp_f32_e32 v3, v3
	v_mul_f32_e32 v3, 0x5f7ffffc, v3
	v_mul_f32_e32 v4, 0x2f800000, v3
	v_trunc_f32_e32 v4, v4
	v_mac_f32_e32 v3, 0xcf800000, v4
	v_cvt_u32_f32_e32 v4, v4
	v_cvt_u32_f32_e32 v3, v3
	v_mul_lo_u32 v5, s0, v4
	v_mul_hi_u32 v7, s0, v3
	v_mul_lo_u32 v6, s1, v3
	v_add_u32_e32 v5, v7, v5
	v_mul_lo_u32 v8, s0, v3
	v_add_u32_e32 v5, v5, v6
	v_mul_lo_u32 v7, v3, v5
	v_mul_hi_u32 v9, v3, v8
	v_mul_hi_u32 v6, v3, v5
	v_add_co_u32_e32 v7, vcc, v9, v7
	v_addc_co_u32_e32 v6, vcc, 0, v6, vcc
	v_mul_hi_u32 v10, v4, v8
	v_mul_lo_u32 v8, v4, v8
	v_add_co_u32_e32 v7, vcc, v7, v8
	v_mul_hi_u32 v9, v4, v5
	v_addc_co_u32_e32 v6, vcc, v6, v10, vcc
	v_addc_co_u32_e32 v7, vcc, 0, v9, vcc
	v_mul_lo_u32 v5, v4, v5
	v_add_co_u32_e32 v5, vcc, v6, v5
	v_addc_co_u32_e32 v6, vcc, 0, v7, vcc
	v_add_co_u32_e32 v3, vcc, v3, v5
	v_addc_co_u32_e32 v4, vcc, v4, v6, vcc
	v_mul_lo_u32 v5, s0, v4
	v_mul_hi_u32 v6, s0, v3
	v_add_u32_e32 v5, v6, v5
	v_mul_lo_u32 v6, s1, v3
	v_add_u32_e32 v5, v5, v6
	v_mul_lo_u32 v7, s0, v3
	v_mul_hi_u32 v8, v4, v7
	v_mul_lo_u32 v9, v4, v7
	v_mul_lo_u32 v11, v3, v5
	v_mul_hi_u32 v7, v3, v7
	v_mul_hi_u32 v10, v3, v5
	v_add_co_u32_e32 v7, vcc, v7, v11
	v_addc_co_u32_e32 v10, vcc, 0, v10, vcc
	v_add_co_u32_e32 v7, vcc, v7, v9
	v_mul_hi_u32 v6, v4, v5
	v_addc_co_u32_e32 v7, vcc, v10, v8, vcc
	v_addc_co_u32_e32 v6, vcc, 0, v6, vcc
	v_mul_lo_u32 v5, v4, v5
	v_add_co_u32_e32 v5, vcc, v7, v5
	v_addc_co_u32_e32 v6, vcc, 0, v6, vcc
	v_add_co_u32_e32 v3, vcc, v3, v5
	v_addc_co_u32_e32 v6, vcc, v4, v6, vcc
	v_ashrrev_i32_e32 v8, 31, v1
	v_add_co_u32_e32 v4, vcc, v0, v8
	v_addc_co_u32_e32 v5, vcc, v1, v8, vcc
	v_xor_b32_e32 v10, v4, v8
	v_xor_b32_e32 v9, v5, v8
	v_mad_u64_u32 v[4:5], s[0:1], v10, v6, 0
	v_mul_hi_u32 v7, v10, v3
	v_add_co_u32_e32 v11, vcc, v7, v4
	v_addc_co_u32_e32 v13, vcc, 0, v5, vcc
	v_mad_u64_u32 v[4:5], s[0:1], v9, v6, 0
	v_mad_u64_u32 v[6:7], s[0:1], v9, v3, 0
	v_add_co_u32_e32 v3, vcc, v11, v6
	v_addc_co_u32_e32 v3, vcc, v13, v7, vcc
	v_addc_co_u32_e32 v5, vcc, 0, v5, vcc
	v_add_co_u32_e32 v3, vcc, v3, v4
	v_addc_co_u32_e32 v6, vcc, 0, v5, vcc
	v_mul_lo_u32 v7, s35, v3
	v_mul_lo_u32 v11, s34, v6
	v_mad_u64_u32 v[4:5], s[0:1], s34, v3, 0
	v_add3_u32 v5, v5, v11, v7
	v_sub_u32_e32 v7, v9, v5
	v_mov_b32_e32 v11, s35
	v_sub_co_u32_e32 v4, vcc, v10, v4
	v_subb_co_u32_e64 v7, s[0:1], v7, v11, vcc
	v_subrev_co_u32_e64 v10, s[0:1], s34, v4
	v_subbrev_co_u32_e64 v7, s[0:1], 0, v7, s[0:1]
	v_cmp_le_u32_e64 s[0:1], s35, v7
	v_cndmask_b32_e64 v11, 0, -1, s[0:1]
	v_cmp_le_u32_e64 s[0:1], s34, v10
	v_cndmask_b32_e64 v10, 0, -1, s[0:1]
	v_cmp_eq_u32_e64 s[0:1], s35, v7
	v_cndmask_b32_e64 v7, v11, v10, s[0:1]
	v_add_co_u32_e64 v10, s[0:1], 2, v3
	v_subb_co_u32_e32 v5, vcc, v9, v5, vcc
	v_addc_co_u32_e64 v11, s[0:1], 0, v6, s[0:1]
	v_cmp_le_u32_e32 vcc, s35, v5
	v_add_co_u32_e64 v13, s[0:1], 1, v3
	v_cndmask_b32_e64 v9, 0, -1, vcc
	v_cmp_le_u32_e32 vcc, s34, v4
	v_addc_co_u32_e64 v14, s[0:1], 0, v6, s[0:1]
	v_cndmask_b32_e64 v4, 0, -1, vcc
	v_cmp_eq_u32_e32 vcc, s35, v5
	v_cmp_ne_u32_e64 s[0:1], 0, v7
	v_cndmask_b32_e32 v4, v9, v4, vcc
	v_cmp_ne_u32_e32 vcc, 0, v4
	v_cndmask_b32_e64 v5, v13, v10, s[0:1]
	v_cndmask_b32_e64 v7, v14, v11, s[0:1]
	v_cndmask_b32_e32 v3, v3, v5, vcc
	v_xor_b32_e32 v5, s30, v8
	v_cndmask_b32_e32 v4, v6, v7, vcc
	v_xor_b32_e32 v3, v3, v5
	v_xor_b32_e32 v4, v4, v5
	v_sub_co_u32_e32 v8, vcc, v3, v5
	v_subb_co_u32_e32 v9, vcc, v4, v5, vcc
.LBB94_5:                               ;   in Loop: Header=BB94_3 Depth=1
	s_andn2_saveexec_b64 s[0:1], s[28:29]
	s_cbranch_execz .LBB94_7
; %bb.6:                                ;   in Loop: Header=BB94_3 Depth=1
	s_sub_i32 s28, 0, s2
	v_mul_lo_u32 v3, s28, v12
	v_mul_hi_u32 v3, v12, v3
	v_add_u32_e32 v3, v12, v3
	v_mul_hi_u32 v3, v0, v3
	v_mul_lo_u32 v4, v3, s2
	v_sub_u32_e32 v4, v0, v4
	v_subrev_u32_e32 v5, s2, v4
	v_cmp_le_u32_e32 vcc, s2, v4
	v_cndmask_b32_e32 v4, v4, v5, vcc
	v_add_u32_e32 v5, 1, v3
	v_cndmask_b32_e32 v3, v3, v5, vcc
	v_add_u32_e32 v5, 1, v3
	v_cmp_le_u32_e32 vcc, s2, v4
	v_cndmask_b32_e32 v8, v3, v5, vcc
	v_mov_b32_e32 v9, v2
.LBB94_7:                               ;   in Loop: Header=BB94_3 Depth=1
	s_or_b64 exec, exec, s[0:1]
	s_waitcnt lgkmcnt(0)
	v_or_b32_e32 v3, s15, v9
	v_cmp_ne_u64_e32 vcc, 0, v[2:3]
                                        ; implicit-def: $vgpr6_vgpr7
	s_and_saveexec_b64 s[0:1], vcc
	s_xor_b64 s[28:29], exec, s[0:1]
	s_cbranch_execz .LBB94_9
; %bb.8:                                ;   in Loop: Header=BB94_3 Depth=1
	s_ashr_i32 s30, s15, 31
	s_add_u32 s0, s14, s30
	s_mov_b32 s31, s30
	s_addc_u32 s1, s15, s30
	s_xor_b64 s[34:35], s[0:1], s[30:31]
	v_cvt_f32_u32_e32 v3, s34
	v_cvt_f32_u32_e32 v4, s35
	s_sub_u32 s0, 0, s34
	s_subb_u32 s1, 0, s35
	v_mac_f32_e32 v3, 0x4f800000, v4
	v_rcp_f32_e32 v3, v3
	v_mul_f32_e32 v3, 0x5f7ffffc, v3
	v_mul_f32_e32 v4, 0x2f800000, v3
	v_trunc_f32_e32 v4, v4
	v_mac_f32_e32 v3, 0xcf800000, v4
	v_cvt_u32_f32_e32 v4, v4
	v_cvt_u32_f32_e32 v3, v3
	v_mul_lo_u32 v5, s0, v4
	v_mul_hi_u32 v7, s0, v3
	v_mul_lo_u32 v6, s1, v3
	v_add_u32_e32 v5, v7, v5
	v_mul_lo_u32 v10, s0, v3
	v_add_u32_e32 v5, v5, v6
	v_mul_lo_u32 v7, v3, v5
	v_mul_hi_u32 v11, v3, v10
	v_mul_hi_u32 v6, v3, v5
	v_add_co_u32_e32 v7, vcc, v11, v7
	v_addc_co_u32_e32 v6, vcc, 0, v6, vcc
	v_mul_hi_u32 v13, v4, v10
	v_mul_lo_u32 v10, v4, v10
	v_add_co_u32_e32 v7, vcc, v7, v10
	v_mul_hi_u32 v11, v4, v5
	v_addc_co_u32_e32 v6, vcc, v6, v13, vcc
	v_addc_co_u32_e32 v7, vcc, 0, v11, vcc
	v_mul_lo_u32 v5, v4, v5
	v_add_co_u32_e32 v5, vcc, v6, v5
	v_addc_co_u32_e32 v6, vcc, 0, v7, vcc
	v_add_co_u32_e32 v3, vcc, v3, v5
	v_addc_co_u32_e32 v4, vcc, v4, v6, vcc
	v_mul_lo_u32 v5, s0, v4
	v_mul_hi_u32 v6, s0, v3
	v_add_u32_e32 v5, v6, v5
	v_mul_lo_u32 v6, s1, v3
	v_add_u32_e32 v5, v5, v6
	v_mul_lo_u32 v7, s0, v3
	v_mul_hi_u32 v10, v4, v7
	v_mul_lo_u32 v11, v4, v7
	v_mul_lo_u32 v14, v3, v5
	v_mul_hi_u32 v7, v3, v7
	v_mul_hi_u32 v13, v3, v5
	v_add_co_u32_e32 v7, vcc, v7, v14
	v_addc_co_u32_e32 v13, vcc, 0, v13, vcc
	v_add_co_u32_e32 v7, vcc, v7, v11
	v_mul_hi_u32 v6, v4, v5
	v_addc_co_u32_e32 v7, vcc, v13, v10, vcc
	v_addc_co_u32_e32 v6, vcc, 0, v6, vcc
	v_mul_lo_u32 v5, v4, v5
	v_add_co_u32_e32 v5, vcc, v7, v5
	v_addc_co_u32_e32 v6, vcc, 0, v6, vcc
	v_add_co_u32_e32 v3, vcc, v3, v5
	v_addc_co_u32_e32 v6, vcc, v4, v6, vcc
	v_ashrrev_i32_e32 v10, 31, v9
	v_add_co_u32_e32 v4, vcc, v8, v10
	v_addc_co_u32_e32 v5, vcc, v9, v10, vcc
	v_xor_b32_e32 v13, v4, v10
	v_xor_b32_e32 v11, v5, v10
	v_mad_u64_u32 v[4:5], s[0:1], v13, v6, 0
	v_mul_hi_u32 v7, v13, v3
	v_add_co_u32_e32 v14, vcc, v7, v4
	v_addc_co_u32_e32 v15, vcc, 0, v5, vcc
	v_mad_u64_u32 v[4:5], s[0:1], v11, v6, 0
	v_mad_u64_u32 v[6:7], s[0:1], v11, v3, 0
	v_add_co_u32_e32 v3, vcc, v14, v6
	v_addc_co_u32_e32 v3, vcc, v15, v7, vcc
	v_addc_co_u32_e32 v5, vcc, 0, v5, vcc
	v_add_co_u32_e32 v3, vcc, v3, v4
	v_addc_co_u32_e32 v6, vcc, 0, v5, vcc
	v_mul_lo_u32 v7, s35, v3
	v_mul_lo_u32 v14, s34, v6
	v_mad_u64_u32 v[4:5], s[0:1], s34, v3, 0
	v_add3_u32 v5, v5, v14, v7
	v_sub_u32_e32 v7, v11, v5
	v_mov_b32_e32 v14, s35
	v_sub_co_u32_e32 v4, vcc, v13, v4
	v_subb_co_u32_e64 v7, s[0:1], v7, v14, vcc
	v_subrev_co_u32_e64 v13, s[0:1], s34, v4
	v_subbrev_co_u32_e64 v7, s[0:1], 0, v7, s[0:1]
	v_cmp_le_u32_e64 s[0:1], s35, v7
	v_cndmask_b32_e64 v14, 0, -1, s[0:1]
	v_cmp_le_u32_e64 s[0:1], s34, v13
	v_cndmask_b32_e64 v13, 0, -1, s[0:1]
	v_cmp_eq_u32_e64 s[0:1], s35, v7
	v_cndmask_b32_e64 v7, v14, v13, s[0:1]
	v_add_co_u32_e64 v13, s[0:1], 2, v3
	v_subb_co_u32_e32 v5, vcc, v11, v5, vcc
	v_addc_co_u32_e64 v14, s[0:1], 0, v6, s[0:1]
	v_cmp_le_u32_e32 vcc, s35, v5
	v_add_co_u32_e64 v15, s[0:1], 1, v3
	v_cndmask_b32_e64 v11, 0, -1, vcc
	v_cmp_le_u32_e32 vcc, s34, v4
	v_addc_co_u32_e64 v16, s[0:1], 0, v6, s[0:1]
	v_cndmask_b32_e64 v4, 0, -1, vcc
	v_cmp_eq_u32_e32 vcc, s35, v5
	v_cmp_ne_u32_e64 s[0:1], 0, v7
	v_cndmask_b32_e32 v4, v11, v4, vcc
	v_cmp_ne_u32_e32 vcc, 0, v4
	v_cndmask_b32_e64 v5, v15, v13, s[0:1]
	v_cndmask_b32_e64 v7, v16, v14, s[0:1]
	v_cndmask_b32_e32 v3, v3, v5, vcc
	v_xor_b32_e32 v5, s30, v10
	v_cndmask_b32_e32 v4, v6, v7, vcc
	v_xor_b32_e32 v3, v3, v5
	v_xor_b32_e32 v4, v4, v5
	v_sub_co_u32_e32 v6, vcc, v3, v5
	v_subb_co_u32_e32 v7, vcc, v4, v5, vcc
.LBB94_9:                               ;   in Loop: Header=BB94_3 Depth=1
	s_andn2_saveexec_b64 s[0:1], s[28:29]
	s_cbranch_execz .LBB94_11
; %bb.10:                               ;   in Loop: Header=BB94_3 Depth=1
	v_cvt_f32_u32_e32 v3, s14
	s_sub_i32 s28, 0, s14
	v_mov_b32_e32 v7, v2
	v_rcp_iflag_f32_e32 v3, v3
	v_mul_f32_e32 v3, 0x4f7ffffe, v3
	v_cvt_u32_f32_e32 v3, v3
	v_mul_lo_u32 v4, s28, v3
	v_mul_hi_u32 v4, v3, v4
	v_add_u32_e32 v3, v3, v4
	v_mul_hi_u32 v3, v8, v3
	v_mul_lo_u32 v4, v3, s14
	v_sub_u32_e32 v4, v8, v4
	v_add_u32_e32 v5, 1, v3
	v_subrev_u32_e32 v6, s14, v4
	v_cmp_le_u32_e32 vcc, s14, v4
	v_cndmask_b32_e32 v4, v4, v6, vcc
	v_cndmask_b32_e32 v3, v3, v5, vcc
	v_add_u32_e32 v5, 1, v3
	v_cmp_le_u32_e32 vcc, s14, v4
	v_cndmask_b32_e32 v6, v3, v5, vcc
.LBB94_11:                              ;   in Loop: Header=BB94_3 Depth=1
	s_or_b64 exec, exec, s[0:1]
	v_mul_lo_u32 v3, v9, s2
	v_mul_lo_u32 v10, v8, s3
	v_mad_u64_u32 v[4:5], s[0:1], v8, s2, 0
	v_add3_u32 v3, v5, v10, v3
	v_sub_co_u32_e32 v4, vcc, v0, v4
	v_subb_co_u32_e32 v5, vcc, v1, v3, vcc
	v_mul_lo_u32 v3, v7, s14
	v_mul_lo_u32 v13, v6, s15
	v_mad_u64_u32 v[10:11], s[0:1], v6, s14, 0
	v_add3_u32 v3, v11, v13, v3
	v_sub_co_u32_e32 v13, vcc, v8, v10
	v_subb_co_u32_e32 v14, vcc, v9, v3, vcc
	v_sub_co_u32_e32 v8, vcc, v4, v13
	v_subb_co_u32_e32 v9, vcc, v5, v14, vcc
	v_cmp_gt_i64_e32 vcc, s[8:9], v[8:9]
	s_and_saveexec_b64 s[28:29], vcc
	s_cbranch_execz .LBB94_2
; %bb.12:                               ;   in Loop: Header=BB94_3 Depth=1
	s_load_dwordx2 s[30:31], s[4:5], 0x0
	s_load_dwordx2 s[0:1], s[16:17], 0x0
	s_and_b64 vcc, exec, s[12:13]
	s_mov_b64 s[36:37], s[22:23]
	s_mov_b64 s[38:39], s[20:21]
	s_waitcnt lgkmcnt(0)
	v_mul_lo_u32 v3, s31, v4
	v_mul_lo_u32 v10, s30, v5
	v_mad_u64_u32 v[8:9], s[34:35], s30, v4, 0
	v_add3_u32 v9, v9, v10, v3
	v_mad_u64_u32 v[8:9], s[34:35], s0, v13, v[8:9]
	v_mul_lo_u32 v3, s0, v14
	v_mul_lo_u32 v10, s1, v13
	v_add3_u32 v9, v10, v9, v3
	s_mov_b64 s[34:35], s[24:25]
	s_cbranch_vccnz .LBB94_23
.LBB94_13:                              ;   in Loop: Header=BB94_3 Depth=1
	s_load_dwordx2 s[0:1], s[18:19], 0x0
	s_waitcnt lgkmcnt(0)
	v_cmp_gt_i64_e32 vcc, s[0:1], v[4:5]
	s_and_b64 exec, exec, vcc
	s_cbranch_execz .LBB94_2
; %bb.14:                               ;   in Loop: Header=BB94_3 Depth=1
	v_lshlrev_b64 v[6:7], 1, v[8:9]
	v_mov_b32_e32 v3, s7
	v_add_co_u32_e32 v6, vcc, s6, v6
	v_addc_co_u32_e32 v7, vcc, v3, v7, vcc
	v_add_co_u32_e32 v8, vcc, 1, v4
	v_addc_co_u32_e32 v9, vcc, 0, v5, vcc
	v_cmp_gt_i64_e32 vcc, s[0:1], v[8:9]
	global_store_short v[6:7], v2, off
	s_and_b64 exec, exec, vcc
	s_cbranch_execz .LBB94_2
; %bb.15:                               ;   in Loop: Header=BB94_3 Depth=1
	v_sub_co_u32_e32 v8, vcc, v8, v13
	v_subb_co_u32_e32 v9, vcc, v9, v14, vcc
	v_cmp_gt_i64_e32 vcc, s[8:9], v[8:9]
	s_and_saveexec_b64 s[34:35], vcc
	s_cbranch_execz .LBB94_17
; %bb.16:                               ;   in Loop: Header=BB94_3 Depth=1
	s_lshl_b64 s[36:37], s[30:31], 1
	v_mov_b32_e32 v3, s37
	v_add_co_u32_e32 v8, vcc, s36, v6
	v_addc_co_u32_e32 v9, vcc, v7, v3, vcc
	global_store_short v[8:9], v2, off
.LBB94_17:                              ;   in Loop: Header=BB94_3 Depth=1
	s_or_b64 exec, exec, s[34:35]
	v_add_co_u32_e32 v8, vcc, 2, v4
	v_addc_co_u32_e32 v9, vcc, 0, v5, vcc
	v_cmp_gt_i64_e32 vcc, s[0:1], v[8:9]
	s_and_b64 exec, exec, vcc
	s_cbranch_execz .LBB94_2
; %bb.18:                               ;   in Loop: Header=BB94_3 Depth=1
	v_sub_co_u32_e32 v8, vcc, v8, v13
	v_subb_co_u32_e32 v9, vcc, v9, v14, vcc
	v_cmp_gt_i64_e32 vcc, s[8:9], v[8:9]
	s_and_saveexec_b64 s[34:35], vcc
	s_cbranch_execz .LBB94_20
; %bb.19:                               ;   in Loop: Header=BB94_3 Depth=1
	s_lshl_b64 s[36:37], s[30:31], 2
	v_mov_b32_e32 v3, s37
	v_add_co_u32_e32 v8, vcc, s36, v6
	v_addc_co_u32_e32 v9, vcc, v7, v3, vcc
	global_store_short v[8:9], v2, off
.LBB94_20:                              ;   in Loop: Header=BB94_3 Depth=1
	s_or_b64 exec, exec, s[34:35]
	v_add_co_u32_e32 v4, vcc, 3, v4
	v_addc_co_u32_e32 v5, vcc, 0, v5, vcc
	v_cmp_gt_i64_e32 vcc, s[0:1], v[4:5]
	v_sub_co_u32_e64 v4, s[0:1], v4, v13
	v_subb_co_u32_e64 v5, s[0:1], v5, v14, s[0:1]
	v_cmp_gt_i64_e64 s[0:1], s[8:9], v[4:5]
	s_and_b64 s[0:1], vcc, s[0:1]
	s_and_b64 exec, exec, s[0:1]
	s_cbranch_execz .LBB94_2
; %bb.21:                               ;   in Loop: Header=BB94_3 Depth=1
	v_mad_u64_u32 v[4:5], s[0:1], s30, 6, v[6:7]
	v_mov_b32_e32 v6, v5
	v_mad_u64_u32 v[6:7], s[0:1], s31, 6, v[6:7]
	v_mov_b32_e32 v5, v6
	global_store_short v[4:5], v2, off
	s_branch .LBB94_2
.LBB94_22:                              ;   in Loop: Header=BB94_23 Depth=2
	s_or_b64 exec, exec, s[0:1]
	v_mad_u64_u32 v[16:17], s[0:1], v10, s40, 0
	s_load_dwordx2 s[0:1], s[38:39], 0x0
	s_add_u32 s38, s38, -8
	s_addc_u32 s39, s39, -1
	v_mul_lo_u32 v3, v11, s40
	v_mul_lo_u32 v15, v10, s41
	s_add_u32 s36, s36, -8
	v_add3_u32 v3, v17, v15, v3
	v_sub_co_u32_e32 v6, vcc, v6, v16
	s_addc_u32 s37, s37, -1
	v_subb_co_u32_e32 v3, vcc, v7, v3, vcc
	s_add_u32 s34, s34, -1
	s_waitcnt lgkmcnt(0)
	v_mul_lo_u32 v3, s0, v3
	v_mul_lo_u32 v7, s1, v6
	v_mad_u64_u32 v[8:9], s[0:1], s0, v6, v[8:9]
	s_addc_u32 s35, s35, -1
	v_cmp_lt_i64_e64 s[0:1], s[34:35], 1
	v_add3_u32 v9, v7, v9, v3
	s_and_b64 vcc, exec, s[0:1]
	v_pk_mov_b32 v[6:7], v[10:11], v[10:11] op_sel:[0,1]
	s_cbranch_vccnz .LBB94_13
.LBB94_23:                              ;   Parent Loop BB94_3 Depth=1
                                        ; =>  This Inner Loop Header: Depth=2
	s_load_dwordx2 s[40:41], s[36:37], 0x0
                                        ; implicit-def: $vgpr10_vgpr11
	s_waitcnt lgkmcnt(0)
	v_or_b32_e32 v3, s41, v7
	v_cmp_ne_u64_e32 vcc, 0, v[2:3]
	s_and_saveexec_b64 s[0:1], vcc
	s_xor_b64 s[42:43], exec, s[0:1]
	s_cbranch_execz .LBB94_25
; %bb.24:                               ;   in Loop: Header=BB94_23 Depth=2
	s_ashr_i32 s44, s41, 31
	s_add_u32 s0, s40, s44
	s_mov_b32 s45, s44
	s_addc_u32 s1, s41, s44
	s_xor_b64 s[46:47], s[0:1], s[44:45]
	v_cvt_f32_u32_e32 v3, s46
	v_cvt_f32_u32_e32 v10, s47
	s_sub_u32 s0, 0, s46
	s_subb_u32 s1, 0, s47
	v_mac_f32_e32 v3, 0x4f800000, v10
	v_rcp_f32_e32 v3, v3
	v_mul_f32_e32 v3, 0x5f7ffffc, v3
	v_mul_f32_e32 v10, 0x2f800000, v3
	v_trunc_f32_e32 v10, v10
	v_mac_f32_e32 v3, 0xcf800000, v10
	v_cvt_u32_f32_e32 v10, v10
	v_cvt_u32_f32_e32 v3, v3
	v_mul_lo_u32 v11, s0, v10
	v_mul_hi_u32 v16, s0, v3
	v_mul_lo_u32 v15, s1, v3
	v_add_u32_e32 v11, v16, v11
	v_mul_lo_u32 v17, s0, v3
	v_add_u32_e32 v11, v11, v15
	v_mul_lo_u32 v16, v3, v11
	v_mul_hi_u32 v18, v3, v17
	v_mul_hi_u32 v15, v3, v11
	v_add_co_u32_e32 v16, vcc, v18, v16
	v_addc_co_u32_e32 v15, vcc, 0, v15, vcc
	v_mul_hi_u32 v19, v10, v17
	v_mul_lo_u32 v17, v10, v17
	v_add_co_u32_e32 v16, vcc, v16, v17
	v_mul_hi_u32 v18, v10, v11
	v_addc_co_u32_e32 v15, vcc, v15, v19, vcc
	v_addc_co_u32_e32 v16, vcc, 0, v18, vcc
	v_mul_lo_u32 v11, v10, v11
	v_add_co_u32_e32 v11, vcc, v15, v11
	v_addc_co_u32_e32 v15, vcc, 0, v16, vcc
	v_add_co_u32_e32 v3, vcc, v3, v11
	v_addc_co_u32_e32 v10, vcc, v10, v15, vcc
	v_mul_lo_u32 v11, s0, v10
	v_mul_hi_u32 v15, s0, v3
	v_add_u32_e32 v11, v15, v11
	v_mul_lo_u32 v15, s1, v3
	v_add_u32_e32 v11, v11, v15
	v_mul_lo_u32 v16, s0, v3
	v_mul_hi_u32 v17, v10, v16
	v_mul_lo_u32 v18, v10, v16
	v_mul_lo_u32 v20, v3, v11
	v_mul_hi_u32 v16, v3, v16
	v_mul_hi_u32 v19, v3, v11
	v_add_co_u32_e32 v16, vcc, v16, v20
	v_addc_co_u32_e32 v19, vcc, 0, v19, vcc
	v_add_co_u32_e32 v16, vcc, v16, v18
	v_mul_hi_u32 v15, v10, v11
	v_addc_co_u32_e32 v16, vcc, v19, v17, vcc
	v_addc_co_u32_e32 v15, vcc, 0, v15, vcc
	v_mul_lo_u32 v11, v10, v11
	v_add_co_u32_e32 v11, vcc, v16, v11
	v_addc_co_u32_e32 v15, vcc, 0, v15, vcc
	v_add_co_u32_e32 v3, vcc, v3, v11
	v_addc_co_u32_e32 v15, vcc, v10, v15, vcc
	v_ashrrev_i32_e32 v18, 31, v7
	v_add_co_u32_e32 v10, vcc, v6, v18
	v_addc_co_u32_e32 v11, vcc, v7, v18, vcc
	v_xor_b32_e32 v20, v10, v18
	v_xor_b32_e32 v19, v11, v18
	v_mad_u64_u32 v[10:11], s[0:1], v20, v15, 0
	v_mul_hi_u32 v16, v20, v3
	v_add_co_u32_e32 v21, vcc, v16, v10
	v_addc_co_u32_e32 v22, vcc, 0, v11, vcc
	v_mad_u64_u32 v[16:17], s[0:1], v19, v3, 0
	v_add_co_u32_e32 v3, vcc, v21, v16
	v_mad_u64_u32 v[10:11], s[0:1], v19, v15, 0
	v_addc_co_u32_e32 v3, vcc, v22, v17, vcc
	v_addc_co_u32_e32 v11, vcc, 0, v11, vcc
	v_add_co_u32_e32 v3, vcc, v3, v10
	v_addc_co_u32_e32 v15, vcc, 0, v11, vcc
	v_mul_lo_u32 v16, s47, v3
	v_mul_lo_u32 v17, s46, v15
	v_mad_u64_u32 v[10:11], s[0:1], s46, v3, 0
	v_add3_u32 v11, v11, v17, v16
	v_sub_u32_e32 v16, v19, v11
	v_mov_b32_e32 v17, s47
	v_sub_co_u32_e32 v10, vcc, v20, v10
	v_subb_co_u32_e64 v16, s[0:1], v16, v17, vcc
	v_subrev_co_u32_e64 v17, s[0:1], s46, v10
	v_subbrev_co_u32_e64 v16, s[0:1], 0, v16, s[0:1]
	v_cmp_le_u32_e64 s[0:1], s47, v16
	v_cndmask_b32_e64 v20, 0, -1, s[0:1]
	v_cmp_le_u32_e64 s[0:1], s46, v17
	v_cndmask_b32_e64 v17, 0, -1, s[0:1]
	v_cmp_eq_u32_e64 s[0:1], s47, v16
	v_cndmask_b32_e64 v16, v20, v17, s[0:1]
	v_add_co_u32_e64 v17, s[0:1], 2, v3
	v_subb_co_u32_e32 v11, vcc, v19, v11, vcc
	v_addc_co_u32_e64 v20, s[0:1], 0, v15, s[0:1]
	v_cmp_le_u32_e32 vcc, s47, v11
	v_add_co_u32_e64 v21, s[0:1], 1, v3
	v_cndmask_b32_e64 v19, 0, -1, vcc
	v_cmp_le_u32_e32 vcc, s46, v10
	v_addc_co_u32_e64 v22, s[0:1], 0, v15, s[0:1]
	v_cndmask_b32_e64 v10, 0, -1, vcc
	v_cmp_eq_u32_e32 vcc, s47, v11
	v_cmp_ne_u32_e64 s[0:1], 0, v16
	v_cndmask_b32_e32 v10, v19, v10, vcc
	v_cmp_ne_u32_e32 vcc, 0, v10
	v_cndmask_b32_e64 v11, v21, v17, s[0:1]
	v_cndmask_b32_e64 v16, v22, v20, s[0:1]
	v_cndmask_b32_e32 v3, v3, v11, vcc
	v_xor_b32_e32 v11, s44, v18
	v_cndmask_b32_e32 v10, v15, v16, vcc
	v_xor_b32_e32 v3, v3, v11
	v_xor_b32_e32 v15, v10, v11
	v_sub_co_u32_e32 v10, vcc, v3, v11
	v_subb_co_u32_e32 v11, vcc, v15, v11, vcc
.LBB94_25:                              ;   in Loop: Header=BB94_23 Depth=2
	s_andn2_saveexec_b64 s[0:1], s[42:43]
	s_cbranch_execz .LBB94_22
; %bb.26:                               ;   in Loop: Header=BB94_23 Depth=2
	v_cvt_f32_u32_e32 v3, s40
	s_sub_i32 s42, 0, s40
	v_rcp_iflag_f32_e32 v3, v3
	v_mul_f32_e32 v3, 0x4f7ffffe, v3
	v_cvt_u32_f32_e32 v3, v3
	v_mul_lo_u32 v10, s42, v3
	v_mul_hi_u32 v10, v3, v10
	v_add_u32_e32 v3, v3, v10
	v_mul_hi_u32 v3, v6, v3
	v_mul_lo_u32 v10, v3, s40
	v_sub_u32_e32 v10, v6, v10
	v_add_u32_e32 v11, 1, v3
	v_subrev_u32_e32 v15, s40, v10
	v_cmp_le_u32_e32 vcc, s40, v10
	v_cndmask_b32_e32 v10, v10, v15, vcc
	v_cndmask_b32_e32 v3, v3, v11, vcc
	v_add_u32_e32 v11, 1, v3
	v_cmp_le_u32_e32 vcc, s40, v10
	v_cndmask_b32_e32 v10, v3, v11, vcc
	v_mov_b32_e32 v11, v2
	s_branch .LBB94_22
.LBB94_27:
	s_endpgm
	.section	.rodata,"a",@progbits
	.p2align	6, 0x0
	.amdhsa_kernel _ZN2at6native16triu_tril_kernelIN3c104HalfElLb1ELi4ELb1EEEvNS_4cuda6detail10TensorInfoIT_T0_EENS6_IKS7_S8_EEllS8_
		.amdhsa_group_segment_fixed_size 0
		.amdhsa_private_segment_fixed_size 0
		.amdhsa_kernarg_size 1112
		.amdhsa_user_sgpr_count 6
		.amdhsa_user_sgpr_private_segment_buffer 1
		.amdhsa_user_sgpr_dispatch_ptr 0
		.amdhsa_user_sgpr_queue_ptr 0
		.amdhsa_user_sgpr_kernarg_segment_ptr 1
		.amdhsa_user_sgpr_dispatch_id 0
		.amdhsa_user_sgpr_flat_scratch_init 0
		.amdhsa_user_sgpr_kernarg_preload_length 0
		.amdhsa_user_sgpr_kernarg_preload_offset 0
		.amdhsa_user_sgpr_private_segment_size 0
		.amdhsa_uses_dynamic_stack 0
		.amdhsa_system_sgpr_private_segment_wavefront_offset 0
		.amdhsa_system_sgpr_workgroup_id_x 1
		.amdhsa_system_sgpr_workgroup_id_y 0
		.amdhsa_system_sgpr_workgroup_id_z 0
		.amdhsa_system_sgpr_workgroup_info 0
		.amdhsa_system_vgpr_workitem_id 0
		.amdhsa_next_free_vgpr 23
		.amdhsa_next_free_sgpr 49
		.amdhsa_accum_offset 24
		.amdhsa_reserve_vcc 1
		.amdhsa_reserve_flat_scratch 0
		.amdhsa_float_round_mode_32 0
		.amdhsa_float_round_mode_16_64 0
		.amdhsa_float_denorm_mode_32 3
		.amdhsa_float_denorm_mode_16_64 3
		.amdhsa_dx10_clamp 1
		.amdhsa_ieee_mode 1
		.amdhsa_fp16_overflow 0
		.amdhsa_tg_split 0
		.amdhsa_exception_fp_ieee_invalid_op 0
		.amdhsa_exception_fp_denorm_src 0
		.amdhsa_exception_fp_ieee_div_zero 0
		.amdhsa_exception_fp_ieee_overflow 0
		.amdhsa_exception_fp_ieee_underflow 0
		.amdhsa_exception_fp_ieee_inexact 0
		.amdhsa_exception_int_div_zero 0
	.end_amdhsa_kernel
	.section	.text._ZN2at6native16triu_tril_kernelIN3c104HalfElLb1ELi4ELb1EEEvNS_4cuda6detail10TensorInfoIT_T0_EENS6_IKS7_S8_EEllS8_,"axG",@progbits,_ZN2at6native16triu_tril_kernelIN3c104HalfElLb1ELi4ELb1EEEvNS_4cuda6detail10TensorInfoIT_T0_EENS6_IKS7_S8_EEllS8_,comdat
.Lfunc_end94:
	.size	_ZN2at6native16triu_tril_kernelIN3c104HalfElLb1ELi4ELb1EEEvNS_4cuda6detail10TensorInfoIT_T0_EENS6_IKS7_S8_EEllS8_, .Lfunc_end94-_ZN2at6native16triu_tril_kernelIN3c104HalfElLb1ELi4ELb1EEEvNS_4cuda6detail10TensorInfoIT_T0_EENS6_IKS7_S8_EEllS8_
                                        ; -- End function
	.section	.AMDGPU.csdata,"",@progbits
; Kernel info:
; codeLenInByte = 3332
; NumSgprs: 53
; NumVgprs: 23
; NumAgprs: 0
; TotalNumVgprs: 23
; ScratchSize: 0
; MemoryBound: 0
; FloatMode: 240
; IeeeMode: 1
; LDSByteSize: 0 bytes/workgroup (compile time only)
; SGPRBlocks: 6
; VGPRBlocks: 2
; NumSGPRsForWavesPerEU: 53
; NumVGPRsForWavesPerEU: 23
; AccumOffset: 24
; Occupancy: 8
; WaveLimiterHint : 0
; COMPUTE_PGM_RSRC2:SCRATCH_EN: 0
; COMPUTE_PGM_RSRC2:USER_SGPR: 6
; COMPUTE_PGM_RSRC2:TRAP_HANDLER: 0
; COMPUTE_PGM_RSRC2:TGID_X_EN: 1
; COMPUTE_PGM_RSRC2:TGID_Y_EN: 0
; COMPUTE_PGM_RSRC2:TGID_Z_EN: 0
; COMPUTE_PGM_RSRC2:TIDIG_COMP_CNT: 0
; COMPUTE_PGM_RSRC3_GFX90A:ACCUM_OFFSET: 5
; COMPUTE_PGM_RSRC3_GFX90A:TG_SPLIT: 0
	.section	.text._ZN2at6native16triu_tril_kernelIN3c104HalfElLb1ELi4ELb0EEEvNS_4cuda6detail10TensorInfoIT_T0_EENS6_IKS7_S8_EEllS8_,"axG",@progbits,_ZN2at6native16triu_tril_kernelIN3c104HalfElLb1ELi4ELb0EEEvNS_4cuda6detail10TensorInfoIT_T0_EENS6_IKS7_S8_EEllS8_,comdat
	.protected	_ZN2at6native16triu_tril_kernelIN3c104HalfElLb1ELi4ELb0EEEvNS_4cuda6detail10TensorInfoIT_T0_EENS6_IKS7_S8_EEllS8_ ; -- Begin function _ZN2at6native16triu_tril_kernelIN3c104HalfElLb1ELi4ELb0EEEvNS_4cuda6detail10TensorInfoIT_T0_EENS6_IKS7_S8_EEllS8_
	.globl	_ZN2at6native16triu_tril_kernelIN3c104HalfElLb1ELi4ELb0EEEvNS_4cuda6detail10TensorInfoIT_T0_EENS6_IKS7_S8_EEllS8_
	.p2align	8
	.type	_ZN2at6native16triu_tril_kernelIN3c104HalfElLb1ELi4ELb0EEEvNS_4cuda6detail10TensorInfoIT_T0_EENS6_IKS7_S8_EEllS8_,@function
_ZN2at6native16triu_tril_kernelIN3c104HalfElLb1ELi4ELb0EEEvNS_4cuda6detail10TensorInfoIT_T0_EENS6_IKS7_S8_EEllS8_: ; @_ZN2at6native16triu_tril_kernelIN3c104HalfElLb1ELi4ELb0EEEvNS_4cuda6detail10TensorInfoIT_T0_EENS6_IKS7_S8_EEllS8_
; %bb.0:
	s_load_dword s2, s[4:5], 0x364
	s_load_dwordx4 s[8:11], s[4:5], 0x340
	s_add_u32 s0, s4, 0x358
	v_mov_b32_e32 v2, 0
	s_addc_u32 s1, s5, 0
	s_waitcnt lgkmcnt(0)
	s_and_b32 s7, s2, 0xffff
	v_mov_b32_e32 v1, v2
	v_mov_b32_e32 v3, s6
	v_mad_u64_u32 v[0:1], s[2:3], s7, v3, v[0:1]
	v_lshlrev_b64 v[0:1], 2, v[0:1]
	v_cmp_gt_i64_e32 vcc, s[10:11], v[0:1]
	s_and_saveexec_b64 s[2:3], vcc
	s_cbranch_execz .LBB95_32
; %bb.1:
	s_load_dword s6, s[0:1], 0x0
	s_load_dwordx2 s[2:3], s[4:5], 0x350
	s_load_dword s26, s[4:5], 0x338
	s_add_u32 s12, s4, 0x1a0
	s_addc_u32 s13, s5, 0
	s_waitcnt lgkmcnt(0)
	s_mul_i32 s28, s6, s7
	v_cvt_f32_u32_e32 v3, s2
	s_ashr_i32 s27, s26, 31
	s_add_u32 s36, s4, 0x1a8
	s_addc_u32 s37, s5, 0
	s_lshl_b64 s[0:1], s[26:27], 3
	s_add_u32 s22, s0, -16
	s_addc_u32 s23, s1, -1
	s_add_u32 s0, s36, s22
	s_addc_u32 s1, s37, s23
	s_add_u32 s20, s12, s22
	s_addc_u32 s21, s13, s23
	;; [unrolled: 2-line block ×3, first 2 shown]
	s_load_dwordx4 s[12:15], s[0:1], 0x0
	s_load_dwordx4 s[16:19], s[20:21], 0xd0
	s_add_u32 s0, s30, s22
	s_addc_u32 s1, s31, s23
	s_load_dwordx4 s[20:23], s[0:1], 0x0
	s_load_dwordx2 s[6:7], s[4:5], 0x1a0
	v_rcp_iflag_f32_e32 v3, v3
	s_load_dwordx2 s[4:5], s[4:5], 0x0
	s_add_i32 s0, s26, -3
	s_ashr_i32 s1, s0, 31
	s_lshl_b32 s33, s28, 2
	s_waitcnt lgkmcnt(0)
	s_mul_i32 s28, s19, 6
	s_mul_hi_u32 s29, s18, 6
	s_mul_i32 s34, s23, 6
	s_mul_hi_u32 s35, s22, 6
	v_cmp_gt_i64_e64 s[24:25], s[26:27], 2
	s_lshl_b64 s[26:27], s[18:19], 2
	s_add_i32 s55, s29, s28
	s_lshl_b64 s[28:29], s[22:23], 2
	s_add_i32 s57, s35, s34
	s_lshl_b64 s[34:35], s[0:1], 3
	s_add_u32 s30, s30, s34
	s_addc_u32 s31, s31, s35
	v_mul_f32_e32 v3, 0x4f7ffffe, v3
	s_add_u32 s34, s36, s34
	v_cvt_u32_f32_e32 v14, v3
	s_addc_u32 s35, s37, s35
	s_add_u32 s36, s0, 1
	s_mov_b32 s54, 0
	s_mul_i32 s56, s18, 6
	s_mul_i32 s58, s22, 6
	s_addc_u32 s37, s1, 0
	s_mov_b64 s[38:39], 0
	s_branch .LBB95_3
.LBB95_2:                               ;   in Loop: Header=BB95_3 Depth=1
	s_or_b64 exec, exec, s[0:1]
	v_mov_b32_e32 v3, s54
	v_add_co_u32_e32 v0, vcc, s33, v0
	v_addc_co_u32_e32 v1, vcc, v1, v3, vcc
	v_cmp_le_i64_e32 vcc, s[10:11], v[0:1]
	s_or_b64 s[38:39], vcc, s[38:39]
	s_andn2_b64 exec, exec, s[38:39]
	s_cbranch_execz .LBB95_32
.LBB95_3:                               ; =>This Loop Header: Depth=1
                                        ;     Child Loop BB95_28 Depth 2
	v_or_b32_e32 v3, s3, v1
	v_cmp_ne_u64_e32 vcc, 0, v[2:3]
                                        ; implicit-def: $vgpr6_vgpr7
	s_and_saveexec_b64 s[0:1], vcc
	s_xor_b64 s[40:41], exec, s[0:1]
	s_cbranch_execz .LBB95_5
; %bb.4:                                ;   in Loop: Header=BB95_3 Depth=1
	s_ashr_i32 s42, s3, 31
	s_add_u32 s0, s2, s42
	s_mov_b32 s43, s42
	s_addc_u32 s1, s3, s42
	s_xor_b64 s[44:45], s[0:1], s[42:43]
	v_cvt_f32_u32_e32 v3, s44
	v_cvt_f32_u32_e32 v4, s45
	s_sub_u32 s0, 0, s44
	s_subb_u32 s1, 0, s45
	v_mac_f32_e32 v3, 0x4f800000, v4
	v_rcp_f32_e32 v3, v3
	v_mul_f32_e32 v3, 0x5f7ffffc, v3
	v_mul_f32_e32 v4, 0x2f800000, v3
	v_trunc_f32_e32 v4, v4
	v_mac_f32_e32 v3, 0xcf800000, v4
	v_cvt_u32_f32_e32 v4, v4
	v_cvt_u32_f32_e32 v3, v3
	v_mul_lo_u32 v5, s0, v4
	v_mul_hi_u32 v7, s0, v3
	v_mul_lo_u32 v6, s1, v3
	v_add_u32_e32 v5, v7, v5
	v_mul_lo_u32 v8, s0, v3
	v_add_u32_e32 v5, v5, v6
	v_mul_lo_u32 v7, v3, v5
	v_mul_hi_u32 v9, v3, v8
	v_mul_hi_u32 v6, v3, v5
	v_add_co_u32_e32 v7, vcc, v9, v7
	v_addc_co_u32_e32 v6, vcc, 0, v6, vcc
	v_mul_hi_u32 v10, v4, v8
	v_mul_lo_u32 v8, v4, v8
	v_add_co_u32_e32 v7, vcc, v7, v8
	v_mul_hi_u32 v9, v4, v5
	v_addc_co_u32_e32 v6, vcc, v6, v10, vcc
	v_addc_co_u32_e32 v7, vcc, 0, v9, vcc
	v_mul_lo_u32 v5, v4, v5
	v_add_co_u32_e32 v5, vcc, v6, v5
	v_addc_co_u32_e32 v6, vcc, 0, v7, vcc
	v_add_co_u32_e32 v3, vcc, v3, v5
	v_addc_co_u32_e32 v4, vcc, v4, v6, vcc
	v_mul_lo_u32 v5, s0, v4
	v_mul_hi_u32 v6, s0, v3
	v_add_u32_e32 v5, v6, v5
	v_mul_lo_u32 v6, s1, v3
	v_add_u32_e32 v5, v5, v6
	v_mul_lo_u32 v7, s0, v3
	v_mul_hi_u32 v8, v4, v7
	v_mul_lo_u32 v9, v4, v7
	v_mul_lo_u32 v11, v3, v5
	v_mul_hi_u32 v7, v3, v7
	v_mul_hi_u32 v10, v3, v5
	v_add_co_u32_e32 v7, vcc, v7, v11
	v_addc_co_u32_e32 v10, vcc, 0, v10, vcc
	v_add_co_u32_e32 v7, vcc, v7, v9
	v_mul_hi_u32 v6, v4, v5
	v_addc_co_u32_e32 v7, vcc, v10, v8, vcc
	v_addc_co_u32_e32 v6, vcc, 0, v6, vcc
	v_mul_lo_u32 v5, v4, v5
	v_add_co_u32_e32 v5, vcc, v7, v5
	v_addc_co_u32_e32 v6, vcc, 0, v6, vcc
	v_add_co_u32_e32 v3, vcc, v3, v5
	v_addc_co_u32_e32 v6, vcc, v4, v6, vcc
	v_ashrrev_i32_e32 v8, 31, v1
	v_add_co_u32_e32 v4, vcc, v0, v8
	v_addc_co_u32_e32 v5, vcc, v1, v8, vcc
	v_xor_b32_e32 v10, v4, v8
	v_xor_b32_e32 v9, v5, v8
	v_mad_u64_u32 v[4:5], s[0:1], v10, v6, 0
	v_mul_hi_u32 v7, v10, v3
	v_add_co_u32_e32 v11, vcc, v7, v4
	v_addc_co_u32_e32 v12, vcc, 0, v5, vcc
	v_mad_u64_u32 v[4:5], s[0:1], v9, v6, 0
	v_mad_u64_u32 v[6:7], s[0:1], v9, v3, 0
	v_add_co_u32_e32 v3, vcc, v11, v6
	v_addc_co_u32_e32 v3, vcc, v12, v7, vcc
	v_addc_co_u32_e32 v5, vcc, 0, v5, vcc
	v_add_co_u32_e32 v3, vcc, v3, v4
	v_addc_co_u32_e32 v6, vcc, 0, v5, vcc
	v_mul_lo_u32 v7, s45, v3
	v_mul_lo_u32 v11, s44, v6
	v_mad_u64_u32 v[4:5], s[0:1], s44, v3, 0
	v_add3_u32 v5, v5, v11, v7
	v_sub_u32_e32 v7, v9, v5
	v_mov_b32_e32 v11, s45
	v_sub_co_u32_e32 v4, vcc, v10, v4
	v_subb_co_u32_e64 v7, s[0:1], v7, v11, vcc
	v_subrev_co_u32_e64 v10, s[0:1], s44, v4
	v_subbrev_co_u32_e64 v7, s[0:1], 0, v7, s[0:1]
	v_cmp_le_u32_e64 s[0:1], s45, v7
	v_cndmask_b32_e64 v11, 0, -1, s[0:1]
	v_cmp_le_u32_e64 s[0:1], s44, v10
	v_cndmask_b32_e64 v10, 0, -1, s[0:1]
	v_cmp_eq_u32_e64 s[0:1], s45, v7
	v_cndmask_b32_e64 v7, v11, v10, s[0:1]
	v_add_co_u32_e64 v10, s[0:1], 2, v3
	v_subb_co_u32_e32 v5, vcc, v9, v5, vcc
	v_addc_co_u32_e64 v11, s[0:1], 0, v6, s[0:1]
	v_cmp_le_u32_e32 vcc, s45, v5
	v_add_co_u32_e64 v12, s[0:1], 1, v3
	v_cndmask_b32_e64 v9, 0, -1, vcc
	v_cmp_le_u32_e32 vcc, s44, v4
	v_addc_co_u32_e64 v13, s[0:1], 0, v6, s[0:1]
	v_cndmask_b32_e64 v4, 0, -1, vcc
	v_cmp_eq_u32_e32 vcc, s45, v5
	v_cmp_ne_u32_e64 s[0:1], 0, v7
	v_cndmask_b32_e32 v4, v9, v4, vcc
	v_cmp_ne_u32_e32 vcc, 0, v4
	v_cndmask_b32_e64 v5, v12, v10, s[0:1]
	v_cndmask_b32_e64 v7, v13, v11, s[0:1]
	v_cndmask_b32_e32 v3, v3, v5, vcc
	v_xor_b32_e32 v5, s42, v8
	v_cndmask_b32_e32 v4, v6, v7, vcc
	v_xor_b32_e32 v3, v3, v5
	v_xor_b32_e32 v4, v4, v5
	v_sub_co_u32_e32 v6, vcc, v3, v5
	v_subb_co_u32_e32 v7, vcc, v4, v5, vcc
.LBB95_5:                               ;   in Loop: Header=BB95_3 Depth=1
	s_andn2_saveexec_b64 s[0:1], s[40:41]
	s_cbranch_execz .LBB95_7
; %bb.6:                                ;   in Loop: Header=BB95_3 Depth=1
	s_sub_i32 s40, 0, s2
	v_mul_lo_u32 v3, s40, v14
	v_mul_hi_u32 v3, v14, v3
	v_add_u32_e32 v3, v14, v3
	v_mul_hi_u32 v3, v0, v3
	v_mul_lo_u32 v4, v3, s2
	v_sub_u32_e32 v4, v0, v4
	v_subrev_u32_e32 v5, s2, v4
	v_cmp_le_u32_e32 vcc, s2, v4
	v_cndmask_b32_e32 v4, v4, v5, vcc
	v_add_u32_e32 v5, 1, v3
	v_cndmask_b32_e32 v3, v3, v5, vcc
	v_add_u32_e32 v5, 1, v3
	v_cmp_le_u32_e32 vcc, s2, v4
	v_cndmask_b32_e32 v6, v3, v5, vcc
	v_mov_b32_e32 v7, v2
.LBB95_7:                               ;   in Loop: Header=BB95_3 Depth=1
	s_or_b64 exec, exec, s[0:1]
	v_or_b32_e32 v3, s13, v7
	v_cmp_ne_u64_e32 vcc, 0, v[2:3]
                                        ; implicit-def: $vgpr10_vgpr11
	s_and_saveexec_b64 s[0:1], vcc
	s_xor_b64 s[40:41], exec, s[0:1]
	s_cbranch_execz .LBB95_9
; %bb.8:                                ;   in Loop: Header=BB95_3 Depth=1
	s_ashr_i32 s42, s13, 31
	s_add_u32 s0, s12, s42
	s_mov_b32 s43, s42
	s_addc_u32 s1, s13, s42
	s_xor_b64 s[44:45], s[0:1], s[42:43]
	v_cvt_f32_u32_e32 v3, s44
	v_cvt_f32_u32_e32 v4, s45
	s_sub_u32 s0, 0, s44
	s_subb_u32 s1, 0, s45
	v_mac_f32_e32 v3, 0x4f800000, v4
	v_rcp_f32_e32 v3, v3
	v_mul_f32_e32 v3, 0x5f7ffffc, v3
	v_mul_f32_e32 v4, 0x2f800000, v3
	v_trunc_f32_e32 v4, v4
	v_mac_f32_e32 v3, 0xcf800000, v4
	v_cvt_u32_f32_e32 v4, v4
	v_cvt_u32_f32_e32 v3, v3
	v_mul_lo_u32 v5, s0, v4
	v_mul_hi_u32 v9, s0, v3
	v_mul_lo_u32 v8, s1, v3
	v_add_u32_e32 v5, v9, v5
	v_mul_lo_u32 v10, s0, v3
	v_add_u32_e32 v5, v5, v8
	v_mul_lo_u32 v9, v3, v5
	v_mul_hi_u32 v11, v3, v10
	v_mul_hi_u32 v8, v3, v5
	v_add_co_u32_e32 v9, vcc, v11, v9
	v_addc_co_u32_e32 v8, vcc, 0, v8, vcc
	v_mul_hi_u32 v12, v4, v10
	v_mul_lo_u32 v10, v4, v10
	v_add_co_u32_e32 v9, vcc, v9, v10
	v_mul_hi_u32 v11, v4, v5
	v_addc_co_u32_e32 v8, vcc, v8, v12, vcc
	v_addc_co_u32_e32 v9, vcc, 0, v11, vcc
	v_mul_lo_u32 v5, v4, v5
	v_add_co_u32_e32 v5, vcc, v8, v5
	v_addc_co_u32_e32 v8, vcc, 0, v9, vcc
	v_add_co_u32_e32 v3, vcc, v3, v5
	v_addc_co_u32_e32 v4, vcc, v4, v8, vcc
	v_mul_lo_u32 v5, s0, v4
	v_mul_hi_u32 v8, s0, v3
	v_add_u32_e32 v5, v8, v5
	v_mul_lo_u32 v8, s1, v3
	v_add_u32_e32 v5, v5, v8
	v_mul_lo_u32 v9, s0, v3
	v_mul_hi_u32 v10, v4, v9
	v_mul_lo_u32 v11, v4, v9
	v_mul_lo_u32 v13, v3, v5
	v_mul_hi_u32 v9, v3, v9
	v_mul_hi_u32 v12, v3, v5
	v_add_co_u32_e32 v9, vcc, v9, v13
	v_addc_co_u32_e32 v12, vcc, 0, v12, vcc
	v_add_co_u32_e32 v9, vcc, v9, v11
	v_mul_hi_u32 v8, v4, v5
	v_addc_co_u32_e32 v9, vcc, v12, v10, vcc
	v_addc_co_u32_e32 v8, vcc, 0, v8, vcc
	v_mul_lo_u32 v5, v4, v5
	v_add_co_u32_e32 v5, vcc, v9, v5
	v_addc_co_u32_e32 v8, vcc, 0, v8, vcc
	v_add_co_u32_e32 v3, vcc, v3, v5
	v_addc_co_u32_e32 v8, vcc, v4, v8, vcc
	v_ashrrev_i32_e32 v10, 31, v7
	v_add_co_u32_e32 v4, vcc, v6, v10
	v_addc_co_u32_e32 v5, vcc, v7, v10, vcc
	v_xor_b32_e32 v12, v4, v10
	v_xor_b32_e32 v11, v5, v10
	v_mad_u64_u32 v[4:5], s[0:1], v12, v8, 0
	v_mul_hi_u32 v9, v12, v3
	v_add_co_u32_e32 v13, vcc, v9, v4
	v_addc_co_u32_e32 v15, vcc, 0, v5, vcc
	v_mad_u64_u32 v[4:5], s[0:1], v11, v8, 0
	v_mad_u64_u32 v[8:9], s[0:1], v11, v3, 0
	v_add_co_u32_e32 v3, vcc, v13, v8
	v_addc_co_u32_e32 v3, vcc, v15, v9, vcc
	v_addc_co_u32_e32 v5, vcc, 0, v5, vcc
	v_add_co_u32_e32 v3, vcc, v3, v4
	v_addc_co_u32_e32 v8, vcc, 0, v5, vcc
	v_mul_lo_u32 v9, s45, v3
	v_mul_lo_u32 v13, s44, v8
	v_mad_u64_u32 v[4:5], s[0:1], s44, v3, 0
	v_add3_u32 v5, v5, v13, v9
	v_sub_u32_e32 v9, v11, v5
	v_mov_b32_e32 v13, s45
	v_sub_co_u32_e32 v4, vcc, v12, v4
	v_subb_co_u32_e64 v9, s[0:1], v9, v13, vcc
	v_subrev_co_u32_e64 v12, s[0:1], s44, v4
	v_subbrev_co_u32_e64 v9, s[0:1], 0, v9, s[0:1]
	v_cmp_le_u32_e64 s[0:1], s45, v9
	v_cndmask_b32_e64 v13, 0, -1, s[0:1]
	v_cmp_le_u32_e64 s[0:1], s44, v12
	v_cndmask_b32_e64 v12, 0, -1, s[0:1]
	v_cmp_eq_u32_e64 s[0:1], s45, v9
	v_cndmask_b32_e64 v9, v13, v12, s[0:1]
	v_add_co_u32_e64 v12, s[0:1], 2, v3
	v_subb_co_u32_e32 v5, vcc, v11, v5, vcc
	v_addc_co_u32_e64 v13, s[0:1], 0, v8, s[0:1]
	v_cmp_le_u32_e32 vcc, s45, v5
	v_add_co_u32_e64 v15, s[0:1], 1, v3
	v_cndmask_b32_e64 v11, 0, -1, vcc
	v_cmp_le_u32_e32 vcc, s44, v4
	v_addc_co_u32_e64 v16, s[0:1], 0, v8, s[0:1]
	v_cndmask_b32_e64 v4, 0, -1, vcc
	v_cmp_eq_u32_e32 vcc, s45, v5
	v_cmp_ne_u32_e64 s[0:1], 0, v9
	v_cndmask_b32_e32 v4, v11, v4, vcc
	v_cmp_ne_u32_e32 vcc, 0, v4
	v_cndmask_b32_e64 v5, v15, v12, s[0:1]
	v_cndmask_b32_e64 v9, v16, v13, s[0:1]
	v_cndmask_b32_e32 v3, v3, v5, vcc
	v_xor_b32_e32 v5, s42, v10
	v_cndmask_b32_e32 v4, v8, v9, vcc
	v_xor_b32_e32 v3, v3, v5
	v_xor_b32_e32 v4, v4, v5
	v_sub_co_u32_e32 v10, vcc, v3, v5
	v_subb_co_u32_e32 v11, vcc, v4, v5, vcc
.LBB95_9:                               ;   in Loop: Header=BB95_3 Depth=1
	s_andn2_saveexec_b64 s[0:1], s[40:41]
	s_cbranch_execz .LBB95_11
; %bb.10:                               ;   in Loop: Header=BB95_3 Depth=1
	v_cvt_f32_u32_e32 v3, s12
	s_sub_i32 s40, 0, s12
	v_mov_b32_e32 v11, v2
	v_rcp_iflag_f32_e32 v3, v3
	v_mul_f32_e32 v3, 0x4f7ffffe, v3
	v_cvt_u32_f32_e32 v3, v3
	v_mul_lo_u32 v4, s40, v3
	v_mul_hi_u32 v4, v3, v4
	v_add_u32_e32 v3, v3, v4
	v_mul_hi_u32 v3, v6, v3
	v_mul_lo_u32 v4, v3, s12
	v_sub_u32_e32 v4, v6, v4
	v_add_u32_e32 v5, 1, v3
	v_subrev_u32_e32 v8, s12, v4
	v_cmp_le_u32_e32 vcc, s12, v4
	v_cndmask_b32_e32 v4, v4, v8, vcc
	v_cndmask_b32_e32 v3, v3, v5, vcc
	v_add_u32_e32 v5, 1, v3
	v_cmp_le_u32_e32 vcc, s12, v4
	v_cndmask_b32_e32 v10, v3, v5, vcc
.LBB95_11:                              ;   in Loop: Header=BB95_3 Depth=1
	s_or_b64 exec, exec, s[0:1]
	v_mul_lo_u32 v3, v7, s2
	v_mul_lo_u32 v8, v6, s3
	v_mad_u64_u32 v[4:5], s[0:1], v6, s2, 0
	v_add3_u32 v3, v5, v8, v3
	v_sub_co_u32_e32 v4, vcc, v0, v4
	v_subb_co_u32_e32 v5, vcc, v1, v3, vcc
	v_mul_lo_u32 v3, v11, s12
	v_mul_lo_u32 v12, v10, s13
	v_mad_u64_u32 v[8:9], s[0:1], v10, s12, 0
	v_add3_u32 v3, v9, v12, v3
	v_sub_co_u32_e32 v15, vcc, v6, v8
	v_subb_co_u32_e32 v16, vcc, v7, v3, vcc
	v_mul_lo_u32 v3, s19, v4
	v_mul_lo_u32 v8, s18, v5
	v_mad_u64_u32 v[6:7], s[0:1], s18, v4, 0
	v_add3_u32 v7, v7, v8, v3
	v_mul_lo_u32 v3, s23, v4
	v_mul_lo_u32 v8, s22, v5
	v_mad_u64_u32 v[12:13], s[0:1], s22, v4, 0
	v_add3_u32 v13, v13, v8, v3
	v_mad_u64_u32 v[8:9], s[0:1], s16, v15, v[6:7]
	v_mul_lo_u32 v3, s16, v16
	v_mul_lo_u32 v6, s17, v15
	v_add3_u32 v9, v6, v9, v3
	v_mad_u64_u32 v[6:7], s[0:1], s20, v15, v[12:13]
	v_mul_lo_u32 v3, s20, v16
	v_mul_lo_u32 v12, s21, v15
	v_add3_u32 v7, v12, v7, v3
	s_and_b64 vcc, exec, s[24:25]
	s_mov_b64 s[40:41], s[36:37]
	s_mov_b64 s[42:43], s[34:35]
	;; [unrolled: 1-line block ×3, first 2 shown]
	s_cbranch_vccnz .LBB95_28
.LBB95_12:                              ;   in Loop: Header=BB95_3 Depth=1
	v_sub_co_u32_e32 v10, vcc, v4, v15
	v_subb_co_u32_e32 v11, vcc, v5, v16, vcc
	v_add_co_u32_e32 v12, vcc, 4, v10
	v_addc_co_u32_e32 v13, vcc, 0, v11, vcc
	v_cmp_le_i64_e32 vcc, s[8:9], v[12:13]
	v_mov_b32_e32 v17, 0
	v_mov_b32_e32 v16, 0
	;; [unrolled: 1-line block ×4, first 2 shown]
	s_and_saveexec_b64 s[0:1], vcc
	s_cbranch_execz .LBB95_22
; %bb.13:                               ;   in Loop: Header=BB95_3 Depth=1
	v_cmp_gt_i64_e32 vcc, s[14:15], v[4:5]
	v_mov_b32_e32 v15, 0
	v_mov_b32_e32 v13, 0
	;; [unrolled: 1-line block ×4, first 2 shown]
	s_and_saveexec_b64 s[40:41], vcc
	s_cbranch_execz .LBB95_21
; %bb.14:                               ;   in Loop: Header=BB95_3 Depth=1
	v_lshlrev_b64 v[8:9], 1, v[8:9]
	v_mov_b32_e32 v3, s7
	v_add_co_u32_e32 v8, vcc, s6, v8
	v_addc_co_u32_e32 v9, vcc, v3, v9, vcc
	global_load_ushort v3, v[8:9], off
	v_add_co_u32_e32 v12, vcc, 1, v4
	v_addc_co_u32_e32 v13, vcc, 0, v5, vcc
	v_cmp_gt_i64_e32 vcc, s[14:15], v[12:13]
	v_mov_b32_e32 v12, 0
	v_mov_b32_e32 v13, 0
	v_mov_b32_e32 v15, 0
	s_and_saveexec_b64 s[42:43], vcc
	s_xor_b64 s[42:43], exec, s[42:43]
	s_cbranch_execz .LBB95_20
; %bb.15:                               ;   in Loop: Header=BB95_3 Depth=1
	s_lshl_b64 s[44:45], s[18:19], 1
	v_mov_b32_e32 v13, s45
	v_add_co_u32_e32 v12, vcc, s44, v8
	v_addc_co_u32_e32 v13, vcc, v9, v13, vcc
	global_load_ushort v12, v[12:13], off
	v_add_co_u32_e32 v16, vcc, 2, v4
	v_addc_co_u32_e32 v17, vcc, 0, v5, vcc
	v_cmp_gt_i64_e32 vcc, s[14:15], v[16:17]
	v_mov_b32_e32 v13, 0
	v_mov_b32_e32 v15, 0
	s_and_saveexec_b64 s[44:45], vcc
	s_xor_b64 s[44:45], exec, s[44:45]
	s_cbranch_execz .LBB95_19
; %bb.16:                               ;   in Loop: Header=BB95_3 Depth=1
	v_mov_b32_e32 v13, s27
	v_add_co_u32_e32 v16, vcc, s26, v8
	v_addc_co_u32_e32 v17, vcc, v9, v13, vcc
	global_load_ushort v13, v[16:17], off
	v_add_co_u32_e32 v16, vcc, 3, v4
	v_addc_co_u32_e32 v17, vcc, 0, v5, vcc
	v_cmp_gt_i64_e32 vcc, s[14:15], v[16:17]
	v_mov_b32_e32 v15, 0
	s_and_saveexec_b64 s[46:47], vcc
	s_xor_b64 s[46:47], exec, s[46:47]
	s_cbranch_execz .LBB95_18
; %bb.17:                               ;   in Loop: Header=BB95_3 Depth=1
	v_mov_b32_e32 v15, s55
	v_add_co_u32_e32 v8, vcc, s56, v8
	v_addc_co_u32_e32 v9, vcc, v9, v15, vcc
	global_load_ushort v15, v[8:9], off
.LBB95_18:                              ;   in Loop: Header=BB95_3 Depth=1
	s_or_b64 exec, exec, s[46:47]
.LBB95_19:                              ;   in Loop: Header=BB95_3 Depth=1
	s_or_b64 exec, exec, s[44:45]
.LBB95_20:                              ;   in Loop: Header=BB95_3 Depth=1
	s_or_b64 exec, exec, s[42:43]
.LBB95_21:                              ;   in Loop: Header=BB95_3 Depth=1
	s_or_b64 exec, exec, s[40:41]
	v_cmp_le_i64_e32 vcc, s[8:9], v[10:11]
	s_waitcnt vmcnt(0)
	v_cndmask_b32_e32 v17, 0, v3, vcc
	v_add_co_u32_e32 v8, vcc, 1, v10
	v_addc_co_u32_e32 v9, vcc, 0, v11, vcc
	v_cmp_le_i64_e32 vcc, s[8:9], v[8:9]
	v_cndmask_b32_e32 v16, 0, v12, vcc
	v_add_co_u32_e32 v8, vcc, 2, v10
	v_addc_co_u32_e32 v9, vcc, 0, v11, vcc
	v_cmp_le_i64_e32 vcc, s[8:9], v[8:9]
	;; [unrolled: 4-line block ×3, first 2 shown]
	v_cndmask_b32_e32 v3, 0, v15, vcc
.LBB95_22:                              ;   in Loop: Header=BB95_3 Depth=1
	s_or_b64 exec, exec, s[0:1]
	v_cmp_gt_i64_e32 vcc, s[14:15], v[4:5]
	s_and_saveexec_b64 s[0:1], vcc
	s_cbranch_execz .LBB95_2
; %bb.23:                               ;   in Loop: Header=BB95_3 Depth=1
	v_lshlrev_b64 v[6:7], 1, v[6:7]
	v_mov_b32_e32 v8, s5
	v_add_co_u32_e32 v6, vcc, s4, v6
	v_addc_co_u32_e32 v7, vcc, v8, v7, vcc
	v_add_co_u32_e32 v8, vcc, 1, v4
	v_addc_co_u32_e32 v9, vcc, 0, v5, vcc
	v_cmp_gt_i64_e32 vcc, s[14:15], v[8:9]
	global_store_short v[6:7], v17, off
	s_and_saveexec_b64 s[40:41], vcc
	s_xor_b64 s[40:41], exec, s[40:41]
	s_cbranch_execz .LBB95_2
; %bb.24:                               ;   in Loop: Header=BB95_3 Depth=1
	s_lshl_b64 s[40:41], s[22:23], 1
	v_mov_b32_e32 v9, s41
	v_add_co_u32_e32 v8, vcc, s40, v6
	v_addc_co_u32_e32 v9, vcc, v7, v9, vcc
	global_store_short v[8:9], v16, off
	v_add_co_u32_e32 v8, vcc, 2, v4
	v_addc_co_u32_e32 v9, vcc, 0, v5, vcc
	v_cmp_gt_i64_e32 vcc, s[14:15], v[8:9]
	s_and_saveexec_b64 s[40:41], vcc
	s_xor_b64 s[40:41], exec, s[40:41]
	s_cbranch_execz .LBB95_2
; %bb.25:                               ;   in Loop: Header=BB95_3 Depth=1
	v_mov_b32_e32 v9, s29
	v_add_co_u32_e32 v8, vcc, s28, v6
	v_addc_co_u32_e32 v9, vcc, v7, v9, vcc
	v_add_co_u32_e32 v4, vcc, 3, v4
	v_addc_co_u32_e32 v5, vcc, 0, v5, vcc
	v_cmp_gt_i64_e32 vcc, s[14:15], v[4:5]
	global_store_short v[8:9], v12, off
	s_and_saveexec_b64 s[40:41], vcc
	s_xor_b64 s[40:41], exec, s[40:41]
	s_cbranch_execz .LBB95_2
; %bb.26:                               ;   in Loop: Header=BB95_3 Depth=1
	v_mov_b32_e32 v5, s57
	v_add_co_u32_e32 v4, vcc, s58, v6
	v_addc_co_u32_e32 v5, vcc, v7, v5, vcc
	global_store_short v[4:5], v3, off
	s_branch .LBB95_2
.LBB95_27:                              ;   in Loop: Header=BB95_28 Depth=2
	s_or_b64 exec, exec, s[0:1]
	v_mad_u64_u32 v[18:19], s[0:1], v12, s46, 0
	v_mul_lo_u32 v3, v13, s46
	v_mul_lo_u32 v17, v12, s47
	s_load_dwordx2 s[0:1], s[42:43], 0xc8
	s_load_dwordx2 s[46:47], s[44:45], 0x0
	s_add_u32 s44, s44, -8
	s_addc_u32 s45, s45, -1
	s_add_u32 s42, s42, -8
	v_add3_u32 v3, v19, v17, v3
	v_sub_co_u32_e32 v10, vcc, v10, v18
	s_addc_u32 s43, s43, -1
	v_subb_co_u32_e32 v3, vcc, v11, v3, vcc
	s_add_u32 s40, s40, -1
	s_waitcnt lgkmcnt(0)
	v_mul_lo_u32 v11, s0, v3
	v_mul_lo_u32 v17, s1, v10
	v_mad_u64_u32 v[8:9], s[0:1], s0, v10, v[8:9]
	v_mad_u64_u32 v[6:7], s[0:1], s46, v10, v[6:7]
	s_addc_u32 s41, s41, -1
	v_add3_u32 v9, v17, v9, v11
	v_mul_lo_u32 v3, s46, v3
	v_mul_lo_u32 v11, s47, v10
	v_cmp_lt_i64_e64 s[0:1], s[40:41], 1
	v_add3_u32 v7, v11, v7, v3
	s_and_b64 vcc, exec, s[0:1]
	v_pk_mov_b32 v[10:11], v[12:13], v[12:13] op_sel:[0,1]
	s_cbranch_vccnz .LBB95_12
.LBB95_28:                              ;   Parent Loop BB95_3 Depth=1
                                        ; =>  This Inner Loop Header: Depth=2
	s_load_dwordx2 s[46:47], s[42:43], 0x0
                                        ; implicit-def: $vgpr12_vgpr13
	s_waitcnt lgkmcnt(0)
	v_or_b32_e32 v3, s47, v11
	v_cmp_ne_u64_e32 vcc, 0, v[2:3]
	s_and_saveexec_b64 s[0:1], vcc
	s_xor_b64 s[48:49], exec, s[0:1]
	s_cbranch_execz .LBB95_30
; %bb.29:                               ;   in Loop: Header=BB95_28 Depth=2
	s_ashr_i32 s50, s47, 31
	s_add_u32 s0, s46, s50
	s_mov_b32 s51, s50
	s_addc_u32 s1, s47, s50
	s_xor_b64 s[52:53], s[0:1], s[50:51]
	v_cvt_f32_u32_e32 v3, s52
	v_cvt_f32_u32_e32 v12, s53
	s_sub_u32 s0, 0, s52
	s_subb_u32 s1, 0, s53
	v_mac_f32_e32 v3, 0x4f800000, v12
	v_rcp_f32_e32 v3, v3
	v_mul_f32_e32 v3, 0x5f7ffffc, v3
	v_mul_f32_e32 v12, 0x2f800000, v3
	v_trunc_f32_e32 v12, v12
	v_mac_f32_e32 v3, 0xcf800000, v12
	v_cvt_u32_f32_e32 v12, v12
	v_cvt_u32_f32_e32 v3, v3
	v_mul_lo_u32 v13, s0, v12
	v_mul_hi_u32 v18, s0, v3
	v_mul_lo_u32 v17, s1, v3
	v_add_u32_e32 v13, v18, v13
	v_mul_lo_u32 v19, s0, v3
	v_add_u32_e32 v13, v13, v17
	v_mul_lo_u32 v18, v3, v13
	v_mul_hi_u32 v20, v3, v19
	v_mul_hi_u32 v17, v3, v13
	v_add_co_u32_e32 v18, vcc, v20, v18
	v_addc_co_u32_e32 v17, vcc, 0, v17, vcc
	v_mul_hi_u32 v21, v12, v19
	v_mul_lo_u32 v19, v12, v19
	v_add_co_u32_e32 v18, vcc, v18, v19
	v_mul_hi_u32 v20, v12, v13
	v_addc_co_u32_e32 v17, vcc, v17, v21, vcc
	v_addc_co_u32_e32 v18, vcc, 0, v20, vcc
	v_mul_lo_u32 v13, v12, v13
	v_add_co_u32_e32 v13, vcc, v17, v13
	v_addc_co_u32_e32 v17, vcc, 0, v18, vcc
	v_add_co_u32_e32 v3, vcc, v3, v13
	v_addc_co_u32_e32 v12, vcc, v12, v17, vcc
	v_mul_lo_u32 v13, s0, v12
	v_mul_hi_u32 v17, s0, v3
	v_add_u32_e32 v13, v17, v13
	v_mul_lo_u32 v17, s1, v3
	v_add_u32_e32 v13, v13, v17
	v_mul_lo_u32 v18, s0, v3
	v_mul_hi_u32 v19, v12, v18
	v_mul_lo_u32 v20, v12, v18
	v_mul_lo_u32 v22, v3, v13
	v_mul_hi_u32 v18, v3, v18
	v_mul_hi_u32 v21, v3, v13
	v_add_co_u32_e32 v18, vcc, v18, v22
	v_addc_co_u32_e32 v21, vcc, 0, v21, vcc
	v_add_co_u32_e32 v18, vcc, v18, v20
	v_mul_hi_u32 v17, v12, v13
	v_addc_co_u32_e32 v18, vcc, v21, v19, vcc
	v_addc_co_u32_e32 v17, vcc, 0, v17, vcc
	v_mul_lo_u32 v13, v12, v13
	v_add_co_u32_e32 v13, vcc, v18, v13
	v_addc_co_u32_e32 v17, vcc, 0, v17, vcc
	v_add_co_u32_e32 v3, vcc, v3, v13
	v_addc_co_u32_e32 v17, vcc, v12, v17, vcc
	v_ashrrev_i32_e32 v20, 31, v11
	v_add_co_u32_e32 v12, vcc, v10, v20
	v_addc_co_u32_e32 v13, vcc, v11, v20, vcc
	v_xor_b32_e32 v22, v12, v20
	v_xor_b32_e32 v21, v13, v20
	v_mad_u64_u32 v[12:13], s[0:1], v22, v17, 0
	v_mul_hi_u32 v18, v22, v3
	v_add_co_u32_e32 v23, vcc, v18, v12
	v_addc_co_u32_e32 v24, vcc, 0, v13, vcc
	v_mad_u64_u32 v[18:19], s[0:1], v21, v3, 0
	v_add_co_u32_e32 v3, vcc, v23, v18
	v_mad_u64_u32 v[12:13], s[0:1], v21, v17, 0
	v_addc_co_u32_e32 v3, vcc, v24, v19, vcc
	v_addc_co_u32_e32 v13, vcc, 0, v13, vcc
	v_add_co_u32_e32 v3, vcc, v3, v12
	v_addc_co_u32_e32 v17, vcc, 0, v13, vcc
	v_mul_lo_u32 v18, s53, v3
	v_mul_lo_u32 v19, s52, v17
	v_mad_u64_u32 v[12:13], s[0:1], s52, v3, 0
	v_add3_u32 v13, v13, v19, v18
	v_sub_u32_e32 v18, v21, v13
	v_mov_b32_e32 v19, s53
	v_sub_co_u32_e32 v12, vcc, v22, v12
	v_subb_co_u32_e64 v18, s[0:1], v18, v19, vcc
	v_subrev_co_u32_e64 v19, s[0:1], s52, v12
	v_subbrev_co_u32_e64 v18, s[0:1], 0, v18, s[0:1]
	v_cmp_le_u32_e64 s[0:1], s53, v18
	v_cndmask_b32_e64 v22, 0, -1, s[0:1]
	v_cmp_le_u32_e64 s[0:1], s52, v19
	v_cndmask_b32_e64 v19, 0, -1, s[0:1]
	v_cmp_eq_u32_e64 s[0:1], s53, v18
	v_cndmask_b32_e64 v18, v22, v19, s[0:1]
	v_add_co_u32_e64 v19, s[0:1], 2, v3
	v_subb_co_u32_e32 v13, vcc, v21, v13, vcc
	v_addc_co_u32_e64 v22, s[0:1], 0, v17, s[0:1]
	v_cmp_le_u32_e32 vcc, s53, v13
	v_add_co_u32_e64 v23, s[0:1], 1, v3
	v_cndmask_b32_e64 v21, 0, -1, vcc
	v_cmp_le_u32_e32 vcc, s52, v12
	v_addc_co_u32_e64 v24, s[0:1], 0, v17, s[0:1]
	v_cndmask_b32_e64 v12, 0, -1, vcc
	v_cmp_eq_u32_e32 vcc, s53, v13
	v_cmp_ne_u32_e64 s[0:1], 0, v18
	v_cndmask_b32_e32 v12, v21, v12, vcc
	v_cmp_ne_u32_e32 vcc, 0, v12
	v_cndmask_b32_e64 v13, v23, v19, s[0:1]
	v_cndmask_b32_e64 v18, v24, v22, s[0:1]
	v_cndmask_b32_e32 v3, v3, v13, vcc
	v_xor_b32_e32 v13, s50, v20
	v_cndmask_b32_e32 v12, v17, v18, vcc
	v_xor_b32_e32 v3, v3, v13
	v_xor_b32_e32 v17, v12, v13
	v_sub_co_u32_e32 v12, vcc, v3, v13
	v_subb_co_u32_e32 v13, vcc, v17, v13, vcc
.LBB95_30:                              ;   in Loop: Header=BB95_28 Depth=2
	s_andn2_saveexec_b64 s[0:1], s[48:49]
	s_cbranch_execz .LBB95_27
; %bb.31:                               ;   in Loop: Header=BB95_28 Depth=2
	v_cvt_f32_u32_e32 v3, s46
	s_sub_i32 s48, 0, s46
	v_rcp_iflag_f32_e32 v3, v3
	v_mul_f32_e32 v3, 0x4f7ffffe, v3
	v_cvt_u32_f32_e32 v3, v3
	v_mul_lo_u32 v12, s48, v3
	v_mul_hi_u32 v12, v3, v12
	v_add_u32_e32 v3, v3, v12
	v_mul_hi_u32 v3, v10, v3
	v_mul_lo_u32 v12, v3, s46
	v_sub_u32_e32 v12, v10, v12
	v_add_u32_e32 v13, 1, v3
	v_subrev_u32_e32 v17, s46, v12
	v_cmp_le_u32_e32 vcc, s46, v12
	v_cndmask_b32_e32 v12, v12, v17, vcc
	v_cndmask_b32_e32 v3, v3, v13, vcc
	v_add_u32_e32 v13, 1, v3
	v_cmp_le_u32_e32 vcc, s46, v12
	v_cndmask_b32_e32 v12, v3, v13, vcc
	v_mov_b32_e32 v13, v2
	s_branch .LBB95_27
.LBB95_32:
	s_endpgm
	.section	.rodata,"a",@progbits
	.p2align	6, 0x0
	.amdhsa_kernel _ZN2at6native16triu_tril_kernelIN3c104HalfElLb1ELi4ELb0EEEvNS_4cuda6detail10TensorInfoIT_T0_EENS6_IKS7_S8_EEllS8_
		.amdhsa_group_segment_fixed_size 0
		.amdhsa_private_segment_fixed_size 0
		.amdhsa_kernarg_size 1112
		.amdhsa_user_sgpr_count 6
		.amdhsa_user_sgpr_private_segment_buffer 1
		.amdhsa_user_sgpr_dispatch_ptr 0
		.amdhsa_user_sgpr_queue_ptr 0
		.amdhsa_user_sgpr_kernarg_segment_ptr 1
		.amdhsa_user_sgpr_dispatch_id 0
		.amdhsa_user_sgpr_flat_scratch_init 0
		.amdhsa_user_sgpr_kernarg_preload_length 0
		.amdhsa_user_sgpr_kernarg_preload_offset 0
		.amdhsa_user_sgpr_private_segment_size 0
		.amdhsa_uses_dynamic_stack 0
		.amdhsa_system_sgpr_private_segment_wavefront_offset 0
		.amdhsa_system_sgpr_workgroup_id_x 1
		.amdhsa_system_sgpr_workgroup_id_y 0
		.amdhsa_system_sgpr_workgroup_id_z 0
		.amdhsa_system_sgpr_workgroup_info 0
		.amdhsa_system_vgpr_workitem_id 0
		.amdhsa_next_free_vgpr 25
		.amdhsa_next_free_sgpr 59
		.amdhsa_accum_offset 28
		.amdhsa_reserve_vcc 1
		.amdhsa_reserve_flat_scratch 0
		.amdhsa_float_round_mode_32 0
		.amdhsa_float_round_mode_16_64 0
		.amdhsa_float_denorm_mode_32 3
		.amdhsa_float_denorm_mode_16_64 3
		.amdhsa_dx10_clamp 1
		.amdhsa_ieee_mode 1
		.amdhsa_fp16_overflow 0
		.amdhsa_tg_split 0
		.amdhsa_exception_fp_ieee_invalid_op 0
		.amdhsa_exception_fp_denorm_src 0
		.amdhsa_exception_fp_ieee_div_zero 0
		.amdhsa_exception_fp_ieee_overflow 0
		.amdhsa_exception_fp_ieee_underflow 0
		.amdhsa_exception_fp_ieee_inexact 0
		.amdhsa_exception_int_div_zero 0
	.end_amdhsa_kernel
	.section	.text._ZN2at6native16triu_tril_kernelIN3c104HalfElLb1ELi4ELb0EEEvNS_4cuda6detail10TensorInfoIT_T0_EENS6_IKS7_S8_EEllS8_,"axG",@progbits,_ZN2at6native16triu_tril_kernelIN3c104HalfElLb1ELi4ELb0EEEvNS_4cuda6detail10TensorInfoIT_T0_EENS6_IKS7_S8_EEllS8_,comdat
.Lfunc_end95:
	.size	_ZN2at6native16triu_tril_kernelIN3c104HalfElLb1ELi4ELb0EEEvNS_4cuda6detail10TensorInfoIT_T0_EENS6_IKS7_S8_EEllS8_, .Lfunc_end95-_ZN2at6native16triu_tril_kernelIN3c104HalfElLb1ELi4ELb0EEEvNS_4cuda6detail10TensorInfoIT_T0_EENS6_IKS7_S8_EEllS8_
                                        ; -- End function
	.section	.AMDGPU.csdata,"",@progbits
; Kernel info:
; codeLenInByte = 3704
; NumSgprs: 63
; NumVgprs: 25
; NumAgprs: 0
; TotalNumVgprs: 25
; ScratchSize: 0
; MemoryBound: 0
; FloatMode: 240
; IeeeMode: 1
; LDSByteSize: 0 bytes/workgroup (compile time only)
; SGPRBlocks: 7
; VGPRBlocks: 3
; NumSGPRsForWavesPerEU: 63
; NumVGPRsForWavesPerEU: 25
; AccumOffset: 28
; Occupancy: 8
; WaveLimiterHint : 0
; COMPUTE_PGM_RSRC2:SCRATCH_EN: 0
; COMPUTE_PGM_RSRC2:USER_SGPR: 6
; COMPUTE_PGM_RSRC2:TRAP_HANDLER: 0
; COMPUTE_PGM_RSRC2:TGID_X_EN: 1
; COMPUTE_PGM_RSRC2:TGID_Y_EN: 0
; COMPUTE_PGM_RSRC2:TGID_Z_EN: 0
; COMPUTE_PGM_RSRC2:TIDIG_COMP_CNT: 0
; COMPUTE_PGM_RSRC3_GFX90A:ACCUM_OFFSET: 6
; COMPUTE_PGM_RSRC3_GFX90A:TG_SPLIT: 0
	.section	.text._ZN2at6native16triu_tril_kernelIN3c108BFloat16EiLb1ELi4ELb1EEEvNS_4cuda6detail10TensorInfoIT_T0_EENS6_IKS7_S8_EEllS8_,"axG",@progbits,_ZN2at6native16triu_tril_kernelIN3c108BFloat16EiLb1ELi4ELb1EEEvNS_4cuda6detail10TensorInfoIT_T0_EENS6_IKS7_S8_EEllS8_,comdat
	.protected	_ZN2at6native16triu_tril_kernelIN3c108BFloat16EiLb1ELi4ELb1EEEvNS_4cuda6detail10TensorInfoIT_T0_EENS6_IKS7_S8_EEllS8_ ; -- Begin function _ZN2at6native16triu_tril_kernelIN3c108BFloat16EiLb1ELi4ELb1EEEvNS_4cuda6detail10TensorInfoIT_T0_EENS6_IKS7_S8_EEllS8_
	.globl	_ZN2at6native16triu_tril_kernelIN3c108BFloat16EiLb1ELi4ELb1EEEvNS_4cuda6detail10TensorInfoIT_T0_EENS6_IKS7_S8_EEllS8_
	.p2align	8
	.type	_ZN2at6native16triu_tril_kernelIN3c108BFloat16EiLb1ELi4ELb1EEEvNS_4cuda6detail10TensorInfoIT_T0_EENS6_IKS7_S8_EEllS8_,@function
_ZN2at6native16triu_tril_kernelIN3c108BFloat16EiLb1ELi4ELb1EEEvNS_4cuda6detail10TensorInfoIT_T0_EENS6_IKS7_S8_EEllS8_: ; @_ZN2at6native16triu_tril_kernelIN3c108BFloat16EiLb1ELi4ELb1EEEvNS_4cuda6detail10TensorInfoIT_T0_EENS6_IKS7_S8_EEllS8_
; %bb.0:
	s_load_dword s2, s[4:5], 0x1d4
	s_load_dwordx4 s[8:11], s[4:5], 0x1b0
	s_add_u32 s0, s4, 0x1c8
	v_mov_b32_e32 v2, 0
	s_addc_u32 s1, s5, 0
	s_waitcnt lgkmcnt(0)
	s_and_b32 s7, s2, 0xffff
	v_mov_b32_e32 v1, v2
	v_mov_b32_e32 v3, s6
	v_mad_u64_u32 v[0:1], s[2:3], s7, v3, v[0:1]
	v_lshlrev_b64 v[0:1], 2, v[0:1]
	v_cmp_gt_i64_e32 vcc, s[10:11], v[0:1]
	s_and_saveexec_b64 s[2:3], vcc
	s_cbranch_execz .LBB96_67
; %bb.1:
	s_load_dword s33, s[4:5], 0x1c0
	s_load_dword s14, s[4:5], 0x1a8
	;; [unrolled: 1-line block ×3, first 2 shown]
	s_load_dwordx2 s[2:3], s[4:5], 0x0
	s_mov_b64 s[22:23], 0
	s_waitcnt lgkmcnt(0)
	s_ashr_i32 s38, s33, 31
	s_ashr_i32 s15, s14, 31
	s_add_u32 s39, s4, 0xe0
	s_addc_u32 s40, s5, 0
	s_add_i32 s0, s14, -2
	s_ashr_i32 s1, s0, 31
	s_lshl_b64 s[12:13], s[0:1], 2
	s_add_u32 s16, s39, s12
	s_addc_u32 s17, s40, s13
	s_load_dword s41, s[16:17], 0x0
	s_lshl_b64 s[16:17], s[14:15], 2
	s_mul_i32 s1, s6, s7
	v_cmp_gt_i64_e64 s[6:7], s[14:15], 2
	v_cvt_f32_u32_e32 v3, s33
	s_waitcnt lgkmcnt(0)
	s_ashr_i32 s42, s41, 31
	s_add_u32 s15, s16, -4
	s_addc_u32 s16, s17, -1
	s_add_u32 s43, s4, 0x6c
	s_addc_u32 s44, s5, 0
	s_add_u32 s4, s43, s15
	v_rcp_iflag_f32_e32 v3, v3
	s_addc_u32 s5, s44, s16
	s_add_u32 s12, s43, s12
	s_addc_u32 s13, s44, s13
	s_add_i32 s45, s14, -3
	s_add_u32 s14, s39, s15
	v_mul_f32_e32 v3, 0x4f7ffffe, v3
	s_addc_u32 s15, s40, s16
	s_lshl_b32 s46, s1, 2
	s_and_b32 s48, s0, 7
	v_cvt_u32_f32_e32 v24, v3
	s_cmp_lg_u32 s48, 0
	s_mov_b32 s17, 0
	s_cselect_b64 s[18:19], -1, 0
	s_cmp_gt_u32 s45, 6
	s_mov_b32 s47, s17
	s_cselect_b64 s[20:21], -1, 0
	s_branch .LBB96_3
.LBB96_2:                               ;   in Loop: Header=BB96_3 Depth=1
	s_or_b64 exec, exec, s[24:25]
	v_mov_b32_e32 v3, s47
	v_add_co_u32_e32 v0, vcc, s46, v0
	v_addc_co_u32_e32 v1, vcc, v1, v3, vcc
	v_cmp_le_i64_e32 vcc, s[10:11], v[0:1]
	s_or_b64 s[22:23], vcc, s[22:23]
	s_andn2_b64 exec, exec, s[22:23]
	s_cbranch_execz .LBB96_67
.LBB96_3:                               ; =>This Loop Header: Depth=1
                                        ;     Child Loop BB96_16 Depth 2
                                        ;     Child Loop BB96_23 Depth 2
	v_or_b32_e32 v3, s38, v1
	v_cmp_ne_u64_e32 vcc, 0, v[2:3]
                                        ; implicit-def: $vgpr4_vgpr5
	s_and_saveexec_b64 s[0:1], vcc
	s_xor_b64 s[24:25], exec, s[0:1]
	s_cbranch_execz .LBB96_5
; %bb.4:                                ;   in Loop: Header=BB96_3 Depth=1
	s_add_u32 s0, s33, s38
	s_mov_b32 s26, s38
	s_mov_b32 s27, s38
	s_addc_u32 s1, s38, s38
	s_xor_b64 s[28:29], s[0:1], s[26:27]
	v_cvt_f32_u32_e32 v3, s28
	v_cvt_f32_u32_e32 v4, s29
	s_sub_u32 s0, 0, s28
	s_subb_u32 s1, 0, s29
	v_mac_f32_e32 v3, 0x4f800000, v4
	v_rcp_f32_e32 v3, v3
	v_mul_f32_e32 v3, 0x5f7ffffc, v3
	v_mul_f32_e32 v4, 0x2f800000, v3
	v_trunc_f32_e32 v4, v4
	v_mac_f32_e32 v3, 0xcf800000, v4
	v_cvt_u32_f32_e32 v4, v4
	v_cvt_u32_f32_e32 v3, v3
	v_mul_lo_u32 v5, s0, v4
	v_mul_hi_u32 v7, s0, v3
	v_mul_lo_u32 v6, s1, v3
	v_add_u32_e32 v5, v7, v5
	v_mul_lo_u32 v8, s0, v3
	v_add_u32_e32 v5, v5, v6
	v_mul_lo_u32 v7, v3, v5
	v_mul_hi_u32 v9, v3, v8
	v_mul_hi_u32 v6, v3, v5
	v_add_co_u32_e32 v7, vcc, v9, v7
	v_addc_co_u32_e32 v6, vcc, 0, v6, vcc
	v_mul_hi_u32 v10, v4, v8
	v_mul_lo_u32 v8, v4, v8
	v_add_co_u32_e32 v7, vcc, v7, v8
	v_mul_hi_u32 v9, v4, v5
	v_addc_co_u32_e32 v6, vcc, v6, v10, vcc
	v_addc_co_u32_e32 v7, vcc, 0, v9, vcc
	v_mul_lo_u32 v5, v4, v5
	v_add_co_u32_e32 v5, vcc, v6, v5
	v_addc_co_u32_e32 v6, vcc, 0, v7, vcc
	v_add_co_u32_e32 v3, vcc, v3, v5
	v_addc_co_u32_e32 v4, vcc, v4, v6, vcc
	v_mul_lo_u32 v5, s0, v4
	v_mul_hi_u32 v6, s0, v3
	v_add_u32_e32 v5, v6, v5
	v_mul_lo_u32 v6, s1, v3
	v_add_u32_e32 v5, v5, v6
	v_mul_lo_u32 v7, s0, v3
	v_mul_hi_u32 v8, v4, v7
	v_mul_lo_u32 v9, v4, v7
	v_mul_lo_u32 v11, v3, v5
	v_mul_hi_u32 v7, v3, v7
	v_mul_hi_u32 v10, v3, v5
	v_add_co_u32_e32 v7, vcc, v7, v11
	v_addc_co_u32_e32 v10, vcc, 0, v10, vcc
	v_add_co_u32_e32 v7, vcc, v7, v9
	v_mul_hi_u32 v6, v4, v5
	v_addc_co_u32_e32 v7, vcc, v10, v8, vcc
	v_addc_co_u32_e32 v6, vcc, 0, v6, vcc
	v_mul_lo_u32 v5, v4, v5
	v_add_co_u32_e32 v5, vcc, v7, v5
	v_addc_co_u32_e32 v6, vcc, 0, v6, vcc
	v_add_co_u32_e32 v3, vcc, v3, v5
	v_addc_co_u32_e32 v6, vcc, v4, v6, vcc
	v_ashrrev_i32_e32 v8, 31, v1
	v_add_co_u32_e32 v4, vcc, v0, v8
	v_addc_co_u32_e32 v5, vcc, v1, v8, vcc
	v_xor_b32_e32 v10, v4, v8
	v_xor_b32_e32 v9, v5, v8
	v_mad_u64_u32 v[4:5], s[0:1], v10, v6, 0
	v_mul_hi_u32 v7, v10, v3
	v_add_co_u32_e32 v11, vcc, v7, v4
	v_addc_co_u32_e32 v12, vcc, 0, v5, vcc
	v_mad_u64_u32 v[4:5], s[0:1], v9, v6, 0
	v_mad_u64_u32 v[6:7], s[0:1], v9, v3, 0
	v_add_co_u32_e32 v3, vcc, v11, v6
	v_addc_co_u32_e32 v3, vcc, v12, v7, vcc
	v_addc_co_u32_e32 v5, vcc, 0, v5, vcc
	v_add_co_u32_e32 v3, vcc, v3, v4
	v_addc_co_u32_e32 v6, vcc, 0, v5, vcc
	v_mul_lo_u32 v7, s29, v3
	v_mul_lo_u32 v11, s28, v6
	v_mad_u64_u32 v[4:5], s[0:1], s28, v3, 0
	v_add3_u32 v5, v5, v11, v7
	v_sub_u32_e32 v7, v9, v5
	v_mov_b32_e32 v11, s29
	v_sub_co_u32_e32 v4, vcc, v10, v4
	v_subb_co_u32_e64 v7, s[0:1], v7, v11, vcc
	v_subrev_co_u32_e64 v10, s[0:1], s28, v4
	v_subbrev_co_u32_e64 v7, s[0:1], 0, v7, s[0:1]
	v_cmp_le_u32_e64 s[0:1], s29, v7
	v_cndmask_b32_e64 v11, 0, -1, s[0:1]
	v_cmp_le_u32_e64 s[0:1], s28, v10
	v_cndmask_b32_e64 v10, 0, -1, s[0:1]
	v_cmp_eq_u32_e64 s[0:1], s29, v7
	v_cndmask_b32_e64 v7, v11, v10, s[0:1]
	v_add_co_u32_e64 v10, s[0:1], 2, v3
	v_subb_co_u32_e32 v5, vcc, v9, v5, vcc
	v_addc_co_u32_e64 v11, s[0:1], 0, v6, s[0:1]
	v_cmp_le_u32_e32 vcc, s29, v5
	v_add_co_u32_e64 v12, s[0:1], 1, v3
	v_cndmask_b32_e64 v9, 0, -1, vcc
	v_cmp_le_u32_e32 vcc, s28, v4
	v_addc_co_u32_e64 v13, s[0:1], 0, v6, s[0:1]
	v_cndmask_b32_e64 v4, 0, -1, vcc
	v_cmp_eq_u32_e32 vcc, s29, v5
	v_cmp_ne_u32_e64 s[0:1], 0, v7
	v_cndmask_b32_e32 v4, v9, v4, vcc
	v_cndmask_b32_e64 v7, v13, v11, s[0:1]
	v_cmp_ne_u32_e32 vcc, 0, v4
	v_cndmask_b32_e64 v5, v12, v10, s[0:1]
	v_cndmask_b32_e32 v4, v6, v7, vcc
	v_cndmask_b32_e32 v3, v3, v5, vcc
	v_xor_b32_e32 v6, s26, v8
	v_xor_b32_e32 v5, s27, v8
	;; [unrolled: 1-line block ×4, first 2 shown]
	v_sub_co_u32_e32 v4, vcc, v3, v6
	v_subb_co_u32_e32 v5, vcc, v7, v5, vcc
.LBB96_5:                               ;   in Loop: Header=BB96_3 Depth=1
	s_andn2_saveexec_b64 s[0:1], s[24:25]
	s_cbranch_execz .LBB96_7
; %bb.6:                                ;   in Loop: Header=BB96_3 Depth=1
	s_sub_i32 s16, 0, s33
	v_mul_lo_u32 v3, s16, v24
	v_mul_hi_u32 v3, v24, v3
	v_add_u32_e32 v3, v24, v3
	v_mul_hi_u32 v3, v0, v3
	v_mul_lo_u32 v4, v3, s33
	v_sub_u32_e32 v4, v0, v4
	v_subrev_u32_e32 v5, s33, v4
	v_cmp_le_u32_e32 vcc, s33, v4
	v_cndmask_b32_e32 v4, v4, v5, vcc
	v_add_u32_e32 v5, 1, v3
	v_cndmask_b32_e32 v3, v3, v5, vcc
	v_add_u32_e32 v5, 1, v3
	v_cmp_le_u32_e32 vcc, s33, v4
	v_cndmask_b32_e32 v4, v3, v5, vcc
	v_mov_b32_e32 v5, v2
.LBB96_7:                               ;   in Loop: Header=BB96_3 Depth=1
	s_or_b64 exec, exec, s[0:1]
	v_or_b32_e32 v3, s42, v5
	v_cmp_ne_u64_e32 vcc, 0, v[2:3]
                                        ; implicit-def: $vgpr6_vgpr7
	s_and_saveexec_b64 s[0:1], vcc
	s_xor_b64 s[24:25], exec, s[0:1]
	s_cbranch_execz .LBB96_9
; %bb.8:                                ;   in Loop: Header=BB96_3 Depth=1
	s_add_u32 s0, s41, s42
	s_mov_b32 s26, s42
	s_mov_b32 s27, s42
	s_addc_u32 s1, s42, s42
	s_xor_b64 s[28:29], s[0:1], s[26:27]
	v_cvt_f32_u32_e32 v3, s28
	v_cvt_f32_u32_e32 v6, s29
	s_sub_u32 s0, 0, s28
	s_subb_u32 s1, 0, s29
	v_mac_f32_e32 v3, 0x4f800000, v6
	v_rcp_f32_e32 v3, v3
	v_mul_f32_e32 v3, 0x5f7ffffc, v3
	v_mul_f32_e32 v6, 0x2f800000, v3
	v_trunc_f32_e32 v6, v6
	v_mac_f32_e32 v3, 0xcf800000, v6
	v_cvt_u32_f32_e32 v6, v6
	v_cvt_u32_f32_e32 v3, v3
	v_mul_lo_u32 v7, s0, v6
	v_mul_hi_u32 v9, s0, v3
	v_mul_lo_u32 v8, s1, v3
	v_add_u32_e32 v7, v9, v7
	v_mul_lo_u32 v10, s0, v3
	v_add_u32_e32 v7, v7, v8
	v_mul_lo_u32 v9, v3, v7
	v_mul_hi_u32 v11, v3, v10
	v_mul_hi_u32 v8, v3, v7
	v_add_co_u32_e32 v9, vcc, v11, v9
	v_addc_co_u32_e32 v8, vcc, 0, v8, vcc
	v_mul_hi_u32 v12, v6, v10
	v_mul_lo_u32 v10, v6, v10
	v_add_co_u32_e32 v9, vcc, v9, v10
	v_mul_hi_u32 v11, v6, v7
	v_addc_co_u32_e32 v8, vcc, v8, v12, vcc
	v_addc_co_u32_e32 v9, vcc, 0, v11, vcc
	v_mul_lo_u32 v7, v6, v7
	v_add_co_u32_e32 v7, vcc, v8, v7
	v_addc_co_u32_e32 v8, vcc, 0, v9, vcc
	v_add_co_u32_e32 v3, vcc, v3, v7
	v_addc_co_u32_e32 v6, vcc, v6, v8, vcc
	v_mul_lo_u32 v7, s0, v6
	v_mul_hi_u32 v8, s0, v3
	v_add_u32_e32 v7, v8, v7
	v_mul_lo_u32 v8, s1, v3
	v_add_u32_e32 v7, v7, v8
	v_mul_lo_u32 v9, s0, v3
	v_mul_hi_u32 v10, v6, v9
	v_mul_lo_u32 v11, v6, v9
	v_mul_lo_u32 v13, v3, v7
	v_mul_hi_u32 v9, v3, v9
	v_mul_hi_u32 v12, v3, v7
	v_add_co_u32_e32 v9, vcc, v9, v13
	v_addc_co_u32_e32 v12, vcc, 0, v12, vcc
	v_add_co_u32_e32 v9, vcc, v9, v11
	v_mul_hi_u32 v8, v6, v7
	v_addc_co_u32_e32 v9, vcc, v12, v10, vcc
	v_addc_co_u32_e32 v8, vcc, 0, v8, vcc
	v_mul_lo_u32 v7, v6, v7
	v_add_co_u32_e32 v7, vcc, v9, v7
	v_addc_co_u32_e32 v8, vcc, 0, v8, vcc
	v_add_co_u32_e32 v3, vcc, v3, v7
	v_addc_co_u32_e32 v8, vcc, v6, v8, vcc
	v_ashrrev_i32_e32 v10, 31, v5
	v_add_co_u32_e32 v6, vcc, v4, v10
	v_xor_b32_e32 v11, v6, v10
	v_addc_co_u32_e32 v5, vcc, v5, v10, vcc
	v_mad_u64_u32 v[6:7], s[0:1], v11, v8, 0
	v_mul_hi_u32 v9, v11, v3
	v_xor_b32_e32 v5, v5, v10
	v_add_co_u32_e32 v12, vcc, v9, v6
	v_addc_co_u32_e32 v13, vcc, 0, v7, vcc
	v_mad_u64_u32 v[6:7], s[0:1], v5, v8, 0
	v_mad_u64_u32 v[8:9], s[0:1], v5, v3, 0
	v_add_co_u32_e32 v3, vcc, v12, v8
	v_addc_co_u32_e32 v3, vcc, v13, v9, vcc
	v_addc_co_u32_e32 v7, vcc, 0, v7, vcc
	v_add_co_u32_e32 v3, vcc, v3, v6
	v_addc_co_u32_e32 v8, vcc, 0, v7, vcc
	v_mul_lo_u32 v9, s29, v3
	v_mul_lo_u32 v12, s28, v8
	v_mad_u64_u32 v[6:7], s[0:1], s28, v3, 0
	v_add3_u32 v7, v7, v12, v9
	v_sub_u32_e32 v9, v5, v7
	v_mov_b32_e32 v12, s29
	v_sub_co_u32_e32 v6, vcc, v11, v6
	v_subb_co_u32_e64 v9, s[0:1], v9, v12, vcc
	v_subrev_co_u32_e64 v11, s[0:1], s28, v6
	v_subbrev_co_u32_e64 v9, s[0:1], 0, v9, s[0:1]
	v_cmp_le_u32_e64 s[0:1], s29, v9
	v_cndmask_b32_e64 v12, 0, -1, s[0:1]
	v_cmp_le_u32_e64 s[0:1], s28, v11
	v_cndmask_b32_e64 v11, 0, -1, s[0:1]
	v_cmp_eq_u32_e64 s[0:1], s29, v9
	v_cndmask_b32_e64 v9, v12, v11, s[0:1]
	v_add_co_u32_e64 v11, s[0:1], 2, v3
	v_subb_co_u32_e32 v5, vcc, v5, v7, vcc
	v_addc_co_u32_e64 v12, s[0:1], 0, v8, s[0:1]
	v_cmp_le_u32_e32 vcc, s29, v5
	v_add_co_u32_e64 v13, s[0:1], 1, v3
	v_cndmask_b32_e64 v7, 0, -1, vcc
	v_cmp_le_u32_e32 vcc, s28, v6
	v_addc_co_u32_e64 v14, s[0:1], 0, v8, s[0:1]
	v_cndmask_b32_e64 v6, 0, -1, vcc
	v_cmp_eq_u32_e32 vcc, s29, v5
	v_cmp_ne_u32_e64 s[0:1], 0, v9
	v_cndmask_b32_e32 v5, v7, v6, vcc
	v_cmp_ne_u32_e32 vcc, 0, v5
	v_cndmask_b32_e64 v6, v13, v11, s[0:1]
	v_cndmask_b32_e64 v9, v14, v12, s[0:1]
	v_cndmask_b32_e32 v3, v3, v6, vcc
	v_xor_b32_e32 v6, s26, v10
	v_cndmask_b32_e32 v5, v8, v9, vcc
	v_xor_b32_e32 v7, s27, v10
	v_xor_b32_e32 v3, v3, v6
	;; [unrolled: 1-line block ×3, first 2 shown]
	v_sub_co_u32_e32 v6, vcc, v3, v6
	v_subb_co_u32_e32 v7, vcc, v5, v7, vcc
.LBB96_9:                               ;   in Loop: Header=BB96_3 Depth=1
	s_andn2_saveexec_b64 s[0:1], s[24:25]
	s_cbranch_execz .LBB96_11
; %bb.10:                               ;   in Loop: Header=BB96_3 Depth=1
	v_cvt_f32_u32_e32 v3, s41
	s_sub_i32 s16, 0, s41
	v_rcp_iflag_f32_e32 v3, v3
	v_mul_f32_e32 v3, 0x4f7ffffe, v3
	v_cvt_u32_f32_e32 v3, v3
	v_mul_lo_u32 v5, s16, v3
	v_mul_hi_u32 v5, v3, v5
	v_add_u32_e32 v3, v3, v5
	v_mul_hi_u32 v3, v4, v3
	v_mul_lo_u32 v5, v3, s41
	v_sub_u32_e32 v5, v4, v5
	v_add_u32_e32 v6, 1, v3
	v_subrev_u32_e32 v7, s41, v5
	v_cmp_le_u32_e32 vcc, s41, v5
	v_cndmask_b32_e32 v5, v5, v7, vcc
	v_cndmask_b32_e32 v3, v3, v6, vcc
	v_add_u32_e32 v6, 1, v3
	v_cmp_le_u32_e32 vcc, s41, v5
	v_cndmask_b32_e32 v6, v3, v6, vcc
	v_mov_b32_e32 v7, v2
.LBB96_11:                              ;   in Loop: Header=BB96_3 Depth=1
	s_or_b64 exec, exec, s[0:1]
	v_mad_u64_u32 v[8:9], s[0:1], v4, s33, 0
	v_sub_co_u32_e32 v26, vcc, v0, v8
	v_mad_u64_u32 v[8:9], s[0:1], v6, s41, 0
	v_sub_co_u32_e32 v25, vcc, v4, v8
	v_sub_u32_e32 v4, v26, v25
	v_ashrrev_i32_e32 v5, 31, v4
	v_cmp_gt_i64_e32 vcc, s[8:9], v[4:5]
	s_and_saveexec_b64 s[24:25], vcc
	s_cbranch_execz .LBB96_2
; %bb.12:                               ;   in Loop: Header=BB96_3 Depth=1
	s_load_dword s49, s[4:5], 0x0
	s_load_dword s0, s[12:13], 0x0
	s_andn2_b64 vcc, exec, s[6:7]
	s_waitcnt lgkmcnt(0)
	v_mul_lo_u32 v4, s49, v26
	v_mad_u64_u32 v[4:5], s[0:1], s0, v25, v[4:5]
	s_cbranch_vccnz .LBB96_57
; %bb.13:                               ;   in Loop: Header=BB96_3 Depth=1
	s_andn2_b64 vcc, exec, s[18:19]
	s_cbranch_vccnz .LBB96_20
; %bb.14:                               ;   in Loop: Header=BB96_3 Depth=1
	s_mov_b32 s36, s48
	s_mov_b32 s16, s45
	s_branch .LBB96_16
.LBB96_15:                              ;   in Loop: Header=BB96_16 Depth=2
	s_or_b64 exec, exec, s[0:1]
	s_add_u32 s0, s43, s26
	s_addc_u32 s1, s44, s27
	s_load_dword s0, s[0:1], 0x0
	v_mul_lo_u32 v3, v6, s37
	v_sub_u32_e32 v3, v8, v3
	s_add_i32 s16, s16, -1
	s_add_i32 s36, s36, -1
	s_cmp_lg_u32 s36, 0
	s_waitcnt lgkmcnt(0)
	v_mad_u64_u32 v[4:5], s[0:1], s0, v3, v[4:5]
	s_cbranch_scc0 .LBB96_21
.LBB96_16:                              ;   Parent Loop BB96_3 Depth=1
                                        ; =>  This Inner Loop Header: Depth=2
	s_lshl_b64 s[26:27], s[16:17], 2
	s_add_u32 s0, s39, s26
	s_addc_u32 s1, s40, s27
	s_load_dword s37, s[0:1], 0x0
	v_pk_mov_b32 v[8:9], v[6:7], v[6:7] op_sel:[0,1]
                                        ; implicit-def: $vgpr6_vgpr7
	s_waitcnt lgkmcnt(0)
	s_ashr_i32 s0, s37, 31
	v_or_b32_e32 v3, s0, v9
	v_cmp_ne_u64_e32 vcc, 0, v[2:3]
	s_and_saveexec_b64 s[28:29], vcc
	s_xor_b64 s[28:29], exec, s[28:29]
	s_cbranch_execz .LBB96_18
; %bb.17:                               ;   in Loop: Header=BB96_16 Depth=2
	s_add_u32 s34, s37, s0
	s_mov_b32 s30, s0
	s_mov_b32 s31, s0
	s_addc_u32 s35, s0, s0
	s_xor_b64 s[34:35], s[34:35], s[30:31]
	v_cvt_f32_u32_e32 v3, s34
	v_cvt_f32_u32_e32 v5, s35
	s_sub_u32 s0, 0, s34
	s_subb_u32 s1, 0, s35
	v_mac_f32_e32 v3, 0x4f800000, v5
	v_rcp_f32_e32 v3, v3
	v_mul_f32_e32 v3, 0x5f7ffffc, v3
	v_mul_f32_e32 v5, 0x2f800000, v3
	v_trunc_f32_e32 v5, v5
	v_mac_f32_e32 v3, 0xcf800000, v5
	v_cvt_u32_f32_e32 v5, v5
	v_cvt_u32_f32_e32 v3, v3
	v_mul_lo_u32 v6, s0, v5
	v_mul_hi_u32 v10, s0, v3
	v_mul_lo_u32 v7, s1, v3
	v_add_u32_e32 v6, v10, v6
	v_mul_lo_u32 v11, s0, v3
	v_add_u32_e32 v6, v6, v7
	v_mul_lo_u32 v10, v3, v6
	v_mul_hi_u32 v12, v3, v11
	v_mul_hi_u32 v7, v3, v6
	v_add_co_u32_e32 v10, vcc, v12, v10
	v_addc_co_u32_e32 v7, vcc, 0, v7, vcc
	v_mul_hi_u32 v13, v5, v11
	v_mul_lo_u32 v11, v5, v11
	v_add_co_u32_e32 v10, vcc, v10, v11
	v_mul_hi_u32 v12, v5, v6
	v_addc_co_u32_e32 v7, vcc, v7, v13, vcc
	v_addc_co_u32_e32 v10, vcc, 0, v12, vcc
	v_mul_lo_u32 v6, v5, v6
	v_add_co_u32_e32 v6, vcc, v7, v6
	v_addc_co_u32_e32 v7, vcc, 0, v10, vcc
	v_add_co_u32_e32 v3, vcc, v3, v6
	v_addc_co_u32_e32 v5, vcc, v5, v7, vcc
	v_mul_lo_u32 v6, s0, v5
	v_mul_hi_u32 v7, s0, v3
	v_add_u32_e32 v6, v7, v6
	v_mul_lo_u32 v7, s1, v3
	v_add_u32_e32 v6, v6, v7
	v_mul_lo_u32 v10, s0, v3
	v_mul_hi_u32 v11, v5, v10
	v_mul_lo_u32 v12, v5, v10
	v_mul_lo_u32 v14, v3, v6
	v_mul_hi_u32 v10, v3, v10
	v_mul_hi_u32 v13, v3, v6
	v_add_co_u32_e32 v10, vcc, v10, v14
	v_addc_co_u32_e32 v13, vcc, 0, v13, vcc
	v_add_co_u32_e32 v10, vcc, v10, v12
	v_mul_hi_u32 v7, v5, v6
	v_addc_co_u32_e32 v10, vcc, v13, v11, vcc
	v_addc_co_u32_e32 v7, vcc, 0, v7, vcc
	v_mul_lo_u32 v6, v5, v6
	v_add_co_u32_e32 v6, vcc, v10, v6
	v_addc_co_u32_e32 v7, vcc, 0, v7, vcc
	v_add_co_u32_e32 v3, vcc, v3, v6
	v_addc_co_u32_e32 v5, vcc, v5, v7, vcc
	v_ashrrev_i32_e32 v12, 31, v9
	v_add_co_u32_e32 v6, vcc, v8, v12
	v_addc_co_u32_e32 v7, vcc, v9, v12, vcc
	v_xor_b32_e32 v13, v6, v12
	v_xor_b32_e32 v9, v7, v12
	v_mad_u64_u32 v[6:7], s[0:1], v13, v5, 0
	v_mul_hi_u32 v10, v13, v3
	v_add_co_u32_e32 v14, vcc, v10, v6
	v_addc_co_u32_e32 v15, vcc, 0, v7, vcc
	v_mad_u64_u32 v[10:11], s[0:1], v9, v3, 0
	v_add_co_u32_e32 v3, vcc, v14, v10
	v_mad_u64_u32 v[6:7], s[0:1], v9, v5, 0
	v_addc_co_u32_e32 v3, vcc, v15, v11, vcc
	v_addc_co_u32_e32 v5, vcc, 0, v7, vcc
	v_add_co_u32_e32 v3, vcc, v3, v6
	v_addc_co_u32_e32 v5, vcc, 0, v5, vcc
	v_mul_lo_u32 v10, s35, v3
	v_mul_lo_u32 v11, s34, v5
	v_mad_u64_u32 v[6:7], s[0:1], s34, v3, 0
	v_add3_u32 v7, v7, v11, v10
	v_sub_u32_e32 v10, v9, v7
	v_mov_b32_e32 v11, s35
	v_sub_co_u32_e32 v6, vcc, v13, v6
	v_subb_co_u32_e64 v10, s[0:1], v10, v11, vcc
	v_subrev_co_u32_e64 v11, s[0:1], s34, v6
	v_subbrev_co_u32_e64 v10, s[0:1], 0, v10, s[0:1]
	v_cmp_le_u32_e64 s[0:1], s35, v10
	v_cndmask_b32_e64 v13, 0, -1, s[0:1]
	v_cmp_le_u32_e64 s[0:1], s34, v11
	v_cndmask_b32_e64 v11, 0, -1, s[0:1]
	v_cmp_eq_u32_e64 s[0:1], s35, v10
	v_cndmask_b32_e64 v10, v13, v11, s[0:1]
	v_add_co_u32_e64 v11, s[0:1], 2, v3
	v_subb_co_u32_e32 v7, vcc, v9, v7, vcc
	v_addc_co_u32_e64 v13, s[0:1], 0, v5, s[0:1]
	v_cmp_le_u32_e32 vcc, s35, v7
	v_add_co_u32_e64 v14, s[0:1], 1, v3
	v_cndmask_b32_e64 v9, 0, -1, vcc
	v_cmp_le_u32_e32 vcc, s34, v6
	v_addc_co_u32_e64 v15, s[0:1], 0, v5, s[0:1]
	v_cndmask_b32_e64 v6, 0, -1, vcc
	v_cmp_eq_u32_e32 vcc, s35, v7
	v_cmp_ne_u32_e64 s[0:1], 0, v10
	v_cndmask_b32_e32 v6, v9, v6, vcc
	v_cmp_ne_u32_e32 vcc, 0, v6
	v_cndmask_b32_e64 v6, v14, v11, s[0:1]
	v_cndmask_b32_e64 v10, v15, v13, s[0:1]
	v_cndmask_b32_e32 v3, v3, v6, vcc
	v_xor_b32_e32 v6, s30, v12
	v_cndmask_b32_e32 v5, v5, v10, vcc
	v_xor_b32_e32 v7, s31, v12
	v_xor_b32_e32 v3, v3, v6
	;; [unrolled: 1-line block ×3, first 2 shown]
	v_sub_co_u32_e32 v6, vcc, v3, v6
	v_subb_co_u32_e32 v7, vcc, v5, v7, vcc
.LBB96_18:                              ;   in Loop: Header=BB96_16 Depth=2
	s_andn2_saveexec_b64 s[0:1], s[28:29]
	s_cbranch_execz .LBB96_15
; %bb.19:                               ;   in Loop: Header=BB96_16 Depth=2
	v_cvt_f32_u32_e32 v3, s37
	s_sub_i32 s28, 0, s37
	v_rcp_iflag_f32_e32 v3, v3
	v_mul_f32_e32 v3, 0x4f7ffffe, v3
	v_cvt_u32_f32_e32 v3, v3
	v_mul_lo_u32 v5, s28, v3
	v_mul_hi_u32 v5, v3, v5
	v_add_u32_e32 v3, v3, v5
	v_mul_hi_u32 v3, v8, v3
	v_mul_lo_u32 v5, v3, s37
	v_sub_u32_e32 v5, v8, v5
	v_add_u32_e32 v6, 1, v3
	v_subrev_u32_e32 v7, s37, v5
	v_cmp_le_u32_e32 vcc, s37, v5
	v_cndmask_b32_e32 v5, v5, v7, vcc
	v_cndmask_b32_e32 v3, v3, v6, vcc
	v_add_u32_e32 v6, 1, v3
	v_cmp_le_u32_e32 vcc, s37, v5
	v_cndmask_b32_e32 v6, v3, v6, vcc
	v_mov_b32_e32 v7, v2
	s_branch .LBB96_15
.LBB96_20:                              ;   in Loop: Header=BB96_3 Depth=1
	s_mov_b32 s16, s45
.LBB96_21:                              ;   in Loop: Header=BB96_3 Depth=1
	s_andn2_b64 vcc, exec, s[20:21]
	s_cbranch_vccnz .LBB96_57
; %bb.22:                               ;   in Loop: Header=BB96_3 Depth=1
	s_add_i32 s26, s16, -7
.LBB96_23:                              ;   Parent Loop BB96_3 Depth=1
                                        ; =>  This Inner Loop Header: Depth=2
	s_add_i32 s16, s26, 7
	s_lshl_b64 s[28:29], s[16:17], 2
	s_add_u32 s0, s39, s28
	s_addc_u32 s1, s40, s29
	s_load_dword s50, s[0:1], 0x0
                                        ; implicit-def: $vgpr8_vgpr9
	s_waitcnt lgkmcnt(0)
	s_ashr_i32 s0, s50, 31
	v_or_b32_e32 v3, s0, v7
	v_cmp_ne_u64_e32 vcc, 0, v[2:3]
	s_and_saveexec_b64 s[30:31], vcc
	s_xor_b64 s[30:31], exec, s[30:31]
	s_cbranch_execz .LBB96_25
; %bb.24:                               ;   in Loop: Header=BB96_23 Depth=2
	s_add_u32 s36, s50, s0
	s_mov_b32 s34, s0
	s_mov_b32 s35, s0
	s_addc_u32 s37, s0, s0
	s_xor_b64 s[36:37], s[36:37], s[34:35]
	v_cvt_f32_u32_e32 v3, s36
	v_cvt_f32_u32_e32 v5, s37
	s_sub_u32 s0, 0, s36
	s_subb_u32 s1, 0, s37
	v_mac_f32_e32 v3, 0x4f800000, v5
	v_rcp_f32_e32 v3, v3
	v_mul_f32_e32 v3, 0x5f7ffffc, v3
	v_mul_f32_e32 v5, 0x2f800000, v3
	v_trunc_f32_e32 v5, v5
	v_mac_f32_e32 v3, 0xcf800000, v5
	v_cvt_u32_f32_e32 v5, v5
	v_cvt_u32_f32_e32 v3, v3
	v_mul_lo_u32 v8, s0, v5
	v_mul_hi_u32 v10, s0, v3
	v_mul_lo_u32 v9, s1, v3
	v_add_u32_e32 v8, v10, v8
	v_mul_lo_u32 v11, s0, v3
	v_add_u32_e32 v8, v8, v9
	v_mul_lo_u32 v10, v3, v8
	v_mul_hi_u32 v12, v3, v11
	v_mul_hi_u32 v9, v3, v8
	v_add_co_u32_e32 v10, vcc, v12, v10
	v_addc_co_u32_e32 v9, vcc, 0, v9, vcc
	v_mul_hi_u32 v13, v5, v11
	v_mul_lo_u32 v11, v5, v11
	v_add_co_u32_e32 v10, vcc, v10, v11
	v_mul_hi_u32 v12, v5, v8
	v_addc_co_u32_e32 v9, vcc, v9, v13, vcc
	v_addc_co_u32_e32 v10, vcc, 0, v12, vcc
	v_mul_lo_u32 v8, v5, v8
	v_add_co_u32_e32 v8, vcc, v9, v8
	v_addc_co_u32_e32 v9, vcc, 0, v10, vcc
	v_add_co_u32_e32 v3, vcc, v3, v8
	v_addc_co_u32_e32 v5, vcc, v5, v9, vcc
	v_mul_lo_u32 v8, s0, v5
	v_mul_hi_u32 v9, s0, v3
	v_add_u32_e32 v8, v9, v8
	v_mul_lo_u32 v9, s1, v3
	v_add_u32_e32 v8, v8, v9
	v_mul_lo_u32 v10, s0, v3
	v_mul_hi_u32 v11, v5, v10
	v_mul_lo_u32 v12, v5, v10
	v_mul_lo_u32 v14, v3, v8
	v_mul_hi_u32 v10, v3, v10
	v_mul_hi_u32 v13, v3, v8
	v_add_co_u32_e32 v10, vcc, v10, v14
	v_addc_co_u32_e32 v13, vcc, 0, v13, vcc
	v_add_co_u32_e32 v10, vcc, v10, v12
	v_mul_hi_u32 v9, v5, v8
	v_addc_co_u32_e32 v10, vcc, v13, v11, vcc
	v_addc_co_u32_e32 v9, vcc, 0, v9, vcc
	v_mul_lo_u32 v8, v5, v8
	v_add_co_u32_e32 v8, vcc, v10, v8
	v_addc_co_u32_e32 v9, vcc, 0, v9, vcc
	v_add_co_u32_e32 v3, vcc, v3, v8
	v_addc_co_u32_e32 v5, vcc, v5, v9, vcc
	v_ashrrev_i32_e32 v12, 31, v7
	v_add_co_u32_e32 v8, vcc, v6, v12
	v_xor_b32_e32 v13, v8, v12
	v_addc_co_u32_e32 v7, vcc, v7, v12, vcc
	v_mad_u64_u32 v[8:9], s[0:1], v13, v5, 0
	v_mul_hi_u32 v10, v13, v3
	v_xor_b32_e32 v7, v7, v12
	v_add_co_u32_e32 v14, vcc, v10, v8
	v_addc_co_u32_e32 v15, vcc, 0, v9, vcc
	v_mad_u64_u32 v[10:11], s[0:1], v7, v3, 0
	v_add_co_u32_e32 v3, vcc, v14, v10
	v_mad_u64_u32 v[8:9], s[0:1], v7, v5, 0
	v_addc_co_u32_e32 v3, vcc, v15, v11, vcc
	v_addc_co_u32_e32 v5, vcc, 0, v9, vcc
	v_add_co_u32_e32 v3, vcc, v3, v8
	v_addc_co_u32_e32 v5, vcc, 0, v5, vcc
	v_mul_lo_u32 v10, s37, v3
	v_mul_lo_u32 v11, s36, v5
	v_mad_u64_u32 v[8:9], s[0:1], s36, v3, 0
	v_add3_u32 v9, v9, v11, v10
	v_sub_u32_e32 v10, v7, v9
	v_mov_b32_e32 v11, s37
	v_sub_co_u32_e32 v8, vcc, v13, v8
	v_subb_co_u32_e64 v10, s[0:1], v10, v11, vcc
	v_subrev_co_u32_e64 v11, s[0:1], s36, v8
	v_subbrev_co_u32_e64 v10, s[0:1], 0, v10, s[0:1]
	v_cmp_le_u32_e64 s[0:1], s37, v10
	v_cndmask_b32_e64 v13, 0, -1, s[0:1]
	v_cmp_le_u32_e64 s[0:1], s36, v11
	v_cndmask_b32_e64 v11, 0, -1, s[0:1]
	v_cmp_eq_u32_e64 s[0:1], s37, v10
	v_cndmask_b32_e64 v10, v13, v11, s[0:1]
	v_add_co_u32_e64 v11, s[0:1], 2, v3
	v_subb_co_u32_e32 v7, vcc, v7, v9, vcc
	v_addc_co_u32_e64 v13, s[0:1], 0, v5, s[0:1]
	v_cmp_le_u32_e32 vcc, s37, v7
	v_add_co_u32_e64 v14, s[0:1], 1, v3
	v_cndmask_b32_e64 v9, 0, -1, vcc
	v_cmp_le_u32_e32 vcc, s36, v8
	v_addc_co_u32_e64 v15, s[0:1], 0, v5, s[0:1]
	v_cndmask_b32_e64 v8, 0, -1, vcc
	v_cmp_eq_u32_e32 vcc, s37, v7
	v_cmp_ne_u32_e64 s[0:1], 0, v10
	v_cndmask_b32_e32 v7, v9, v8, vcc
	v_cmp_ne_u32_e32 vcc, 0, v7
	v_cndmask_b32_e64 v7, v14, v11, s[0:1]
	v_cndmask_b32_e64 v10, v15, v13, s[0:1]
	v_cndmask_b32_e32 v3, v3, v7, vcc
	v_xor_b32_e32 v8, s34, v12
	v_cndmask_b32_e32 v5, v5, v10, vcc
	v_xor_b32_e32 v7, s35, v12
	v_xor_b32_e32 v3, v3, v8
	v_xor_b32_e32 v5, v5, v7
	v_sub_co_u32_e32 v8, vcc, v3, v8
	v_subb_co_u32_e32 v9, vcc, v5, v7, vcc
.LBB96_25:                              ;   in Loop: Header=BB96_23 Depth=2
	s_andn2_saveexec_b64 s[0:1], s[30:31]
	s_cbranch_execz .LBB96_27
; %bb.26:                               ;   in Loop: Header=BB96_23 Depth=2
	v_cvt_f32_u32_e32 v3, s50
	s_sub_i32 s16, 0, s50
	v_mov_b32_e32 v9, v2
	v_rcp_iflag_f32_e32 v3, v3
	v_mul_f32_e32 v3, 0x4f7ffffe, v3
	v_cvt_u32_f32_e32 v3, v3
	v_mul_lo_u32 v5, s16, v3
	v_mul_hi_u32 v5, v3, v5
	v_add_u32_e32 v3, v3, v5
	v_mul_hi_u32 v3, v6, v3
	v_mul_lo_u32 v5, v3, s50
	v_sub_u32_e32 v5, v6, v5
	v_add_u32_e32 v7, 1, v3
	v_subrev_u32_e32 v8, s50, v5
	v_cmp_le_u32_e32 vcc, s50, v5
	v_cndmask_b32_e32 v5, v5, v8, vcc
	v_cndmask_b32_e32 v3, v3, v7, vcc
	v_add_u32_e32 v7, 1, v3
	v_cmp_le_u32_e32 vcc, s50, v5
	v_cndmask_b32_e32 v8, v3, v7, vcc
.LBB96_27:                              ;   in Loop: Header=BB96_23 Depth=2
	s_or_b64 exec, exec, s[0:1]
	s_add_u32 s0, s43, s28
	s_addc_u32 s1, s44, s29
	s_add_i32 s16, s26, 6
	s_lshl_b64 s[28:29], s[16:17], 2
	s_add_u32 s30, s39, s28
	s_addc_u32 s31, s40, s29
	s_load_dword s51, s[30:31], 0x0
	s_load_dword s52, s[0:1], 0x0
                                        ; implicit-def: $vgpr10_vgpr11
	s_waitcnt lgkmcnt(0)
	s_ashr_i32 s0, s51, 31
	v_or_b32_e32 v3, s0, v9
	v_cmp_ne_u64_e32 vcc, 0, v[2:3]
	s_and_saveexec_b64 s[30:31], vcc
	s_xor_b64 s[30:31], exec, s[30:31]
	s_cbranch_execz .LBB96_29
; %bb.28:                               ;   in Loop: Header=BB96_23 Depth=2
	s_add_u32 s36, s51, s0
	s_mov_b32 s34, s0
	s_mov_b32 s35, s0
	s_addc_u32 s37, s0, s0
	s_xor_b64 s[36:37], s[36:37], s[34:35]
	v_cvt_f32_u32_e32 v3, s36
	v_cvt_f32_u32_e32 v5, s37
	s_sub_u32 s0, 0, s36
	s_subb_u32 s1, 0, s37
	v_mac_f32_e32 v3, 0x4f800000, v5
	v_rcp_f32_e32 v3, v3
	v_mul_f32_e32 v3, 0x5f7ffffc, v3
	v_mul_f32_e32 v5, 0x2f800000, v3
	v_trunc_f32_e32 v5, v5
	v_mac_f32_e32 v3, 0xcf800000, v5
	v_cvt_u32_f32_e32 v5, v5
	v_cvt_u32_f32_e32 v3, v3
	v_mul_lo_u32 v7, s0, v5
	v_mul_hi_u32 v11, s0, v3
	v_mul_lo_u32 v10, s1, v3
	v_add_u32_e32 v7, v11, v7
	v_mul_lo_u32 v12, s0, v3
	v_add_u32_e32 v7, v7, v10
	v_mul_lo_u32 v11, v3, v7
	v_mul_hi_u32 v13, v3, v12
	v_mul_hi_u32 v10, v3, v7
	v_add_co_u32_e32 v11, vcc, v13, v11
	v_addc_co_u32_e32 v10, vcc, 0, v10, vcc
	v_mul_hi_u32 v14, v5, v12
	v_mul_lo_u32 v12, v5, v12
	v_add_co_u32_e32 v11, vcc, v11, v12
	v_mul_hi_u32 v13, v5, v7
	v_addc_co_u32_e32 v10, vcc, v10, v14, vcc
	v_addc_co_u32_e32 v11, vcc, 0, v13, vcc
	v_mul_lo_u32 v7, v5, v7
	v_add_co_u32_e32 v7, vcc, v10, v7
	v_addc_co_u32_e32 v10, vcc, 0, v11, vcc
	v_add_co_u32_e32 v3, vcc, v3, v7
	v_addc_co_u32_e32 v5, vcc, v5, v10, vcc
	v_mul_lo_u32 v7, s0, v5
	v_mul_hi_u32 v10, s0, v3
	v_add_u32_e32 v7, v10, v7
	v_mul_lo_u32 v10, s1, v3
	v_add_u32_e32 v7, v7, v10
	v_mul_lo_u32 v11, s0, v3
	v_mul_hi_u32 v12, v5, v11
	v_mul_lo_u32 v13, v5, v11
	v_mul_lo_u32 v15, v3, v7
	v_mul_hi_u32 v11, v3, v11
	v_mul_hi_u32 v14, v3, v7
	v_add_co_u32_e32 v11, vcc, v11, v15
	v_addc_co_u32_e32 v14, vcc, 0, v14, vcc
	v_add_co_u32_e32 v11, vcc, v11, v13
	v_mul_hi_u32 v10, v5, v7
	v_addc_co_u32_e32 v11, vcc, v14, v12, vcc
	v_addc_co_u32_e32 v10, vcc, 0, v10, vcc
	v_mul_lo_u32 v7, v5, v7
	v_add_co_u32_e32 v7, vcc, v11, v7
	v_addc_co_u32_e32 v10, vcc, 0, v10, vcc
	v_add_co_u32_e32 v3, vcc, v3, v7
	v_addc_co_u32_e32 v5, vcc, v5, v10, vcc
	v_ashrrev_i32_e32 v7, 31, v9
	v_add_co_u32_e32 v10, vcc, v8, v7
	v_xor_b32_e32 v14, v10, v7
	v_addc_co_u32_e32 v9, vcc, v9, v7, vcc
	v_mad_u64_u32 v[10:11], s[0:1], v14, v5, 0
	v_mul_hi_u32 v12, v14, v3
	v_xor_b32_e32 v9, v9, v7
	v_add_co_u32_e32 v15, vcc, v12, v10
	v_addc_co_u32_e32 v16, vcc, 0, v11, vcc
	v_mad_u64_u32 v[12:13], s[0:1], v9, v3, 0
	v_add_co_u32_e32 v3, vcc, v15, v12
	v_mad_u64_u32 v[10:11], s[0:1], v9, v5, 0
	v_addc_co_u32_e32 v3, vcc, v16, v13, vcc
	v_addc_co_u32_e32 v5, vcc, 0, v11, vcc
	v_add_co_u32_e32 v3, vcc, v3, v10
	v_addc_co_u32_e32 v5, vcc, 0, v5, vcc
	v_mul_lo_u32 v12, s37, v3
	v_mul_lo_u32 v13, s36, v5
	v_mad_u64_u32 v[10:11], s[0:1], s36, v3, 0
	v_add3_u32 v11, v11, v13, v12
	v_sub_u32_e32 v12, v9, v11
	v_mov_b32_e32 v13, s37
	v_sub_co_u32_e32 v10, vcc, v14, v10
	v_subb_co_u32_e64 v12, s[0:1], v12, v13, vcc
	v_subrev_co_u32_e64 v13, s[0:1], s36, v10
	v_subbrev_co_u32_e64 v12, s[0:1], 0, v12, s[0:1]
	v_cmp_le_u32_e64 s[0:1], s37, v12
	v_cndmask_b32_e64 v14, 0, -1, s[0:1]
	v_cmp_le_u32_e64 s[0:1], s36, v13
	v_cndmask_b32_e64 v13, 0, -1, s[0:1]
	v_cmp_eq_u32_e64 s[0:1], s37, v12
	v_cndmask_b32_e64 v12, v14, v13, s[0:1]
	v_add_co_u32_e64 v13, s[0:1], 2, v3
	v_subb_co_u32_e32 v9, vcc, v9, v11, vcc
	v_addc_co_u32_e64 v14, s[0:1], 0, v5, s[0:1]
	v_cmp_le_u32_e32 vcc, s37, v9
	v_add_co_u32_e64 v15, s[0:1], 1, v3
	v_cndmask_b32_e64 v11, 0, -1, vcc
	v_cmp_le_u32_e32 vcc, s36, v10
	v_addc_co_u32_e64 v16, s[0:1], 0, v5, s[0:1]
	v_cndmask_b32_e64 v10, 0, -1, vcc
	v_cmp_eq_u32_e32 vcc, s37, v9
	v_cmp_ne_u32_e64 s[0:1], 0, v12
	v_cndmask_b32_e32 v9, v11, v10, vcc
	v_cmp_ne_u32_e32 vcc, 0, v9
	v_cndmask_b32_e64 v9, v15, v13, s[0:1]
	v_cndmask_b32_e64 v12, v16, v14, s[0:1]
	v_cndmask_b32_e32 v3, v3, v9, vcc
	v_xor_b32_e32 v9, s35, v7
	v_xor_b32_e32 v7, s34, v7
	v_cndmask_b32_e32 v5, v5, v12, vcc
	v_xor_b32_e32 v3, v3, v7
	v_xor_b32_e32 v5, v5, v9
	v_sub_co_u32_e32 v10, vcc, v3, v7
	v_subb_co_u32_e32 v11, vcc, v5, v9, vcc
.LBB96_29:                              ;   in Loop: Header=BB96_23 Depth=2
	s_andn2_saveexec_b64 s[0:1], s[30:31]
	s_cbranch_execz .LBB96_31
; %bb.30:                               ;   in Loop: Header=BB96_23 Depth=2
	v_cvt_f32_u32_e32 v3, s51
	s_sub_i32 s16, 0, s51
	v_mov_b32_e32 v11, v2
	v_rcp_iflag_f32_e32 v3, v3
	v_mul_f32_e32 v3, 0x4f7ffffe, v3
	v_cvt_u32_f32_e32 v3, v3
	v_mul_lo_u32 v5, s16, v3
	v_mul_hi_u32 v5, v3, v5
	v_add_u32_e32 v3, v3, v5
	v_mul_hi_u32 v3, v8, v3
	v_mul_lo_u32 v5, v3, s51
	v_sub_u32_e32 v5, v8, v5
	v_add_u32_e32 v7, 1, v3
	v_subrev_u32_e32 v9, s51, v5
	v_cmp_le_u32_e32 vcc, s51, v5
	v_cndmask_b32_e32 v5, v5, v9, vcc
	v_cndmask_b32_e32 v3, v3, v7, vcc
	v_add_u32_e32 v7, 1, v3
	v_cmp_le_u32_e32 vcc, s51, v5
	v_cndmask_b32_e32 v10, v3, v7, vcc
.LBB96_31:                              ;   in Loop: Header=BB96_23 Depth=2
	s_or_b64 exec, exec, s[0:1]
	s_add_u32 s0, s43, s28
	s_addc_u32 s1, s44, s29
	s_add_i32 s16, s26, 5
	s_lshl_b64 s[28:29], s[16:17], 2
	s_add_u32 s30, s39, s28
	s_addc_u32 s31, s40, s29
	s_load_dword s53, s[30:31], 0x0
	s_load_dword s54, s[0:1], 0x0
                                        ; implicit-def: $vgpr12_vgpr13
	s_waitcnt lgkmcnt(0)
	s_ashr_i32 s0, s53, 31
	v_or_b32_e32 v3, s0, v11
	v_cmp_ne_u64_e32 vcc, 0, v[2:3]
	s_and_saveexec_b64 s[30:31], vcc
	s_xor_b64 s[30:31], exec, s[30:31]
	s_cbranch_execz .LBB96_33
; %bb.32:                               ;   in Loop: Header=BB96_23 Depth=2
	s_add_u32 s36, s53, s0
	s_mov_b32 s34, s0
	s_mov_b32 s35, s0
	s_addc_u32 s37, s0, s0
	s_xor_b64 s[36:37], s[36:37], s[34:35]
	v_cvt_f32_u32_e32 v3, s36
	v_cvt_f32_u32_e32 v5, s37
	s_sub_u32 s0, 0, s36
	s_subb_u32 s1, 0, s37
	v_mac_f32_e32 v3, 0x4f800000, v5
	v_rcp_f32_e32 v3, v3
	v_mul_f32_e32 v3, 0x5f7ffffc, v3
	v_mul_f32_e32 v5, 0x2f800000, v3
	v_trunc_f32_e32 v5, v5
	v_mac_f32_e32 v3, 0xcf800000, v5
	v_cvt_u32_f32_e32 v5, v5
	v_cvt_u32_f32_e32 v3, v3
	v_mul_lo_u32 v7, s0, v5
	v_mul_hi_u32 v12, s0, v3
	v_mul_lo_u32 v9, s1, v3
	v_add_u32_e32 v7, v12, v7
	v_mul_lo_u32 v13, s0, v3
	v_add_u32_e32 v7, v7, v9
	v_mul_lo_u32 v12, v3, v7
	v_mul_hi_u32 v14, v3, v13
	v_mul_hi_u32 v9, v3, v7
	v_add_co_u32_e32 v12, vcc, v14, v12
	v_addc_co_u32_e32 v9, vcc, 0, v9, vcc
	v_mul_hi_u32 v15, v5, v13
	v_mul_lo_u32 v13, v5, v13
	v_add_co_u32_e32 v12, vcc, v12, v13
	v_mul_hi_u32 v14, v5, v7
	v_addc_co_u32_e32 v9, vcc, v9, v15, vcc
	v_addc_co_u32_e32 v12, vcc, 0, v14, vcc
	v_mul_lo_u32 v7, v5, v7
	v_add_co_u32_e32 v7, vcc, v9, v7
	v_addc_co_u32_e32 v9, vcc, 0, v12, vcc
	v_add_co_u32_e32 v3, vcc, v3, v7
	v_addc_co_u32_e32 v5, vcc, v5, v9, vcc
	v_mul_lo_u32 v7, s0, v5
	v_mul_hi_u32 v9, s0, v3
	v_add_u32_e32 v7, v9, v7
	v_mul_lo_u32 v9, s1, v3
	v_add_u32_e32 v7, v7, v9
	v_mul_lo_u32 v12, s0, v3
	v_mul_hi_u32 v13, v5, v12
	v_mul_lo_u32 v14, v5, v12
	v_mul_lo_u32 v16, v3, v7
	v_mul_hi_u32 v12, v3, v12
	v_mul_hi_u32 v15, v3, v7
	v_add_co_u32_e32 v12, vcc, v12, v16
	v_addc_co_u32_e32 v15, vcc, 0, v15, vcc
	v_add_co_u32_e32 v12, vcc, v12, v14
	v_mul_hi_u32 v9, v5, v7
	v_addc_co_u32_e32 v12, vcc, v15, v13, vcc
	v_addc_co_u32_e32 v9, vcc, 0, v9, vcc
	v_mul_lo_u32 v7, v5, v7
	v_add_co_u32_e32 v7, vcc, v12, v7
	v_addc_co_u32_e32 v9, vcc, 0, v9, vcc
	v_add_co_u32_e32 v3, vcc, v3, v7
	v_addc_co_u32_e32 v5, vcc, v5, v9, vcc
	v_ashrrev_i32_e32 v7, 31, v11
	v_add_co_u32_e32 v9, vcc, v10, v7
	v_xor_b32_e32 v9, v9, v7
	v_addc_co_u32_e32 v11, vcc, v11, v7, vcc
	v_mad_u64_u32 v[12:13], s[0:1], v9, v5, 0
	v_mul_hi_u32 v14, v9, v3
	v_xor_b32_e32 v11, v11, v7
	v_add_co_u32_e32 v16, vcc, v14, v12
	v_addc_co_u32_e32 v17, vcc, 0, v13, vcc
	v_mad_u64_u32 v[14:15], s[0:1], v11, v3, 0
	v_add_co_u32_e32 v3, vcc, v16, v14
	v_mad_u64_u32 v[12:13], s[0:1], v11, v5, 0
	v_addc_co_u32_e32 v3, vcc, v17, v15, vcc
	v_addc_co_u32_e32 v5, vcc, 0, v13, vcc
	v_add_co_u32_e32 v3, vcc, v3, v12
	v_addc_co_u32_e32 v5, vcc, 0, v5, vcc
	v_mul_lo_u32 v14, s37, v3
	v_mul_lo_u32 v15, s36, v5
	v_mad_u64_u32 v[12:13], s[0:1], s36, v3, 0
	v_add3_u32 v13, v13, v15, v14
	v_sub_u32_e32 v14, v11, v13
	v_mov_b32_e32 v15, s37
	v_sub_co_u32_e32 v9, vcc, v9, v12
	v_subb_co_u32_e64 v12, s[0:1], v14, v15, vcc
	v_subrev_co_u32_e64 v14, s[0:1], s36, v9
	v_subbrev_co_u32_e64 v12, s[0:1], 0, v12, s[0:1]
	v_cmp_le_u32_e64 s[0:1], s37, v12
	v_cndmask_b32_e64 v15, 0, -1, s[0:1]
	v_cmp_le_u32_e64 s[0:1], s36, v14
	v_cndmask_b32_e64 v14, 0, -1, s[0:1]
	v_cmp_eq_u32_e64 s[0:1], s37, v12
	v_cndmask_b32_e64 v12, v15, v14, s[0:1]
	v_add_co_u32_e64 v14, s[0:1], 2, v3
	v_subb_co_u32_e32 v11, vcc, v11, v13, vcc
	v_addc_co_u32_e64 v15, s[0:1], 0, v5, s[0:1]
	v_cmp_le_u32_e32 vcc, s37, v11
	v_add_co_u32_e64 v16, s[0:1], 1, v3
	v_cndmask_b32_e64 v13, 0, -1, vcc
	v_cmp_le_u32_e32 vcc, s36, v9
	v_addc_co_u32_e64 v17, s[0:1], 0, v5, s[0:1]
	v_cndmask_b32_e64 v9, 0, -1, vcc
	v_cmp_eq_u32_e32 vcc, s37, v11
	v_cmp_ne_u32_e64 s[0:1], 0, v12
	v_cndmask_b32_e32 v9, v13, v9, vcc
	v_cmp_ne_u32_e32 vcc, 0, v9
	v_cndmask_b32_e64 v9, v16, v14, s[0:1]
	v_cndmask_b32_e64 v12, v17, v15, s[0:1]
	v_cndmask_b32_e32 v3, v3, v9, vcc
	v_xor_b32_e32 v9, s35, v7
	v_xor_b32_e32 v7, s34, v7
	v_cndmask_b32_e32 v5, v5, v12, vcc
	v_xor_b32_e32 v3, v3, v7
	v_xor_b32_e32 v5, v5, v9
	v_sub_co_u32_e32 v12, vcc, v3, v7
	v_subb_co_u32_e32 v13, vcc, v5, v9, vcc
.LBB96_33:                              ;   in Loop: Header=BB96_23 Depth=2
	s_andn2_saveexec_b64 s[0:1], s[30:31]
	s_cbranch_execz .LBB96_35
; %bb.34:                               ;   in Loop: Header=BB96_23 Depth=2
	v_cvt_f32_u32_e32 v3, s53
	s_sub_i32 s16, 0, s53
	v_mov_b32_e32 v13, v2
	v_rcp_iflag_f32_e32 v3, v3
	v_mul_f32_e32 v3, 0x4f7ffffe, v3
	v_cvt_u32_f32_e32 v3, v3
	v_mul_lo_u32 v5, s16, v3
	v_mul_hi_u32 v5, v3, v5
	v_add_u32_e32 v3, v3, v5
	v_mul_hi_u32 v3, v10, v3
	v_mul_lo_u32 v5, v3, s53
	v_sub_u32_e32 v5, v10, v5
	v_add_u32_e32 v7, 1, v3
	v_subrev_u32_e32 v9, s53, v5
	v_cmp_le_u32_e32 vcc, s53, v5
	v_cndmask_b32_e32 v5, v5, v9, vcc
	v_cndmask_b32_e32 v3, v3, v7, vcc
	v_add_u32_e32 v7, 1, v3
	v_cmp_le_u32_e32 vcc, s53, v5
	v_cndmask_b32_e32 v12, v3, v7, vcc
.LBB96_35:                              ;   in Loop: Header=BB96_23 Depth=2
	s_or_b64 exec, exec, s[0:1]
	s_add_u32 s0, s43, s28
	s_addc_u32 s1, s44, s29
	s_add_i32 s16, s26, 4
	s_lshl_b64 s[28:29], s[16:17], 2
	s_add_u32 s30, s39, s28
	s_addc_u32 s31, s40, s29
	s_load_dword s55, s[30:31], 0x0
	s_load_dword s56, s[0:1], 0x0
                                        ; implicit-def: $vgpr14_vgpr15
	s_waitcnt lgkmcnt(0)
	s_ashr_i32 s0, s55, 31
	v_or_b32_e32 v3, s0, v13
	v_cmp_ne_u64_e32 vcc, 0, v[2:3]
	s_and_saveexec_b64 s[30:31], vcc
	s_xor_b64 s[30:31], exec, s[30:31]
	s_cbranch_execz .LBB96_37
; %bb.36:                               ;   in Loop: Header=BB96_23 Depth=2
	s_add_u32 s36, s55, s0
	s_mov_b32 s34, s0
	s_mov_b32 s35, s0
	s_addc_u32 s37, s0, s0
	s_xor_b64 s[36:37], s[36:37], s[34:35]
	v_cvt_f32_u32_e32 v3, s36
	v_cvt_f32_u32_e32 v5, s37
	s_sub_u32 s0, 0, s36
	s_subb_u32 s1, 0, s37
	v_mac_f32_e32 v3, 0x4f800000, v5
	v_rcp_f32_e32 v3, v3
	v_mul_f32_e32 v3, 0x5f7ffffc, v3
	v_mul_f32_e32 v5, 0x2f800000, v3
	v_trunc_f32_e32 v5, v5
	v_mac_f32_e32 v3, 0xcf800000, v5
	v_cvt_u32_f32_e32 v5, v5
	v_cvt_u32_f32_e32 v3, v3
	v_mul_lo_u32 v7, s0, v5
	v_mul_hi_u32 v11, s0, v3
	v_mul_lo_u32 v9, s1, v3
	v_add_u32_e32 v7, v11, v7
	v_mul_lo_u32 v14, s0, v3
	v_add_u32_e32 v7, v7, v9
	v_mul_lo_u32 v11, v3, v7
	v_mul_hi_u32 v15, v3, v14
	v_mul_hi_u32 v9, v3, v7
	v_add_co_u32_e32 v11, vcc, v15, v11
	v_addc_co_u32_e32 v9, vcc, 0, v9, vcc
	v_mul_hi_u32 v16, v5, v14
	v_mul_lo_u32 v14, v5, v14
	v_add_co_u32_e32 v11, vcc, v11, v14
	v_mul_hi_u32 v15, v5, v7
	v_addc_co_u32_e32 v9, vcc, v9, v16, vcc
	v_addc_co_u32_e32 v11, vcc, 0, v15, vcc
	v_mul_lo_u32 v7, v5, v7
	v_add_co_u32_e32 v7, vcc, v9, v7
	v_addc_co_u32_e32 v9, vcc, 0, v11, vcc
	v_add_co_u32_e32 v3, vcc, v3, v7
	v_addc_co_u32_e32 v5, vcc, v5, v9, vcc
	v_mul_lo_u32 v7, s0, v5
	v_mul_hi_u32 v9, s0, v3
	v_add_u32_e32 v7, v9, v7
	v_mul_lo_u32 v9, s1, v3
	v_add_u32_e32 v7, v7, v9
	v_mul_lo_u32 v11, s0, v3
	v_mul_hi_u32 v14, v5, v11
	v_mul_lo_u32 v15, v5, v11
	v_mul_lo_u32 v17, v3, v7
	v_mul_hi_u32 v11, v3, v11
	v_mul_hi_u32 v16, v3, v7
	v_add_co_u32_e32 v11, vcc, v11, v17
	v_addc_co_u32_e32 v16, vcc, 0, v16, vcc
	v_add_co_u32_e32 v11, vcc, v11, v15
	v_mul_hi_u32 v9, v5, v7
	v_addc_co_u32_e32 v11, vcc, v16, v14, vcc
	v_addc_co_u32_e32 v9, vcc, 0, v9, vcc
	v_mul_lo_u32 v7, v5, v7
	v_add_co_u32_e32 v7, vcc, v11, v7
	v_addc_co_u32_e32 v9, vcc, 0, v9, vcc
	v_add_co_u32_e32 v3, vcc, v3, v7
	v_addc_co_u32_e32 v5, vcc, v5, v9, vcc
	v_ashrrev_i32_e32 v7, 31, v13
	v_add_co_u32_e32 v9, vcc, v12, v7
	v_xor_b32_e32 v9, v9, v7
	v_addc_co_u32_e32 v11, vcc, v13, v7, vcc
	v_mad_u64_u32 v[14:15], s[0:1], v9, v5, 0
	v_mul_hi_u32 v13, v9, v3
	v_xor_b32_e32 v11, v11, v7
	v_add_co_u32_e32 v13, vcc, v13, v14
	v_addc_co_u32_e32 v18, vcc, 0, v15, vcc
	v_mad_u64_u32 v[16:17], s[0:1], v11, v3, 0
	v_add_co_u32_e32 v3, vcc, v13, v16
	v_mad_u64_u32 v[14:15], s[0:1], v11, v5, 0
	v_addc_co_u32_e32 v3, vcc, v18, v17, vcc
	v_addc_co_u32_e32 v5, vcc, 0, v15, vcc
	v_add_co_u32_e32 v3, vcc, v3, v14
	v_addc_co_u32_e32 v5, vcc, 0, v5, vcc
	v_mul_lo_u32 v13, s37, v3
	v_mul_lo_u32 v16, s36, v5
	v_mad_u64_u32 v[14:15], s[0:1], s36, v3, 0
	v_add3_u32 v13, v15, v16, v13
	v_sub_u32_e32 v15, v11, v13
	v_mov_b32_e32 v16, s37
	v_sub_co_u32_e32 v9, vcc, v9, v14
	v_subb_co_u32_e64 v14, s[0:1], v15, v16, vcc
	v_subrev_co_u32_e64 v15, s[0:1], s36, v9
	v_subbrev_co_u32_e64 v14, s[0:1], 0, v14, s[0:1]
	v_cmp_le_u32_e64 s[0:1], s37, v14
	v_cndmask_b32_e64 v16, 0, -1, s[0:1]
	v_cmp_le_u32_e64 s[0:1], s36, v15
	v_cndmask_b32_e64 v15, 0, -1, s[0:1]
	v_cmp_eq_u32_e64 s[0:1], s37, v14
	v_cndmask_b32_e64 v14, v16, v15, s[0:1]
	v_add_co_u32_e64 v15, s[0:1], 2, v3
	v_subb_co_u32_e32 v11, vcc, v11, v13, vcc
	v_addc_co_u32_e64 v16, s[0:1], 0, v5, s[0:1]
	v_cmp_le_u32_e32 vcc, s37, v11
	v_add_co_u32_e64 v17, s[0:1], 1, v3
	v_cndmask_b32_e64 v13, 0, -1, vcc
	v_cmp_le_u32_e32 vcc, s36, v9
	v_addc_co_u32_e64 v18, s[0:1], 0, v5, s[0:1]
	v_cndmask_b32_e64 v9, 0, -1, vcc
	v_cmp_eq_u32_e32 vcc, s37, v11
	v_cmp_ne_u32_e64 s[0:1], 0, v14
	v_cndmask_b32_e32 v9, v13, v9, vcc
	v_cmp_ne_u32_e32 vcc, 0, v9
	v_cndmask_b32_e64 v9, v17, v15, s[0:1]
	v_cndmask_b32_e64 v14, v18, v16, s[0:1]
	v_cndmask_b32_e32 v3, v3, v9, vcc
	v_xor_b32_e32 v9, s35, v7
	v_xor_b32_e32 v7, s34, v7
	v_cndmask_b32_e32 v5, v5, v14, vcc
	v_xor_b32_e32 v3, v3, v7
	v_xor_b32_e32 v5, v5, v9
	v_sub_co_u32_e32 v14, vcc, v3, v7
	v_subb_co_u32_e32 v15, vcc, v5, v9, vcc
.LBB96_37:                              ;   in Loop: Header=BB96_23 Depth=2
	s_andn2_saveexec_b64 s[0:1], s[30:31]
	s_cbranch_execz .LBB96_39
; %bb.38:                               ;   in Loop: Header=BB96_23 Depth=2
	v_cvt_f32_u32_e32 v3, s55
	s_sub_i32 s16, 0, s55
	v_mov_b32_e32 v15, v2
	v_rcp_iflag_f32_e32 v3, v3
	v_mul_f32_e32 v3, 0x4f7ffffe, v3
	v_cvt_u32_f32_e32 v3, v3
	v_mul_lo_u32 v5, s16, v3
	v_mul_hi_u32 v5, v3, v5
	v_add_u32_e32 v3, v3, v5
	v_mul_hi_u32 v3, v12, v3
	v_mul_lo_u32 v5, v3, s55
	v_sub_u32_e32 v5, v12, v5
	v_add_u32_e32 v7, 1, v3
	v_subrev_u32_e32 v9, s55, v5
	v_cmp_le_u32_e32 vcc, s55, v5
	v_cndmask_b32_e32 v5, v5, v9, vcc
	v_cndmask_b32_e32 v3, v3, v7, vcc
	v_add_u32_e32 v7, 1, v3
	v_cmp_le_u32_e32 vcc, s55, v5
	v_cndmask_b32_e32 v14, v3, v7, vcc
.LBB96_39:                              ;   in Loop: Header=BB96_23 Depth=2
	s_or_b64 exec, exec, s[0:1]
	s_add_u32 s0, s43, s28
	s_addc_u32 s1, s44, s29
	s_add_i32 s16, s26, 3
	s_lshl_b64 s[28:29], s[16:17], 2
	s_add_u32 s30, s39, s28
	s_addc_u32 s31, s40, s29
	s_load_dword s57, s[30:31], 0x0
	s_load_dword s58, s[0:1], 0x0
                                        ; implicit-def: $vgpr16_vgpr17
	s_waitcnt lgkmcnt(0)
	s_ashr_i32 s0, s57, 31
	v_or_b32_e32 v3, s0, v15
	v_cmp_ne_u64_e32 vcc, 0, v[2:3]
	s_and_saveexec_b64 s[30:31], vcc
	s_xor_b64 s[30:31], exec, s[30:31]
	s_cbranch_execz .LBB96_41
; %bb.40:                               ;   in Loop: Header=BB96_23 Depth=2
	s_add_u32 s36, s57, s0
	s_mov_b32 s34, s0
	s_mov_b32 s35, s0
	s_addc_u32 s37, s0, s0
	s_xor_b64 s[36:37], s[36:37], s[34:35]
	v_cvt_f32_u32_e32 v3, s36
	v_cvt_f32_u32_e32 v5, s37
	s_sub_u32 s0, 0, s36
	s_subb_u32 s1, 0, s37
	v_mac_f32_e32 v3, 0x4f800000, v5
	v_rcp_f32_e32 v3, v3
	v_mul_f32_e32 v3, 0x5f7ffffc, v3
	v_mul_f32_e32 v5, 0x2f800000, v3
	v_trunc_f32_e32 v5, v5
	v_mac_f32_e32 v3, 0xcf800000, v5
	v_cvt_u32_f32_e32 v5, v5
	v_cvt_u32_f32_e32 v3, v3
	v_mul_lo_u32 v7, s0, v5
	v_mul_hi_u32 v11, s0, v3
	v_mul_lo_u32 v9, s1, v3
	v_add_u32_e32 v7, v11, v7
	v_mul_lo_u32 v13, s0, v3
	v_add_u32_e32 v7, v7, v9
	v_mul_lo_u32 v11, v3, v7
	v_mul_hi_u32 v16, v3, v13
	v_mul_hi_u32 v9, v3, v7
	v_add_co_u32_e32 v11, vcc, v16, v11
	v_addc_co_u32_e32 v9, vcc, 0, v9, vcc
	v_mul_hi_u32 v17, v5, v13
	v_mul_lo_u32 v13, v5, v13
	v_add_co_u32_e32 v11, vcc, v11, v13
	v_mul_hi_u32 v16, v5, v7
	v_addc_co_u32_e32 v9, vcc, v9, v17, vcc
	v_addc_co_u32_e32 v11, vcc, 0, v16, vcc
	v_mul_lo_u32 v7, v5, v7
	v_add_co_u32_e32 v7, vcc, v9, v7
	v_addc_co_u32_e32 v9, vcc, 0, v11, vcc
	v_add_co_u32_e32 v3, vcc, v3, v7
	v_addc_co_u32_e32 v5, vcc, v5, v9, vcc
	v_mul_lo_u32 v7, s0, v5
	v_mul_hi_u32 v9, s0, v3
	v_add_u32_e32 v7, v9, v7
	v_mul_lo_u32 v9, s1, v3
	v_add_u32_e32 v7, v7, v9
	v_mul_lo_u32 v11, s0, v3
	v_mul_hi_u32 v13, v5, v11
	v_mul_lo_u32 v16, v5, v11
	v_mul_lo_u32 v18, v3, v7
	v_mul_hi_u32 v11, v3, v11
	v_mul_hi_u32 v17, v3, v7
	v_add_co_u32_e32 v11, vcc, v11, v18
	v_addc_co_u32_e32 v17, vcc, 0, v17, vcc
	v_add_co_u32_e32 v11, vcc, v11, v16
	v_mul_hi_u32 v9, v5, v7
	v_addc_co_u32_e32 v11, vcc, v17, v13, vcc
	v_addc_co_u32_e32 v9, vcc, 0, v9, vcc
	v_mul_lo_u32 v7, v5, v7
	v_add_co_u32_e32 v7, vcc, v11, v7
	v_addc_co_u32_e32 v9, vcc, 0, v9, vcc
	v_add_co_u32_e32 v3, vcc, v3, v7
	v_addc_co_u32_e32 v5, vcc, v5, v9, vcc
	v_ashrrev_i32_e32 v7, 31, v15
	v_add_co_u32_e32 v9, vcc, v14, v7
	v_xor_b32_e32 v9, v9, v7
	v_addc_co_u32_e32 v11, vcc, v15, v7, vcc
	v_mad_u64_u32 v[16:17], s[0:1], v9, v5, 0
	v_mul_hi_u32 v13, v9, v3
	v_xor_b32_e32 v11, v11, v7
	v_add_co_u32_e32 v13, vcc, v13, v16
	v_addc_co_u32_e32 v15, vcc, 0, v17, vcc
	v_mad_u64_u32 v[18:19], s[0:1], v11, v3, 0
	v_add_co_u32_e32 v3, vcc, v13, v18
	v_mad_u64_u32 v[16:17], s[0:1], v11, v5, 0
	v_addc_co_u32_e32 v3, vcc, v15, v19, vcc
	v_addc_co_u32_e32 v5, vcc, 0, v17, vcc
	v_add_co_u32_e32 v3, vcc, v3, v16
	v_addc_co_u32_e32 v5, vcc, 0, v5, vcc
	v_mul_lo_u32 v13, s37, v3
	v_mul_lo_u32 v15, s36, v5
	v_mad_u64_u32 v[16:17], s[0:1], s36, v3, 0
	v_add3_u32 v13, v17, v15, v13
	v_sub_u32_e32 v15, v11, v13
	v_mov_b32_e32 v17, s37
	v_sub_co_u32_e32 v9, vcc, v9, v16
	v_subb_co_u32_e64 v15, s[0:1], v15, v17, vcc
	v_subrev_co_u32_e64 v16, s[0:1], s36, v9
	v_subbrev_co_u32_e64 v15, s[0:1], 0, v15, s[0:1]
	v_cmp_le_u32_e64 s[0:1], s37, v15
	v_cndmask_b32_e64 v17, 0, -1, s[0:1]
	v_cmp_le_u32_e64 s[0:1], s36, v16
	v_cndmask_b32_e64 v16, 0, -1, s[0:1]
	v_cmp_eq_u32_e64 s[0:1], s37, v15
	v_cndmask_b32_e64 v15, v17, v16, s[0:1]
	v_add_co_u32_e64 v16, s[0:1], 2, v3
	v_subb_co_u32_e32 v11, vcc, v11, v13, vcc
	v_addc_co_u32_e64 v17, s[0:1], 0, v5, s[0:1]
	v_cmp_le_u32_e32 vcc, s37, v11
	v_add_co_u32_e64 v18, s[0:1], 1, v3
	v_cndmask_b32_e64 v13, 0, -1, vcc
	v_cmp_le_u32_e32 vcc, s36, v9
	v_addc_co_u32_e64 v19, s[0:1], 0, v5, s[0:1]
	v_cndmask_b32_e64 v9, 0, -1, vcc
	v_cmp_eq_u32_e32 vcc, s37, v11
	v_cmp_ne_u32_e64 s[0:1], 0, v15
	v_cndmask_b32_e32 v9, v13, v9, vcc
	v_cmp_ne_u32_e32 vcc, 0, v9
	v_cndmask_b32_e64 v9, v18, v16, s[0:1]
	v_cndmask_b32_e64 v15, v19, v17, s[0:1]
	v_cndmask_b32_e32 v3, v3, v9, vcc
	v_xor_b32_e32 v9, s35, v7
	v_xor_b32_e32 v7, s34, v7
	v_cndmask_b32_e32 v5, v5, v15, vcc
	v_xor_b32_e32 v3, v3, v7
	v_xor_b32_e32 v5, v5, v9
	v_sub_co_u32_e32 v16, vcc, v3, v7
	v_subb_co_u32_e32 v17, vcc, v5, v9, vcc
.LBB96_41:                              ;   in Loop: Header=BB96_23 Depth=2
	s_andn2_saveexec_b64 s[0:1], s[30:31]
	s_cbranch_execz .LBB96_43
; %bb.42:                               ;   in Loop: Header=BB96_23 Depth=2
	v_cvt_f32_u32_e32 v3, s57
	s_sub_i32 s16, 0, s57
	v_mov_b32_e32 v17, v2
	v_rcp_iflag_f32_e32 v3, v3
	v_mul_f32_e32 v3, 0x4f7ffffe, v3
	v_cvt_u32_f32_e32 v3, v3
	v_mul_lo_u32 v5, s16, v3
	v_mul_hi_u32 v5, v3, v5
	v_add_u32_e32 v3, v3, v5
	v_mul_hi_u32 v3, v14, v3
	v_mul_lo_u32 v5, v3, s57
	v_sub_u32_e32 v5, v14, v5
	v_add_u32_e32 v7, 1, v3
	v_subrev_u32_e32 v9, s57, v5
	v_cmp_le_u32_e32 vcc, s57, v5
	v_cndmask_b32_e32 v5, v5, v9, vcc
	v_cndmask_b32_e32 v3, v3, v7, vcc
	v_add_u32_e32 v7, 1, v3
	v_cmp_le_u32_e32 vcc, s57, v5
	v_cndmask_b32_e32 v16, v3, v7, vcc
.LBB96_43:                              ;   in Loop: Header=BB96_23 Depth=2
	s_or_b64 exec, exec, s[0:1]
	s_add_u32 s0, s43, s28
	s_addc_u32 s1, s44, s29
	s_add_i32 s16, s26, 2
	s_lshl_b64 s[28:29], s[16:17], 2
	s_add_u32 s30, s39, s28
	s_addc_u32 s31, s40, s29
	s_load_dword s59, s[30:31], 0x0
	s_load_dword s60, s[0:1], 0x0
                                        ; implicit-def: $vgpr18_vgpr19
	s_waitcnt lgkmcnt(0)
	s_ashr_i32 s0, s59, 31
	v_or_b32_e32 v3, s0, v17
	v_cmp_ne_u64_e32 vcc, 0, v[2:3]
	s_and_saveexec_b64 s[30:31], vcc
	s_xor_b64 s[30:31], exec, s[30:31]
	s_cbranch_execz .LBB96_45
; %bb.44:                               ;   in Loop: Header=BB96_23 Depth=2
	s_add_u32 s36, s59, s0
	s_mov_b32 s34, s0
	s_mov_b32 s35, s0
	s_addc_u32 s37, s0, s0
	s_xor_b64 s[36:37], s[36:37], s[34:35]
	v_cvt_f32_u32_e32 v3, s36
	v_cvt_f32_u32_e32 v5, s37
	s_sub_u32 s0, 0, s36
	s_subb_u32 s1, 0, s37
	v_mac_f32_e32 v3, 0x4f800000, v5
	v_rcp_f32_e32 v3, v3
	v_mul_f32_e32 v3, 0x5f7ffffc, v3
	v_mul_f32_e32 v5, 0x2f800000, v3
	v_trunc_f32_e32 v5, v5
	v_mac_f32_e32 v3, 0xcf800000, v5
	v_cvt_u32_f32_e32 v5, v5
	v_cvt_u32_f32_e32 v3, v3
	v_mul_lo_u32 v7, s0, v5
	v_mul_hi_u32 v11, s0, v3
	v_mul_lo_u32 v9, s1, v3
	v_add_u32_e32 v7, v11, v7
	v_mul_lo_u32 v13, s0, v3
	v_add_u32_e32 v7, v7, v9
	v_mul_lo_u32 v11, v3, v7
	v_mul_hi_u32 v15, v3, v13
	v_mul_hi_u32 v9, v3, v7
	v_add_co_u32_e32 v11, vcc, v15, v11
	v_addc_co_u32_e32 v9, vcc, 0, v9, vcc
	v_mul_hi_u32 v18, v5, v13
	v_mul_lo_u32 v13, v5, v13
	v_add_co_u32_e32 v11, vcc, v11, v13
	v_mul_hi_u32 v15, v5, v7
	v_addc_co_u32_e32 v9, vcc, v9, v18, vcc
	v_addc_co_u32_e32 v11, vcc, 0, v15, vcc
	v_mul_lo_u32 v7, v5, v7
	v_add_co_u32_e32 v7, vcc, v9, v7
	v_addc_co_u32_e32 v9, vcc, 0, v11, vcc
	v_add_co_u32_e32 v3, vcc, v3, v7
	v_addc_co_u32_e32 v5, vcc, v5, v9, vcc
	v_mul_lo_u32 v7, s0, v5
	v_mul_hi_u32 v9, s0, v3
	v_add_u32_e32 v7, v9, v7
	v_mul_lo_u32 v9, s1, v3
	v_add_u32_e32 v7, v7, v9
	v_mul_lo_u32 v11, s0, v3
	v_mul_hi_u32 v13, v5, v11
	v_mul_lo_u32 v15, v5, v11
	v_mul_lo_u32 v19, v3, v7
	v_mul_hi_u32 v11, v3, v11
	v_mul_hi_u32 v18, v3, v7
	v_add_co_u32_e32 v11, vcc, v11, v19
	v_addc_co_u32_e32 v18, vcc, 0, v18, vcc
	v_add_co_u32_e32 v11, vcc, v11, v15
	v_mul_hi_u32 v9, v5, v7
	v_addc_co_u32_e32 v11, vcc, v18, v13, vcc
	v_addc_co_u32_e32 v9, vcc, 0, v9, vcc
	v_mul_lo_u32 v7, v5, v7
	v_add_co_u32_e32 v7, vcc, v11, v7
	v_addc_co_u32_e32 v9, vcc, 0, v9, vcc
	v_add_co_u32_e32 v3, vcc, v3, v7
	v_addc_co_u32_e32 v5, vcc, v5, v9, vcc
	v_ashrrev_i32_e32 v7, 31, v17
	v_add_co_u32_e32 v9, vcc, v16, v7
	v_xor_b32_e32 v9, v9, v7
	v_addc_co_u32_e32 v11, vcc, v17, v7, vcc
	v_mad_u64_u32 v[18:19], s[0:1], v9, v5, 0
	v_mul_hi_u32 v13, v9, v3
	v_xor_b32_e32 v11, v11, v7
	v_add_co_u32_e32 v13, vcc, v13, v18
	v_addc_co_u32_e32 v15, vcc, 0, v19, vcc
	v_mad_u64_u32 v[20:21], s[0:1], v11, v3, 0
	v_add_co_u32_e32 v3, vcc, v13, v20
	v_mad_u64_u32 v[18:19], s[0:1], v11, v5, 0
	v_addc_co_u32_e32 v3, vcc, v15, v21, vcc
	v_addc_co_u32_e32 v5, vcc, 0, v19, vcc
	v_add_co_u32_e32 v3, vcc, v3, v18
	v_addc_co_u32_e32 v5, vcc, 0, v5, vcc
	v_mul_lo_u32 v13, s37, v3
	v_mul_lo_u32 v15, s36, v5
	v_mad_u64_u32 v[18:19], s[0:1], s36, v3, 0
	v_add3_u32 v13, v19, v15, v13
	v_sub_u32_e32 v15, v11, v13
	v_mov_b32_e32 v17, s37
	v_sub_co_u32_e32 v9, vcc, v9, v18
	v_subb_co_u32_e64 v15, s[0:1], v15, v17, vcc
	v_subrev_co_u32_e64 v17, s[0:1], s36, v9
	v_subbrev_co_u32_e64 v15, s[0:1], 0, v15, s[0:1]
	v_cmp_le_u32_e64 s[0:1], s37, v15
	v_cndmask_b32_e64 v18, 0, -1, s[0:1]
	v_cmp_le_u32_e64 s[0:1], s36, v17
	v_cndmask_b32_e64 v17, 0, -1, s[0:1]
	v_cmp_eq_u32_e64 s[0:1], s37, v15
	v_cndmask_b32_e64 v15, v18, v17, s[0:1]
	v_add_co_u32_e64 v17, s[0:1], 2, v3
	v_subb_co_u32_e32 v11, vcc, v11, v13, vcc
	v_addc_co_u32_e64 v18, s[0:1], 0, v5, s[0:1]
	v_cmp_le_u32_e32 vcc, s37, v11
	v_add_co_u32_e64 v19, s[0:1], 1, v3
	v_cndmask_b32_e64 v13, 0, -1, vcc
	v_cmp_le_u32_e32 vcc, s36, v9
	v_addc_co_u32_e64 v20, s[0:1], 0, v5, s[0:1]
	v_cndmask_b32_e64 v9, 0, -1, vcc
	v_cmp_eq_u32_e32 vcc, s37, v11
	v_cmp_ne_u32_e64 s[0:1], 0, v15
	v_cndmask_b32_e32 v9, v13, v9, vcc
	v_cmp_ne_u32_e32 vcc, 0, v9
	v_cndmask_b32_e64 v9, v19, v17, s[0:1]
	v_cndmask_b32_e64 v15, v20, v18, s[0:1]
	v_cndmask_b32_e32 v3, v3, v9, vcc
	v_xor_b32_e32 v9, s35, v7
	v_xor_b32_e32 v7, s34, v7
	v_cndmask_b32_e32 v5, v5, v15, vcc
	v_xor_b32_e32 v3, v3, v7
	v_xor_b32_e32 v5, v5, v9
	v_sub_co_u32_e32 v18, vcc, v3, v7
	v_subb_co_u32_e32 v19, vcc, v5, v9, vcc
.LBB96_45:                              ;   in Loop: Header=BB96_23 Depth=2
	s_andn2_saveexec_b64 s[0:1], s[30:31]
	s_cbranch_execz .LBB96_47
; %bb.46:                               ;   in Loop: Header=BB96_23 Depth=2
	v_cvt_f32_u32_e32 v3, s59
	s_sub_i32 s16, 0, s59
	v_mov_b32_e32 v19, v2
	v_rcp_iflag_f32_e32 v3, v3
	v_mul_f32_e32 v3, 0x4f7ffffe, v3
	v_cvt_u32_f32_e32 v3, v3
	v_mul_lo_u32 v5, s16, v3
	v_mul_hi_u32 v5, v3, v5
	v_add_u32_e32 v3, v3, v5
	v_mul_hi_u32 v3, v16, v3
	v_mul_lo_u32 v5, v3, s59
	v_sub_u32_e32 v5, v16, v5
	v_add_u32_e32 v7, 1, v3
	v_subrev_u32_e32 v9, s59, v5
	v_cmp_le_u32_e32 vcc, s59, v5
	v_cndmask_b32_e32 v5, v5, v9, vcc
	v_cndmask_b32_e32 v3, v3, v7, vcc
	v_add_u32_e32 v7, 1, v3
	v_cmp_le_u32_e32 vcc, s59, v5
	v_cndmask_b32_e32 v18, v3, v7, vcc
.LBB96_47:                              ;   in Loop: Header=BB96_23 Depth=2
	s_or_b64 exec, exec, s[0:1]
	s_add_u32 s0, s43, s28
	s_addc_u32 s1, s44, s29
	s_add_i32 s16, s26, 1
	s_lshl_b64 s[28:29], s[16:17], 2
	s_add_u32 s30, s39, s28
	s_addc_u32 s31, s40, s29
	s_load_dword s16, s[30:31], 0x0
	s_load_dword s61, s[0:1], 0x0
                                        ; implicit-def: $vgpr20_vgpr21
	s_waitcnt lgkmcnt(0)
	s_ashr_i32 s0, s16, 31
	v_or_b32_e32 v3, s0, v19
	v_cmp_ne_u64_e32 vcc, 0, v[2:3]
	s_and_saveexec_b64 s[30:31], vcc
	s_xor_b64 s[30:31], exec, s[30:31]
	s_cbranch_execz .LBB96_49
; %bb.48:                               ;   in Loop: Header=BB96_23 Depth=2
	s_add_u32 s36, s16, s0
	s_mov_b32 s34, s0
	s_mov_b32 s35, s0
	s_addc_u32 s37, s0, s0
	s_xor_b64 s[36:37], s[36:37], s[34:35]
	v_cvt_f32_u32_e32 v3, s36
	v_cvt_f32_u32_e32 v5, s37
	s_sub_u32 s0, 0, s36
	s_subb_u32 s1, 0, s37
	v_mac_f32_e32 v3, 0x4f800000, v5
	v_rcp_f32_e32 v3, v3
	v_mul_f32_e32 v3, 0x5f7ffffc, v3
	v_mul_f32_e32 v5, 0x2f800000, v3
	v_trunc_f32_e32 v5, v5
	v_mac_f32_e32 v3, 0xcf800000, v5
	v_cvt_u32_f32_e32 v5, v5
	v_cvt_u32_f32_e32 v3, v3
	v_mul_lo_u32 v7, s0, v5
	v_mul_hi_u32 v11, s0, v3
	v_mul_lo_u32 v9, s1, v3
	v_add_u32_e32 v7, v11, v7
	v_mul_lo_u32 v13, s0, v3
	v_add_u32_e32 v7, v7, v9
	v_mul_lo_u32 v11, v3, v7
	v_mul_hi_u32 v15, v3, v13
	v_mul_hi_u32 v9, v3, v7
	v_add_co_u32_e32 v11, vcc, v15, v11
	v_addc_co_u32_e32 v9, vcc, 0, v9, vcc
	v_mul_hi_u32 v17, v5, v13
	v_mul_lo_u32 v13, v5, v13
	v_add_co_u32_e32 v11, vcc, v11, v13
	v_mul_hi_u32 v15, v5, v7
	v_addc_co_u32_e32 v9, vcc, v9, v17, vcc
	v_addc_co_u32_e32 v11, vcc, 0, v15, vcc
	v_mul_lo_u32 v7, v5, v7
	v_add_co_u32_e32 v7, vcc, v9, v7
	v_addc_co_u32_e32 v9, vcc, 0, v11, vcc
	v_add_co_u32_e32 v3, vcc, v3, v7
	v_addc_co_u32_e32 v5, vcc, v5, v9, vcc
	v_mul_lo_u32 v7, s0, v5
	v_mul_hi_u32 v9, s0, v3
	v_add_u32_e32 v7, v9, v7
	v_mul_lo_u32 v9, s1, v3
	v_add_u32_e32 v7, v7, v9
	v_mul_lo_u32 v11, s0, v3
	v_mul_hi_u32 v13, v5, v11
	v_mul_lo_u32 v15, v5, v11
	v_mul_lo_u32 v20, v3, v7
	v_mul_hi_u32 v11, v3, v11
	v_mul_hi_u32 v17, v3, v7
	v_add_co_u32_e32 v11, vcc, v11, v20
	v_addc_co_u32_e32 v17, vcc, 0, v17, vcc
	v_add_co_u32_e32 v11, vcc, v11, v15
	v_mul_hi_u32 v9, v5, v7
	v_addc_co_u32_e32 v11, vcc, v17, v13, vcc
	v_addc_co_u32_e32 v9, vcc, 0, v9, vcc
	v_mul_lo_u32 v7, v5, v7
	v_add_co_u32_e32 v7, vcc, v11, v7
	v_addc_co_u32_e32 v9, vcc, 0, v9, vcc
	v_add_co_u32_e32 v3, vcc, v3, v7
	v_addc_co_u32_e32 v5, vcc, v5, v9, vcc
	v_ashrrev_i32_e32 v7, 31, v19
	v_add_co_u32_e32 v9, vcc, v18, v7
	v_xor_b32_e32 v9, v9, v7
	v_addc_co_u32_e32 v11, vcc, v19, v7, vcc
	v_mad_u64_u32 v[20:21], s[0:1], v9, v5, 0
	v_mul_hi_u32 v13, v9, v3
	v_xor_b32_e32 v11, v11, v7
	v_add_co_u32_e32 v13, vcc, v13, v20
	v_addc_co_u32_e32 v15, vcc, 0, v21, vcc
	v_mad_u64_u32 v[22:23], s[0:1], v11, v3, 0
	v_add_co_u32_e32 v3, vcc, v13, v22
	v_mad_u64_u32 v[20:21], s[0:1], v11, v5, 0
	v_addc_co_u32_e32 v3, vcc, v15, v23, vcc
	v_addc_co_u32_e32 v5, vcc, 0, v21, vcc
	v_add_co_u32_e32 v3, vcc, v3, v20
	v_addc_co_u32_e32 v5, vcc, 0, v5, vcc
	v_mul_lo_u32 v13, s37, v3
	v_mul_lo_u32 v15, s36, v5
	v_mad_u64_u32 v[20:21], s[0:1], s36, v3, 0
	v_add3_u32 v13, v21, v15, v13
	v_sub_u32_e32 v15, v11, v13
	v_mov_b32_e32 v17, s37
	v_sub_co_u32_e32 v9, vcc, v9, v20
	v_subb_co_u32_e64 v15, s[0:1], v15, v17, vcc
	v_subrev_co_u32_e64 v17, s[0:1], s36, v9
	v_subbrev_co_u32_e64 v15, s[0:1], 0, v15, s[0:1]
	v_cmp_le_u32_e64 s[0:1], s37, v15
	v_cndmask_b32_e64 v19, 0, -1, s[0:1]
	v_cmp_le_u32_e64 s[0:1], s36, v17
	v_cndmask_b32_e64 v17, 0, -1, s[0:1]
	v_cmp_eq_u32_e64 s[0:1], s37, v15
	v_cndmask_b32_e64 v15, v19, v17, s[0:1]
	v_add_co_u32_e64 v17, s[0:1], 2, v3
	v_subb_co_u32_e32 v11, vcc, v11, v13, vcc
	v_addc_co_u32_e64 v19, s[0:1], 0, v5, s[0:1]
	v_cmp_le_u32_e32 vcc, s37, v11
	v_add_co_u32_e64 v20, s[0:1], 1, v3
	v_cndmask_b32_e64 v13, 0, -1, vcc
	v_cmp_le_u32_e32 vcc, s36, v9
	v_addc_co_u32_e64 v21, s[0:1], 0, v5, s[0:1]
	v_cndmask_b32_e64 v9, 0, -1, vcc
	v_cmp_eq_u32_e32 vcc, s37, v11
	v_cmp_ne_u32_e64 s[0:1], 0, v15
	v_cndmask_b32_e32 v9, v13, v9, vcc
	v_cmp_ne_u32_e32 vcc, 0, v9
	v_cndmask_b32_e64 v9, v20, v17, s[0:1]
	v_cndmask_b32_e64 v15, v21, v19, s[0:1]
	v_cndmask_b32_e32 v3, v3, v9, vcc
	v_xor_b32_e32 v9, s35, v7
	v_xor_b32_e32 v7, s34, v7
	v_cndmask_b32_e32 v5, v5, v15, vcc
	v_xor_b32_e32 v3, v3, v7
	v_xor_b32_e32 v5, v5, v9
	v_sub_co_u32_e32 v20, vcc, v3, v7
	v_subb_co_u32_e32 v21, vcc, v5, v9, vcc
.LBB96_49:                              ;   in Loop: Header=BB96_23 Depth=2
	s_andn2_saveexec_b64 s[0:1], s[30:31]
	s_cbranch_execz .LBB96_51
; %bb.50:                               ;   in Loop: Header=BB96_23 Depth=2
	v_cvt_f32_u32_e32 v3, s16
	s_sub_i32 s27, 0, s16
	v_mov_b32_e32 v21, v2
	v_rcp_iflag_f32_e32 v3, v3
	v_mul_f32_e32 v3, 0x4f7ffffe, v3
	v_cvt_u32_f32_e32 v3, v3
	v_mul_lo_u32 v5, s27, v3
	v_mul_hi_u32 v5, v3, v5
	v_add_u32_e32 v3, v3, v5
	v_mul_hi_u32 v3, v18, v3
	v_mul_lo_u32 v5, v3, s16
	v_sub_u32_e32 v5, v18, v5
	v_add_u32_e32 v7, 1, v3
	v_subrev_u32_e32 v9, s16, v5
	v_cmp_le_u32_e32 vcc, s16, v5
	v_cndmask_b32_e32 v5, v5, v9, vcc
	v_cndmask_b32_e32 v3, v3, v7, vcc
	v_add_u32_e32 v7, 1, v3
	v_cmp_le_u32_e32 vcc, s16, v5
	v_cndmask_b32_e32 v20, v3, v7, vcc
.LBB96_51:                              ;   in Loop: Header=BB96_23 Depth=2
	s_or_b64 exec, exec, s[0:1]
	s_add_u32 s0, s43, s28
	s_mov_b32 s27, s17
	s_addc_u32 s1, s44, s29
	s_lshl_b64 s[28:29], s[26:27], 2
	s_add_u32 s30, s39, s28
	s_addc_u32 s31, s40, s29
	s_load_dword s27, s[30:31], 0x0
	s_load_dword s62, s[0:1], 0x0
                                        ; implicit-def: $vgpr22_vgpr23
	s_waitcnt lgkmcnt(0)
	s_ashr_i32 s0, s27, 31
	v_or_b32_e32 v3, s0, v21
	v_cmp_ne_u64_e32 vcc, 0, v[2:3]
	s_and_saveexec_b64 s[30:31], vcc
	s_xor_b64 s[30:31], exec, s[30:31]
	s_cbranch_execz .LBB96_53
; %bb.52:                               ;   in Loop: Header=BB96_23 Depth=2
	s_add_u32 s36, s27, s0
	s_mov_b32 s34, s0
	s_mov_b32 s35, s0
	s_addc_u32 s37, s0, s0
	s_xor_b64 s[36:37], s[36:37], s[34:35]
	v_cvt_f32_u32_e32 v3, s36
	v_cvt_f32_u32_e32 v5, s37
	s_sub_u32 s0, 0, s36
	s_subb_u32 s1, 0, s37
	v_mac_f32_e32 v3, 0x4f800000, v5
	v_rcp_f32_e32 v3, v3
	v_mul_f32_e32 v3, 0x5f7ffffc, v3
	v_mul_f32_e32 v5, 0x2f800000, v3
	v_trunc_f32_e32 v5, v5
	v_mac_f32_e32 v3, 0xcf800000, v5
	v_cvt_u32_f32_e32 v5, v5
	v_cvt_u32_f32_e32 v3, v3
	v_mul_lo_u32 v7, s0, v5
	v_mul_hi_u32 v11, s0, v3
	v_mul_lo_u32 v9, s1, v3
	v_add_u32_e32 v7, v11, v7
	v_mul_lo_u32 v13, s0, v3
	v_add_u32_e32 v7, v7, v9
	v_mul_lo_u32 v11, v3, v7
	v_mul_hi_u32 v15, v3, v13
	v_mul_hi_u32 v9, v3, v7
	v_add_co_u32_e32 v11, vcc, v15, v11
	v_addc_co_u32_e32 v9, vcc, 0, v9, vcc
	v_mul_hi_u32 v17, v5, v13
	v_mul_lo_u32 v13, v5, v13
	v_add_co_u32_e32 v11, vcc, v11, v13
	v_mul_hi_u32 v15, v5, v7
	v_addc_co_u32_e32 v9, vcc, v9, v17, vcc
	v_addc_co_u32_e32 v11, vcc, 0, v15, vcc
	v_mul_lo_u32 v7, v5, v7
	v_add_co_u32_e32 v7, vcc, v9, v7
	v_addc_co_u32_e32 v9, vcc, 0, v11, vcc
	v_add_co_u32_e32 v3, vcc, v3, v7
	v_addc_co_u32_e32 v5, vcc, v5, v9, vcc
	v_mul_lo_u32 v7, s0, v5
	v_mul_hi_u32 v9, s0, v3
	v_add_u32_e32 v7, v9, v7
	v_mul_lo_u32 v9, s1, v3
	v_add_u32_e32 v7, v7, v9
	v_mul_lo_u32 v11, s0, v3
	v_mul_hi_u32 v13, v5, v11
	v_mul_lo_u32 v15, v5, v11
	v_mul_lo_u32 v19, v3, v7
	v_mul_hi_u32 v11, v3, v11
	v_mul_hi_u32 v17, v3, v7
	v_add_co_u32_e32 v11, vcc, v11, v19
	v_addc_co_u32_e32 v17, vcc, 0, v17, vcc
	v_add_co_u32_e32 v11, vcc, v11, v15
	v_mul_hi_u32 v9, v5, v7
	v_addc_co_u32_e32 v11, vcc, v17, v13, vcc
	v_addc_co_u32_e32 v9, vcc, 0, v9, vcc
	v_mul_lo_u32 v7, v5, v7
	v_add_co_u32_e32 v7, vcc, v11, v7
	v_addc_co_u32_e32 v9, vcc, 0, v9, vcc
	v_add_co_u32_e32 v3, vcc, v3, v7
	v_addc_co_u32_e32 v5, vcc, v5, v9, vcc
	v_ashrrev_i32_e32 v7, 31, v21
	v_add_co_u32_e32 v9, vcc, v20, v7
	v_xor_b32_e32 v9, v9, v7
	v_addc_co_u32_e32 v11, vcc, v21, v7, vcc
	v_mad_u64_u32 v[22:23], s[0:1], v9, v5, 0
	v_mul_hi_u32 v13, v9, v3
	v_xor_b32_e32 v11, v11, v7
	v_add_co_u32_e32 v13, vcc, v13, v22
	v_addc_co_u32_e32 v15, vcc, 0, v23, vcc
	v_mad_u64_u32 v[28:29], s[0:1], v11, v3, 0
	v_add_co_u32_e32 v3, vcc, v13, v28
	v_mad_u64_u32 v[22:23], s[0:1], v11, v5, 0
	v_addc_co_u32_e32 v3, vcc, v15, v29, vcc
	v_addc_co_u32_e32 v5, vcc, 0, v23, vcc
	v_add_co_u32_e32 v3, vcc, v3, v22
	v_addc_co_u32_e32 v5, vcc, 0, v5, vcc
	v_mul_lo_u32 v13, s37, v3
	v_mul_lo_u32 v15, s36, v5
	v_mad_u64_u32 v[22:23], s[0:1], s36, v3, 0
	v_add3_u32 v13, v23, v15, v13
	v_sub_u32_e32 v15, v11, v13
	v_mov_b32_e32 v17, s37
	v_sub_co_u32_e32 v9, vcc, v9, v22
	v_subb_co_u32_e64 v15, s[0:1], v15, v17, vcc
	v_subrev_co_u32_e64 v17, s[0:1], s36, v9
	v_subbrev_co_u32_e64 v15, s[0:1], 0, v15, s[0:1]
	v_cmp_le_u32_e64 s[0:1], s37, v15
	v_cndmask_b32_e64 v19, 0, -1, s[0:1]
	v_cmp_le_u32_e64 s[0:1], s36, v17
	v_cndmask_b32_e64 v17, 0, -1, s[0:1]
	v_cmp_eq_u32_e64 s[0:1], s37, v15
	v_cndmask_b32_e64 v15, v19, v17, s[0:1]
	v_add_co_u32_e64 v17, s[0:1], 2, v3
	v_subb_co_u32_e32 v11, vcc, v11, v13, vcc
	v_addc_co_u32_e64 v19, s[0:1], 0, v5, s[0:1]
	v_cmp_le_u32_e32 vcc, s37, v11
	v_add_co_u32_e64 v21, s[0:1], 1, v3
	v_cndmask_b32_e64 v13, 0, -1, vcc
	v_cmp_le_u32_e32 vcc, s36, v9
	v_addc_co_u32_e64 v22, s[0:1], 0, v5, s[0:1]
	v_cndmask_b32_e64 v9, 0, -1, vcc
	v_cmp_eq_u32_e32 vcc, s37, v11
	v_cmp_ne_u32_e64 s[0:1], 0, v15
	v_cndmask_b32_e32 v9, v13, v9, vcc
	v_cmp_ne_u32_e32 vcc, 0, v9
	v_cndmask_b32_e64 v9, v21, v17, s[0:1]
	v_cndmask_b32_e64 v15, v22, v19, s[0:1]
	v_cndmask_b32_e32 v3, v3, v9, vcc
	v_xor_b32_e32 v9, s35, v7
	v_xor_b32_e32 v7, s34, v7
	v_cndmask_b32_e32 v5, v5, v15, vcc
	v_xor_b32_e32 v3, v3, v7
	v_xor_b32_e32 v5, v5, v9
	v_sub_co_u32_e32 v22, vcc, v3, v7
	v_subb_co_u32_e32 v23, vcc, v5, v9, vcc
.LBB96_53:                              ;   in Loop: Header=BB96_23 Depth=2
	s_andn2_saveexec_b64 s[0:1], s[30:31]
	s_cbranch_execz .LBB96_55
; %bb.54:                               ;   in Loop: Header=BB96_23 Depth=2
	v_cvt_f32_u32_e32 v3, s27
	s_sub_i32 s30, 0, s27
	v_mov_b32_e32 v23, v2
	v_rcp_iflag_f32_e32 v3, v3
	v_mul_f32_e32 v3, 0x4f7ffffe, v3
	v_cvt_u32_f32_e32 v3, v3
	v_mul_lo_u32 v5, s30, v3
	v_mul_hi_u32 v5, v3, v5
	v_add_u32_e32 v3, v3, v5
	v_mul_hi_u32 v3, v20, v3
	v_mul_lo_u32 v5, v3, s27
	v_sub_u32_e32 v5, v20, v5
	v_add_u32_e32 v7, 1, v3
	v_subrev_u32_e32 v9, s27, v5
	v_cmp_le_u32_e32 vcc, s27, v5
	v_cndmask_b32_e32 v5, v5, v9, vcc
	v_cndmask_b32_e32 v3, v3, v7, vcc
	v_add_u32_e32 v7, 1, v3
	v_cmp_le_u32_e32 vcc, s27, v5
	v_cndmask_b32_e32 v22, v3, v7, vcc
.LBB96_55:                              ;   in Loop: Header=BB96_23 Depth=2
	s_or_b64 exec, exec, s[0:1]
	v_mul_lo_u32 v3, v8, s50
	v_mul_lo_u32 v5, v10, s51
	v_sub_u32_e32 v3, v6, v3
	v_sub_u32_e32 v5, v8, v5
	v_mul_lo_u32 v3, s52, v3
	v_mul_lo_u32 v5, s54, v5
	v_add3_u32 v3, v3, v4, v5
	v_mul_lo_u32 v4, v12, s53
	v_mul_lo_u32 v5, v14, s55
	v_sub_u32_e32 v4, v10, v4
	v_sub_u32_e32 v5, v12, v5
	s_add_u32 s0, s43, s28
	v_mul_lo_u32 v4, s56, v4
	v_mul_lo_u32 v5, s58, v5
	s_addc_u32 s1, s44, s29
	v_add3_u32 v3, v4, v3, v5
	v_mul_lo_u32 v4, v16, s57
	v_mul_lo_u32 v5, v18, s59
	s_load_dword s0, s[0:1], 0x0
	v_sub_u32_e32 v4, v14, v4
	v_sub_u32_e32 v5, v16, v5
	v_mul_lo_u32 v4, s60, v4
	v_mul_lo_u32 v5, s61, v5
	v_add3_u32 v3, v4, v3, v5
	v_mul_lo_u32 v4, v20, s16
	v_mul_lo_u32 v5, v22, s27
	v_sub_u32_e32 v4, v18, v4
	v_sub_u32_e32 v5, v20, v5
	v_mul_lo_u32 v4, s62, v4
	s_waitcnt lgkmcnt(0)
	v_mul_lo_u32 v5, s0, v5
	s_add_i32 s26, s26, -8
	s_cmp_eq_u32 s26, -8
	v_add3_u32 v4, v4, v3, v5
	s_cbranch_scc1 .LBB96_57
; %bb.56:                               ;   in Loop: Header=BB96_23 Depth=2
	v_pk_mov_b32 v[6:7], v[22:23], v[22:23] op_sel:[0,1]
	s_branch .LBB96_23
.LBB96_57:                              ;   in Loop: Header=BB96_3 Depth=1
	s_load_dword s16, s[14:15], 0x0
	s_waitcnt lgkmcnt(0)
	v_cmp_gt_i32_e32 vcc, s16, v26
	s_and_b64 exec, exec, vcc
	s_cbranch_execz .LBB96_2
; %bb.58:                               ;   in Loop: Header=BB96_3 Depth=1
	v_ashrrev_i32_e32 v5, 31, v4
	v_lshlrev_b64 v[6:7], 1, v[4:5]
	v_mov_b32_e32 v3, s3
	v_add_co_u32_e32 v6, vcc, s2, v6
	v_addc_co_u32_e32 v7, vcc, v3, v7, vcc
	v_add_u32_e32 v3, 1, v26
	v_cmp_gt_i32_e32 vcc, s16, v3
	global_store_short v[6:7], v2, off
	s_and_b64 exec, exec, vcc
	s_cbranch_execz .LBB96_2
; %bb.59:                               ;   in Loop: Header=BB96_3 Depth=1
	v_sub_u32_e32 v6, v3, v25
	v_ashrrev_i32_e32 v7, 31, v6
	v_cmp_gt_i64_e32 vcc, s[8:9], v[6:7]
	s_and_saveexec_b64 s[0:1], vcc
	s_cbranch_execz .LBB96_61
; %bb.60:                               ;   in Loop: Header=BB96_3 Depth=1
	v_add_u32_e32 v6, s49, v4
	v_ashrrev_i32_e32 v7, 31, v6
	v_lshlrev_b64 v[6:7], 1, v[6:7]
	v_mov_b32_e32 v3, s3
	v_add_co_u32_e32 v6, vcc, s2, v6
	v_addc_co_u32_e32 v7, vcc, v3, v7, vcc
	global_store_short v[6:7], v2, off
.LBB96_61:                              ;   in Loop: Header=BB96_3 Depth=1
	s_or_b64 exec, exec, s[0:1]
	v_add_u32_e32 v3, 2, v26
	v_cmp_gt_i32_e32 vcc, s16, v3
	s_and_b64 exec, exec, vcc
	s_cbranch_execz .LBB96_2
; %bb.62:                               ;   in Loop: Header=BB96_3 Depth=1
	v_sub_u32_e32 v6, v3, v25
	v_ashrrev_i32_e32 v7, 31, v6
	v_cmp_gt_i64_e32 vcc, s[8:9], v[6:7]
	s_and_saveexec_b64 s[0:1], vcc
	s_cbranch_execz .LBB96_64
; %bb.63:                               ;   in Loop: Header=BB96_3 Depth=1
	v_lshl_add_u32 v6, s49, 1, v4
	v_ashrrev_i32_e32 v7, 31, v6
	v_lshlrev_b64 v[6:7], 1, v[6:7]
	v_mov_b32_e32 v3, s3
	v_add_co_u32_e32 v6, vcc, s2, v6
	v_addc_co_u32_e32 v7, vcc, v3, v7, vcc
	global_store_short v[6:7], v2, off
.LBB96_64:                              ;   in Loop: Header=BB96_3 Depth=1
	s_or_b64 exec, exec, s[0:1]
	v_add_u32_e32 v3, 3, v26
	v_cmp_gt_i32_e32 vcc, s16, v3
	s_and_b64 exec, exec, vcc
	s_cbranch_execz .LBB96_2
; %bb.65:                               ;   in Loop: Header=BB96_3 Depth=1
	v_sub_u32_e32 v6, v3, v25
	v_ashrrev_i32_e32 v7, 31, v6
	v_cmp_gt_i64_e32 vcc, s[8:9], v[6:7]
	s_and_b64 exec, exec, vcc
	s_cbranch_execz .LBB96_2
; %bb.66:                               ;   in Loop: Header=BB96_3 Depth=1
	v_mad_u64_u32 v[4:5], s[0:1], s49, 3, v[4:5]
	v_ashrrev_i32_e32 v5, 31, v4
	v_lshlrev_b64 v[4:5], 1, v[4:5]
	v_mov_b32_e32 v3, s3
	v_add_co_u32_e32 v4, vcc, s2, v4
	v_addc_co_u32_e32 v5, vcc, v3, v5, vcc
	global_store_short v[4:5], v2, off
	s_branch .LBB96_2
.LBB96_67:
	s_endpgm
	.section	.rodata,"a",@progbits
	.p2align	6, 0x0
	.amdhsa_kernel _ZN2at6native16triu_tril_kernelIN3c108BFloat16EiLb1ELi4ELb1EEEvNS_4cuda6detail10TensorInfoIT_T0_EENS6_IKS7_S8_EEllS8_
		.amdhsa_group_segment_fixed_size 0
		.amdhsa_private_segment_fixed_size 0
		.amdhsa_kernarg_size 712
		.amdhsa_user_sgpr_count 6
		.amdhsa_user_sgpr_private_segment_buffer 1
		.amdhsa_user_sgpr_dispatch_ptr 0
		.amdhsa_user_sgpr_queue_ptr 0
		.amdhsa_user_sgpr_kernarg_segment_ptr 1
		.amdhsa_user_sgpr_dispatch_id 0
		.amdhsa_user_sgpr_flat_scratch_init 0
		.amdhsa_user_sgpr_kernarg_preload_length 0
		.amdhsa_user_sgpr_kernarg_preload_offset 0
		.amdhsa_user_sgpr_private_segment_size 0
		.amdhsa_uses_dynamic_stack 0
		.amdhsa_system_sgpr_private_segment_wavefront_offset 0
		.amdhsa_system_sgpr_workgroup_id_x 1
		.amdhsa_system_sgpr_workgroup_id_y 0
		.amdhsa_system_sgpr_workgroup_id_z 0
		.amdhsa_system_sgpr_workgroup_info 0
		.amdhsa_system_vgpr_workitem_id 0
		.amdhsa_next_free_vgpr 30
		.amdhsa_next_free_sgpr 63
		.amdhsa_accum_offset 32
		.amdhsa_reserve_vcc 1
		.amdhsa_reserve_flat_scratch 0
		.amdhsa_float_round_mode_32 0
		.amdhsa_float_round_mode_16_64 0
		.amdhsa_float_denorm_mode_32 3
		.amdhsa_float_denorm_mode_16_64 3
		.amdhsa_dx10_clamp 1
		.amdhsa_ieee_mode 1
		.amdhsa_fp16_overflow 0
		.amdhsa_tg_split 0
		.amdhsa_exception_fp_ieee_invalid_op 0
		.amdhsa_exception_fp_denorm_src 0
		.amdhsa_exception_fp_ieee_div_zero 0
		.amdhsa_exception_fp_ieee_overflow 0
		.amdhsa_exception_fp_ieee_underflow 0
		.amdhsa_exception_fp_ieee_inexact 0
		.amdhsa_exception_int_div_zero 0
	.end_amdhsa_kernel
	.section	.text._ZN2at6native16triu_tril_kernelIN3c108BFloat16EiLb1ELi4ELb1EEEvNS_4cuda6detail10TensorInfoIT_T0_EENS6_IKS7_S8_EEllS8_,"axG",@progbits,_ZN2at6native16triu_tril_kernelIN3c108BFloat16EiLb1ELi4ELb1EEEvNS_4cuda6detail10TensorInfoIT_T0_EENS6_IKS7_S8_EEllS8_,comdat
.Lfunc_end96:
	.size	_ZN2at6native16triu_tril_kernelIN3c108BFloat16EiLb1ELi4ELb1EEEvNS_4cuda6detail10TensorInfoIT_T0_EENS6_IKS7_S8_EEllS8_, .Lfunc_end96-_ZN2at6native16triu_tril_kernelIN3c108BFloat16EiLb1ELi4ELb1EEEvNS_4cuda6detail10TensorInfoIT_T0_EENS6_IKS7_S8_EEllS8_
                                        ; -- End function
	.section	.AMDGPU.csdata,"",@progbits
; Kernel info:
; codeLenInByte = 10272
; NumSgprs: 67
; NumVgprs: 30
; NumAgprs: 0
; TotalNumVgprs: 30
; ScratchSize: 0
; MemoryBound: 0
; FloatMode: 240
; IeeeMode: 1
; LDSByteSize: 0 bytes/workgroup (compile time only)
; SGPRBlocks: 8
; VGPRBlocks: 3
; NumSGPRsForWavesPerEU: 67
; NumVGPRsForWavesPerEU: 30
; AccumOffset: 32
; Occupancy: 8
; WaveLimiterHint : 0
; COMPUTE_PGM_RSRC2:SCRATCH_EN: 0
; COMPUTE_PGM_RSRC2:USER_SGPR: 6
; COMPUTE_PGM_RSRC2:TRAP_HANDLER: 0
; COMPUTE_PGM_RSRC2:TGID_X_EN: 1
; COMPUTE_PGM_RSRC2:TGID_Y_EN: 0
; COMPUTE_PGM_RSRC2:TGID_Z_EN: 0
; COMPUTE_PGM_RSRC2:TIDIG_COMP_CNT: 0
; COMPUTE_PGM_RSRC3_GFX90A:ACCUM_OFFSET: 7
; COMPUTE_PGM_RSRC3_GFX90A:TG_SPLIT: 0
	.section	.text._ZN2at6native16triu_tril_kernelIN3c108BFloat16EiLb1ELi4ELb0EEEvNS_4cuda6detail10TensorInfoIT_T0_EENS6_IKS7_S8_EEllS8_,"axG",@progbits,_ZN2at6native16triu_tril_kernelIN3c108BFloat16EiLb1ELi4ELb0EEEvNS_4cuda6detail10TensorInfoIT_T0_EENS6_IKS7_S8_EEllS8_,comdat
	.protected	_ZN2at6native16triu_tril_kernelIN3c108BFloat16EiLb1ELi4ELb0EEEvNS_4cuda6detail10TensorInfoIT_T0_EENS6_IKS7_S8_EEllS8_ ; -- Begin function _ZN2at6native16triu_tril_kernelIN3c108BFloat16EiLb1ELi4ELb0EEEvNS_4cuda6detail10TensorInfoIT_T0_EENS6_IKS7_S8_EEllS8_
	.globl	_ZN2at6native16triu_tril_kernelIN3c108BFloat16EiLb1ELi4ELb0EEEvNS_4cuda6detail10TensorInfoIT_T0_EENS6_IKS7_S8_EEllS8_
	.p2align	8
	.type	_ZN2at6native16triu_tril_kernelIN3c108BFloat16EiLb1ELi4ELb0EEEvNS_4cuda6detail10TensorInfoIT_T0_EENS6_IKS7_S8_EEllS8_,@function
_ZN2at6native16triu_tril_kernelIN3c108BFloat16EiLb1ELi4ELb0EEEvNS_4cuda6detail10TensorInfoIT_T0_EENS6_IKS7_S8_EEllS8_: ; @_ZN2at6native16triu_tril_kernelIN3c108BFloat16EiLb1ELi4ELb0EEEvNS_4cuda6detail10TensorInfoIT_T0_EENS6_IKS7_S8_EEllS8_
; %bb.0:
	s_load_dword s2, s[4:5], 0x1d4
	s_load_dwordx4 s[8:11], s[4:5], 0x1b0
	s_add_u32 s0, s4, 0x1c8
	v_mov_b32_e32 v2, 0
	s_addc_u32 s1, s5, 0
	s_waitcnt lgkmcnt(0)
	s_and_b32 s2, s2, 0xffff
	v_mov_b32_e32 v1, v2
	v_mov_b32_e32 v3, s6
	v_mad_u64_u32 v[0:1], s[6:7], s2, v3, v[0:1]
	v_lshlrev_b64 v[0:1], 2, v[0:1]
	v_cmp_gt_i64_e32 vcc, s[10:11], v[0:1]
	s_and_saveexec_b64 s[6:7], vcc
	s_cbranch_execz .LBB97_58
; %bb.1:
	s_load_dword s20, s[4:5], 0x1a8
	s_add_u32 s33, s4, 0xd8
	s_addc_u32 s42, s5, 0
	s_load_dword s3, s[0:1], 0x0
	s_load_dwordx2 s[6:7], s[4:5], 0xd8
	s_mov_b64 s[30:31], 0
	s_waitcnt lgkmcnt(0)
	s_ashr_i32 s21, s20, 31
	s_lshl_b64 s[0:1], s[20:21], 2
	s_add_u32 s18, s0, -8
	s_addc_u32 s19, s1, -1
	s_add_u32 s0, s33, s18
	s_addc_u32 s1, s42, s19
	s_load_dwordx2 s[12:13], s[0:1], 0x8
	s_load_dword s43, s[4:5], 0x1c0
	s_load_dwordx2 s[16:17], s[0:1], 0x6c
	s_mul_i32 s3, s3, s2
	v_cmp_gt_i64_e64 s[14:15], s[20:21], 2
	s_waitcnt lgkmcnt(0)
	s_ashr_i32 s44, s12, 31
	v_cvt_f32_u32_e32 v3, s43
	s_ashr_i32 s45, s43, 31
	s_add_u32 s46, s4, 0x6c
	s_addc_u32 s47, s5, 0
	v_rcp_iflag_f32_e32 v3, v3
	s_add_u32 s0, s46, s18
	s_addc_u32 s1, s47, s19
	s_load_dwordx2 s[18:19], s[0:1], 0x0
	v_mul_f32_e32 v3, 0x4f7ffffe, v3
	s_load_dwordx2 s[4:5], s[4:5], 0x0
	s_add_i32 s48, s20, -3
	s_lshl_b32 s49, s3, 2
	s_and_b32 s51, s20, 3
	v_cvt_u32_f32_e32 v22, v3
	s_cmp_lg_u32 s51, 2
	s_mov_b32 s21, 0
	s_cselect_b64 s[22:23], -1, 0
	s_cmp_gt_u32 s48, 2
	s_mov_b32 s50, s21
	s_cselect_b64 s[24:25], -1, 0
	s_ashr_i32 s27, s17, 31
	s_mov_b32 s26, s17
	s_waitcnt lgkmcnt(0)
	s_ashr_i32 s29, s19, 31
	s_mov_b32 s28, s19
	s_branch .LBB97_3
.LBB97_2:                               ;   in Loop: Header=BB97_3 Depth=1
	s_or_b64 exec, exec, s[0:1]
	v_mov_b32_e32 v3, s50
	v_add_co_u32_e32 v0, vcc, s49, v0
	v_addc_co_u32_e32 v1, vcc, v1, v3, vcc
	v_cmp_le_i64_e32 vcc, s[10:11], v[0:1]
	s_or_b64 s[30:31], vcc, s[30:31]
	s_andn2_b64 exec, exec, s[30:31]
	s_cbranch_execz .LBB97_58
.LBB97_3:                               ; =>This Loop Header: Depth=1
                                        ;     Child Loop BB97_37 Depth 2
                                        ;     Child Loop BB97_18 Depth 2
	v_or_b32_e32 v3, s45, v1
	v_cmp_ne_u64_e32 vcc, 0, v[2:3]
                                        ; implicit-def: $vgpr4_vgpr5
                                        ; implicit-def: $vgpr14_vgpr15
	s_and_saveexec_b64 s[0:1], vcc
	s_xor_b64 s[34:35], exec, s[0:1]
	s_cbranch_execz .LBB97_5
; %bb.4:                                ;   in Loop: Header=BB97_3 Depth=1
	s_add_u32 s0, s43, s45
	s_mov_b32 s2, s45
	s_mov_b32 s3, s45
	s_addc_u32 s1, s45, s45
	s_xor_b64 s[36:37], s[0:1], s[2:3]
	v_cvt_f32_u32_e32 v3, s36
	v_cvt_f32_u32_e32 v4, s37
	s_sub_u32 s0, 0, s36
	s_subb_u32 s1, 0, s37
	v_mac_f32_e32 v3, 0x4f800000, v4
	v_rcp_f32_e32 v3, v3
	v_mul_f32_e32 v3, 0x5f7ffffc, v3
	v_mul_f32_e32 v4, 0x2f800000, v3
	v_trunc_f32_e32 v4, v4
	v_mac_f32_e32 v3, 0xcf800000, v4
	v_cvt_u32_f32_e32 v4, v4
	v_cvt_u32_f32_e32 v3, v3
	v_mul_lo_u32 v5, s0, v4
	v_mul_hi_u32 v7, s0, v3
	v_mul_lo_u32 v6, s1, v3
	v_add_u32_e32 v5, v7, v5
	v_mul_lo_u32 v8, s0, v3
	v_add_u32_e32 v5, v5, v6
	v_mul_lo_u32 v7, v3, v5
	v_mul_hi_u32 v9, v3, v8
	v_mul_hi_u32 v6, v3, v5
	v_add_co_u32_e32 v7, vcc, v9, v7
	v_addc_co_u32_e32 v6, vcc, 0, v6, vcc
	v_mul_hi_u32 v10, v4, v8
	v_mul_lo_u32 v8, v4, v8
	v_add_co_u32_e32 v7, vcc, v7, v8
	v_mul_hi_u32 v9, v4, v5
	v_addc_co_u32_e32 v6, vcc, v6, v10, vcc
	v_addc_co_u32_e32 v7, vcc, 0, v9, vcc
	v_mul_lo_u32 v5, v4, v5
	v_add_co_u32_e32 v5, vcc, v6, v5
	v_addc_co_u32_e32 v6, vcc, 0, v7, vcc
	v_add_co_u32_e32 v3, vcc, v3, v5
	v_addc_co_u32_e32 v4, vcc, v4, v6, vcc
	v_mul_lo_u32 v5, s0, v4
	v_mul_hi_u32 v6, s0, v3
	v_add_u32_e32 v5, v6, v5
	v_mul_lo_u32 v6, s1, v3
	v_add_u32_e32 v5, v5, v6
	v_mul_lo_u32 v7, s0, v3
	v_mul_hi_u32 v8, v4, v7
	v_mul_lo_u32 v9, v4, v7
	v_mul_lo_u32 v11, v3, v5
	v_mul_hi_u32 v7, v3, v7
	v_mul_hi_u32 v10, v3, v5
	v_add_co_u32_e32 v7, vcc, v7, v11
	v_addc_co_u32_e32 v10, vcc, 0, v10, vcc
	v_add_co_u32_e32 v7, vcc, v7, v9
	v_mul_hi_u32 v6, v4, v5
	v_addc_co_u32_e32 v7, vcc, v10, v8, vcc
	v_addc_co_u32_e32 v6, vcc, 0, v6, vcc
	v_mul_lo_u32 v5, v4, v5
	v_add_co_u32_e32 v5, vcc, v7, v5
	v_addc_co_u32_e32 v6, vcc, 0, v6, vcc
	v_add_co_u32_e32 v3, vcc, v3, v5
	v_addc_co_u32_e32 v6, vcc, v4, v6, vcc
	v_ashrrev_i32_e32 v8, 31, v1
	v_add_co_u32_e32 v4, vcc, v0, v8
	v_addc_co_u32_e32 v5, vcc, v1, v8, vcc
	v_xor_b32_e32 v10, v4, v8
	v_xor_b32_e32 v9, v5, v8
	v_mad_u64_u32 v[4:5], s[0:1], v10, v6, 0
	v_mul_hi_u32 v7, v10, v3
	v_add_co_u32_e32 v11, vcc, v7, v4
	v_addc_co_u32_e32 v12, vcc, 0, v5, vcc
	v_mad_u64_u32 v[4:5], s[0:1], v9, v6, 0
	v_mad_u64_u32 v[6:7], s[0:1], v9, v3, 0
	v_add_co_u32_e32 v3, vcc, v11, v6
	v_addc_co_u32_e32 v3, vcc, v12, v7, vcc
	v_addc_co_u32_e32 v5, vcc, 0, v5, vcc
	v_add_co_u32_e32 v3, vcc, v3, v4
	v_addc_co_u32_e32 v6, vcc, 0, v5, vcc
	v_mul_lo_u32 v7, s37, v3
	v_mul_lo_u32 v11, s36, v6
	v_mad_u64_u32 v[4:5], s[0:1], s36, v3, 0
	v_add3_u32 v5, v5, v11, v7
	v_sub_u32_e32 v7, v9, v5
	v_mov_b32_e32 v11, s37
	v_sub_co_u32_e32 v4, vcc, v10, v4
	v_subb_co_u32_e64 v7, s[0:1], v7, v11, vcc
	v_subrev_co_u32_e64 v10, s[0:1], s36, v4
	v_subbrev_co_u32_e64 v7, s[0:1], 0, v7, s[0:1]
	v_cmp_le_u32_e64 s[0:1], s37, v7
	v_cndmask_b32_e64 v11, 0, -1, s[0:1]
	v_cmp_le_u32_e64 s[0:1], s36, v10
	v_cndmask_b32_e64 v12, 0, -1, s[0:1]
	v_cmp_eq_u32_e64 s[0:1], s37, v7
	v_cndmask_b32_e64 v7, v11, v12, s[0:1]
	v_add_co_u32_e64 v11, s[0:1], 2, v3
	v_addc_co_u32_e64 v12, s[0:1], 0, v6, s[0:1]
	v_add_co_u32_e64 v13, s[0:1], 1, v3
	v_subb_co_u32_e32 v5, vcc, v9, v5, vcc
	v_addc_co_u32_e64 v14, s[0:1], 0, v6, s[0:1]
	v_cmp_le_u32_e32 vcc, s37, v5
	v_cmp_ne_u32_e64 s[0:1], 0, v7
	v_cndmask_b32_e64 v9, 0, -1, vcc
	v_cmp_le_u32_e32 vcc, s36, v4
	v_cndmask_b32_e64 v7, v14, v12, s[0:1]
	v_cndmask_b32_e64 v12, 0, -1, vcc
	v_cmp_eq_u32_e32 vcc, s37, v5
	v_cndmask_b32_e32 v5, v9, v12, vcc
	v_cmp_ne_u32_e32 vcc, 0, v5
	v_cndmask_b32_e32 v5, v6, v7, vcc
	v_cndmask_b32_e64 v6, v13, v11, s[0:1]
	v_cndmask_b32_e32 v3, v3, v6, vcc
	v_xor_b32_e32 v7, s2, v8
	v_xor_b32_e32 v6, s3, v8
	v_xor_b32_e32 v3, v3, v7
	v_xor_b32_e32 v5, v5, v6
	v_sub_co_u32_e64 v14, s[2:3], v3, v7
	v_subb_co_u32_e64 v15, s[2:3], v5, v6, s[2:3]
	v_subrev_co_u32_e64 v3, s[2:3], s36, v10
	v_cndmask_b32_e64 v3, v10, v3, s[0:1]
	v_cndmask_b32_e32 v3, v4, v3, vcc
	v_xor_b32_e32 v3, v3, v8
	v_sub_co_u32_e32 v4, vcc, v3, v8
.LBB97_5:                               ;   in Loop: Header=BB97_3 Depth=1
	s_andn2_saveexec_b64 s[2:3], s[34:35]
	s_cbranch_execz .LBB97_7
; %bb.6:                                ;   in Loop: Header=BB97_3 Depth=1
	s_sub_i32 s0, 0, s43
	v_mul_lo_u32 v3, s0, v22
	v_mul_hi_u32 v3, v22, v3
	v_add_u32_e32 v3, v22, v3
	v_mul_hi_u32 v3, v0, v3
	v_mul_lo_u32 v4, v3, s43
	v_sub_u32_e32 v4, v0, v4
	v_subrev_u32_e32 v5, s43, v4
	v_cmp_le_u32_e32 vcc, s43, v4
	v_cndmask_b32_e32 v4, v4, v5, vcc
	v_subrev_u32_e32 v5, s43, v4
	v_cmp_le_u32_e64 s[0:1], s43, v4
	v_cndmask_b32_e64 v4, v4, v5, s[0:1]
	v_add_u32_e32 v5, 1, v3
	v_cndmask_b32_e32 v3, v3, v5, vcc
	v_add_u32_e32 v5, 1, v3
	v_cndmask_b32_e64 v14, v3, v5, s[0:1]
	v_mov_b32_e32 v15, v2
.LBB97_7:                               ;   in Loop: Header=BB97_3 Depth=1
	s_or_b64 exec, exec, s[2:3]
	v_or_b32_e32 v3, s44, v15
	v_cmp_ne_u64_e32 vcc, 0, v[2:3]
                                        ; implicit-def: $vgpr8_vgpr9
	s_and_saveexec_b64 s[0:1], vcc
	s_xor_b64 s[2:3], exec, s[0:1]
	s_cbranch_execz .LBB97_9
; %bb.8:                                ;   in Loop: Header=BB97_3 Depth=1
	s_add_u32 s34, s12, s44
	s_mov_b32 s0, s44
	s_mov_b32 s1, s44
	s_addc_u32 s35, s44, s44
	s_xor_b64 s[34:35], s[34:35], s[0:1]
	v_cvt_f32_u32_e32 v5, s34
	v_cvt_f32_u32_e32 v6, s35
	s_sub_u32 s0, 0, s34
	s_subb_u32 s1, 0, s35
	v_mac_f32_e32 v5, 0x4f800000, v6
	v_rcp_f32_e32 v5, v5
	v_mul_f32_e32 v5, 0x5f7ffffc, v5
	v_mul_f32_e32 v6, 0x2f800000, v5
	v_trunc_f32_e32 v6, v6
	v_mac_f32_e32 v5, 0xcf800000, v6
	v_cvt_u32_f32_e32 v6, v6
	v_cvt_u32_f32_e32 v5, v5
	v_mul_lo_u32 v7, s0, v6
	v_mul_hi_u32 v9, s0, v5
	v_mul_lo_u32 v8, s1, v5
	v_add_u32_e32 v7, v9, v7
	v_mul_lo_u32 v10, s0, v5
	v_add_u32_e32 v7, v7, v8
	v_mul_lo_u32 v9, v5, v7
	v_mul_hi_u32 v11, v5, v10
	v_mul_hi_u32 v8, v5, v7
	v_add_co_u32_e32 v9, vcc, v11, v9
	v_addc_co_u32_e32 v8, vcc, 0, v8, vcc
	v_mul_hi_u32 v12, v6, v10
	v_mul_lo_u32 v10, v6, v10
	v_add_co_u32_e32 v9, vcc, v9, v10
	v_mul_hi_u32 v11, v6, v7
	v_addc_co_u32_e32 v8, vcc, v8, v12, vcc
	v_addc_co_u32_e32 v9, vcc, 0, v11, vcc
	v_mul_lo_u32 v7, v6, v7
	v_add_co_u32_e32 v7, vcc, v8, v7
	v_addc_co_u32_e32 v8, vcc, 0, v9, vcc
	v_add_co_u32_e32 v5, vcc, v5, v7
	v_addc_co_u32_e32 v6, vcc, v6, v8, vcc
	v_mul_lo_u32 v7, s0, v6
	v_mul_hi_u32 v8, s0, v5
	v_add_u32_e32 v7, v8, v7
	v_mul_lo_u32 v8, s1, v5
	v_add_u32_e32 v7, v7, v8
	v_mul_lo_u32 v9, s0, v5
	v_mul_hi_u32 v10, v6, v9
	v_mul_lo_u32 v11, v6, v9
	v_mul_lo_u32 v13, v5, v7
	v_mul_hi_u32 v9, v5, v9
	v_mul_hi_u32 v12, v5, v7
	v_add_co_u32_e32 v9, vcc, v9, v13
	v_addc_co_u32_e32 v12, vcc, 0, v12, vcc
	v_add_co_u32_e32 v9, vcc, v9, v11
	v_mul_hi_u32 v8, v6, v7
	v_addc_co_u32_e32 v9, vcc, v12, v10, vcc
	v_addc_co_u32_e32 v8, vcc, 0, v8, vcc
	v_mul_lo_u32 v7, v6, v7
	v_add_co_u32_e32 v7, vcc, v9, v7
	v_addc_co_u32_e32 v8, vcc, 0, v8, vcc
	v_add_co_u32_e32 v5, vcc, v5, v7
	v_addc_co_u32_e32 v8, vcc, v6, v8, vcc
	v_ashrrev_i32_e32 v10, 31, v15
	v_add_co_u32_e32 v6, vcc, v14, v10
	v_addc_co_u32_e32 v7, vcc, v15, v10, vcc
	v_xor_b32_e32 v12, v6, v10
	v_xor_b32_e32 v11, v7, v10
	v_mad_u64_u32 v[6:7], s[0:1], v12, v8, 0
	v_mul_hi_u32 v9, v12, v5
	v_add_co_u32_e32 v13, vcc, v9, v6
	v_addc_co_u32_e32 v16, vcc, 0, v7, vcc
	v_mad_u64_u32 v[6:7], s[0:1], v11, v8, 0
	v_mad_u64_u32 v[8:9], s[0:1], v11, v5, 0
	v_add_co_u32_e32 v5, vcc, v13, v8
	v_addc_co_u32_e32 v5, vcc, v16, v9, vcc
	v_addc_co_u32_e32 v7, vcc, 0, v7, vcc
	v_add_co_u32_e32 v5, vcc, v5, v6
	v_addc_co_u32_e32 v6, vcc, 0, v7, vcc
	v_mul_lo_u32 v8, s35, v5
	v_mul_lo_u32 v9, s34, v6
	v_mad_u64_u32 v[6:7], s[0:1], s34, v5, 0
	v_add3_u32 v5, v7, v9, v8
	v_sub_u32_e32 v7, v11, v5
	v_mov_b32_e32 v8, s35
	v_sub_co_u32_e32 v6, vcc, v12, v6
	v_subb_co_u32_e64 v7, s[0:1], v7, v8, vcc
	v_subrev_co_u32_e64 v8, s[0:1], s34, v6
	v_subbrev_co_u32_e64 v7, s[0:1], 0, v7, s[0:1]
	v_cmp_le_u32_e64 s[0:1], s35, v7
	v_subb_co_u32_e32 v5, vcc, v11, v5, vcc
	v_cndmask_b32_e64 v9, 0, -1, s[0:1]
	v_cmp_le_u32_e64 s[0:1], s34, v8
	v_cmp_le_u32_e32 vcc, s35, v5
	v_cndmask_b32_e64 v12, 0, -1, s[0:1]
	v_cmp_eq_u32_e64 s[0:1], s35, v7
	v_cndmask_b32_e64 v11, 0, -1, vcc
	v_cmp_le_u32_e32 vcc, s34, v6
	v_cndmask_b32_e64 v7, v9, v12, s[0:1]
	v_cndmask_b32_e64 v12, 0, -1, vcc
	v_cmp_eq_u32_e32 vcc, s35, v5
	v_subrev_co_u32_e64 v9, s[0:1], s34, v8
	v_cndmask_b32_e32 v5, v11, v12, vcc
	v_cmp_ne_u32_e32 vcc, 0, v7
	v_cndmask_b32_e32 v7, v8, v9, vcc
	v_cmp_ne_u32_e32 vcc, 0, v5
	v_cndmask_b32_e32 v5, v6, v7, vcc
	v_xor_b32_e32 v5, v5, v10
	v_sub_co_u32_e32 v8, vcc, v5, v10
.LBB97_9:                               ;   in Loop: Header=BB97_3 Depth=1
	s_andn2_saveexec_b64 s[0:1], s[2:3]
	s_cbranch_execz .LBB97_11
; %bb.10:                               ;   in Loop: Header=BB97_3 Depth=1
	v_cvt_f32_u32_e32 v5, s12
	s_sub_i32 s2, 0, s12
	v_rcp_iflag_f32_e32 v5, v5
	v_mul_f32_e32 v5, 0x4f7ffffe, v5
	v_cvt_u32_f32_e32 v5, v5
	v_mul_lo_u32 v6, s2, v5
	v_mul_hi_u32 v6, v5, v6
	v_add_u32_e32 v5, v5, v6
	v_mul_hi_u32 v5, v14, v5
	v_mul_lo_u32 v5, v5, s12
	v_sub_u32_e32 v5, v14, v5
	v_subrev_u32_e32 v6, s12, v5
	v_cmp_le_u32_e32 vcc, s12, v5
	v_cndmask_b32_e32 v5, v5, v6, vcc
	v_subrev_u32_e32 v6, s12, v5
	v_cmp_le_u32_e32 vcc, s12, v5
	v_cndmask_b32_e32 v8, v5, v6, vcc
.LBB97_11:                              ;   in Loop: Header=BB97_3 Depth=1
	s_or_b64 exec, exec, s[0:1]
	v_mul_lo_u32 v6, s17, v4
	v_mad_u64_u32 v[10:11], s[0:1], s16, v8, v[6:7]
	v_mul_lo_u32 v6, s19, v4
	s_andn2_b64 vcc, exec, s[14:15]
	v_mad_u64_u32 v[6:7], s[0:1], s18, v8, v[6:7]
	s_cbranch_vccnz .LBB97_41
; %bb.12:                               ;   in Loop: Header=BB97_3 Depth=1
	v_cmp_ne_u64_e32 vcc, 0, v[2:3]
                                        ; implicit-def: $vgpr12_vgpr13
	s_and_saveexec_b64 s[0:1], vcc
	s_xor_b64 s[2:3], exec, s[0:1]
	s_cbranch_execz .LBB97_14
; %bb.13:                               ;   in Loop: Header=BB97_3 Depth=1
	s_add_u32 s0, s12, s44
	s_mov_b32 s34, s44
	s_mov_b32 s35, s44
	s_addc_u32 s1, s44, s44
	s_xor_b64 s[36:37], s[0:1], s[34:35]
	v_cvt_f32_u32_e32 v3, s36
	v_cvt_f32_u32_e32 v5, s37
	s_sub_u32 s0, 0, s36
	s_subb_u32 s1, 0, s37
	v_mac_f32_e32 v3, 0x4f800000, v5
	v_rcp_f32_e32 v3, v3
	v_mul_f32_e32 v3, 0x5f7ffffc, v3
	v_mul_f32_e32 v5, 0x2f800000, v3
	v_trunc_f32_e32 v5, v5
	v_mac_f32_e32 v3, 0xcf800000, v5
	v_cvt_u32_f32_e32 v5, v5
	v_cvt_u32_f32_e32 v3, v3
	v_mul_lo_u32 v7, s0, v5
	v_mul_hi_u32 v11, s0, v3
	v_mul_lo_u32 v9, s1, v3
	v_add_u32_e32 v7, v11, v7
	v_mul_lo_u32 v12, s0, v3
	v_add_u32_e32 v7, v7, v9
	v_mul_lo_u32 v11, v3, v7
	v_mul_hi_u32 v13, v3, v12
	v_mul_hi_u32 v9, v3, v7
	v_add_co_u32_e32 v11, vcc, v13, v11
	v_addc_co_u32_e32 v9, vcc, 0, v9, vcc
	v_mul_hi_u32 v16, v5, v12
	v_mul_lo_u32 v12, v5, v12
	v_add_co_u32_e32 v11, vcc, v11, v12
	v_mul_hi_u32 v13, v5, v7
	v_addc_co_u32_e32 v9, vcc, v9, v16, vcc
	v_addc_co_u32_e32 v11, vcc, 0, v13, vcc
	v_mul_lo_u32 v7, v5, v7
	v_add_co_u32_e32 v7, vcc, v9, v7
	v_addc_co_u32_e32 v9, vcc, 0, v11, vcc
	v_add_co_u32_e32 v3, vcc, v3, v7
	v_addc_co_u32_e32 v5, vcc, v5, v9, vcc
	v_mul_lo_u32 v7, s0, v5
	v_mul_hi_u32 v9, s0, v3
	v_add_u32_e32 v7, v9, v7
	v_mul_lo_u32 v9, s1, v3
	v_add_u32_e32 v7, v7, v9
	v_mul_lo_u32 v11, s0, v3
	v_mul_hi_u32 v12, v5, v11
	v_mul_lo_u32 v13, v5, v11
	v_mul_lo_u32 v17, v3, v7
	v_mul_hi_u32 v11, v3, v11
	v_mul_hi_u32 v16, v3, v7
	v_add_co_u32_e32 v11, vcc, v11, v17
	v_addc_co_u32_e32 v16, vcc, 0, v16, vcc
	v_add_co_u32_e32 v11, vcc, v11, v13
	v_mul_hi_u32 v9, v5, v7
	v_addc_co_u32_e32 v11, vcc, v16, v12, vcc
	v_addc_co_u32_e32 v9, vcc, 0, v9, vcc
	v_mul_lo_u32 v7, v5, v7
	v_add_co_u32_e32 v7, vcc, v11, v7
	v_addc_co_u32_e32 v9, vcc, 0, v9, vcc
	v_add_co_u32_e32 v3, vcc, v3, v7
	v_addc_co_u32_e32 v5, vcc, v5, v9, vcc
	v_ashrrev_i32_e32 v7, 31, v15
	v_add_co_u32_e32 v9, vcc, v14, v7
	v_xor_b32_e32 v9, v9, v7
	v_addc_co_u32_e32 v11, vcc, v15, v7, vcc
	v_mad_u64_u32 v[12:13], s[0:1], v9, v5, 0
	v_mul_hi_u32 v14, v9, v3
	v_xor_b32_e32 v11, v11, v7
	v_add_co_u32_e32 v16, vcc, v14, v12
	v_addc_co_u32_e32 v17, vcc, 0, v13, vcc
	v_mad_u64_u32 v[14:15], s[0:1], v11, v3, 0
	v_add_co_u32_e32 v3, vcc, v16, v14
	v_mad_u64_u32 v[12:13], s[0:1], v11, v5, 0
	v_addc_co_u32_e32 v3, vcc, v17, v15, vcc
	v_addc_co_u32_e32 v5, vcc, 0, v13, vcc
	v_add_co_u32_e32 v3, vcc, v3, v12
	v_addc_co_u32_e32 v5, vcc, 0, v5, vcc
	v_mul_lo_u32 v14, s37, v3
	v_mul_lo_u32 v15, s36, v5
	v_mad_u64_u32 v[12:13], s[0:1], s36, v3, 0
	v_add3_u32 v13, v13, v15, v14
	v_sub_u32_e32 v14, v11, v13
	v_mov_b32_e32 v15, s37
	v_sub_co_u32_e32 v9, vcc, v9, v12
	v_subb_co_u32_e64 v12, s[0:1], v14, v15, vcc
	v_subrev_co_u32_e64 v14, s[0:1], s36, v9
	v_subbrev_co_u32_e64 v12, s[0:1], 0, v12, s[0:1]
	v_cmp_le_u32_e64 s[0:1], s37, v12
	v_cndmask_b32_e64 v15, 0, -1, s[0:1]
	v_cmp_le_u32_e64 s[0:1], s36, v14
	v_cndmask_b32_e64 v14, 0, -1, s[0:1]
	v_cmp_eq_u32_e64 s[0:1], s37, v12
	v_cndmask_b32_e64 v12, v15, v14, s[0:1]
	v_add_co_u32_e64 v14, s[0:1], 2, v3
	v_subb_co_u32_e32 v11, vcc, v11, v13, vcc
	v_addc_co_u32_e64 v15, s[0:1], 0, v5, s[0:1]
	v_cmp_le_u32_e32 vcc, s37, v11
	v_add_co_u32_e64 v16, s[0:1], 1, v3
	v_cndmask_b32_e64 v13, 0, -1, vcc
	v_cmp_le_u32_e32 vcc, s36, v9
	v_addc_co_u32_e64 v17, s[0:1], 0, v5, s[0:1]
	v_cndmask_b32_e64 v9, 0, -1, vcc
	v_cmp_eq_u32_e32 vcc, s37, v11
	v_cmp_ne_u32_e64 s[0:1], 0, v12
	v_cndmask_b32_e32 v9, v13, v9, vcc
	v_cmp_ne_u32_e32 vcc, 0, v9
	v_cndmask_b32_e64 v9, v16, v14, s[0:1]
	v_cndmask_b32_e64 v12, v17, v15, s[0:1]
	v_cndmask_b32_e32 v3, v3, v9, vcc
	v_xor_b32_e32 v9, s35, v7
	v_xor_b32_e32 v7, s34, v7
	v_cndmask_b32_e32 v5, v5, v12, vcc
	v_xor_b32_e32 v3, v3, v7
	v_xor_b32_e32 v5, v5, v9
	v_sub_co_u32_e32 v12, vcc, v3, v7
	v_subb_co_u32_e32 v13, vcc, v5, v9, vcc
                                        ; implicit-def: $vgpr14_vgpr15
.LBB97_14:                              ;   in Loop: Header=BB97_3 Depth=1
	s_andn2_saveexec_b64 s[0:1], s[2:3]
	s_cbranch_execz .LBB97_16
; %bb.15:                               ;   in Loop: Header=BB97_3 Depth=1
	v_cvt_f32_u32_e32 v3, s12
	s_sub_i32 s2, 0, s12
	v_mov_b32_e32 v13, v2
	v_rcp_iflag_f32_e32 v3, v3
	v_mul_f32_e32 v3, 0x4f7ffffe, v3
	v_cvt_u32_f32_e32 v3, v3
	v_mul_lo_u32 v5, s2, v3
	v_mul_hi_u32 v5, v3, v5
	v_add_u32_e32 v3, v3, v5
	v_mul_hi_u32 v3, v14, v3
	v_mul_lo_u32 v5, v3, s12
	v_sub_u32_e32 v5, v14, v5
	v_add_u32_e32 v7, 1, v3
	v_subrev_u32_e32 v9, s12, v5
	v_cmp_le_u32_e32 vcc, s12, v5
	v_cndmask_b32_e32 v5, v5, v9, vcc
	v_cndmask_b32_e32 v3, v3, v7, vcc
	v_add_u32_e32 v7, 1, v3
	v_cmp_le_u32_e32 vcc, s12, v5
	v_cndmask_b32_e32 v12, v3, v7, vcc
.LBB97_16:                              ;   in Loop: Header=BB97_3 Depth=1
	s_or_b64 exec, exec, s[0:1]
	s_andn2_b64 vcc, exec, s[22:23]
	s_mov_b32 s52, 1
	s_mov_b32 s20, s48
	s_cbranch_vccz .LBB97_37
.LBB97_17:                              ;   in Loop: Header=BB97_3 Depth=1
	s_and_b64 vcc, exec, s[24:25]
	s_cbranch_vccz .LBB97_41
.LBB97_18:                              ;   Parent Loop BB97_3 Depth=1
                                        ; =>  This Inner Loop Header: Depth=2
	s_lshl_b64 s[2:3], s[20:21], 2
	s_add_u32 s34, s33, s2
	s_addc_u32 s35, s42, s3
	s_load_dword s52, s[34:35], 0x8
                                        ; implicit-def: $vgpr14_vgpr15
	s_waitcnt lgkmcnt(0)
	s_ashr_i32 s0, s52, 31
	v_or_b32_e32 v3, s0, v13
	v_cmp_ne_u64_e32 vcc, 0, v[2:3]
	s_and_saveexec_b64 s[36:37], vcc
	s_xor_b64 s[36:37], exec, s[36:37]
	s_cbranch_execz .LBB97_20
; %bb.19:                               ;   in Loop: Header=BB97_18 Depth=2
	s_add_u32 s40, s52, s0
	s_mov_b32 s38, s0
	s_mov_b32 s39, s0
	s_addc_u32 s41, s0, s0
	s_xor_b64 s[40:41], s[40:41], s[38:39]
	v_cvt_f32_u32_e32 v3, s40
	v_cvt_f32_u32_e32 v5, s41
	s_sub_u32 s0, 0, s40
	s_subb_u32 s1, 0, s41
	v_mac_f32_e32 v3, 0x4f800000, v5
	v_rcp_f32_e32 v3, v3
	v_mul_f32_e32 v3, 0x5f7ffffc, v3
	v_mul_f32_e32 v5, 0x2f800000, v3
	v_trunc_f32_e32 v5, v5
	v_mac_f32_e32 v3, 0xcf800000, v5
	v_cvt_u32_f32_e32 v5, v5
	v_cvt_u32_f32_e32 v3, v3
	v_mul_lo_u32 v7, s0, v5
	v_mul_hi_u32 v11, s0, v3
	v_mul_lo_u32 v9, s1, v3
	v_add_u32_e32 v7, v11, v7
	v_mul_lo_u32 v14, s0, v3
	v_add_u32_e32 v7, v7, v9
	v_mul_lo_u32 v11, v3, v7
	v_mul_hi_u32 v15, v3, v14
	v_mul_hi_u32 v9, v3, v7
	v_add_co_u32_e32 v11, vcc, v15, v11
	v_addc_co_u32_e32 v9, vcc, 0, v9, vcc
	v_mul_hi_u32 v16, v5, v14
	v_mul_lo_u32 v14, v5, v14
	v_add_co_u32_e32 v11, vcc, v11, v14
	v_mul_hi_u32 v15, v5, v7
	v_addc_co_u32_e32 v9, vcc, v9, v16, vcc
	v_addc_co_u32_e32 v11, vcc, 0, v15, vcc
	v_mul_lo_u32 v7, v5, v7
	v_add_co_u32_e32 v7, vcc, v9, v7
	v_addc_co_u32_e32 v9, vcc, 0, v11, vcc
	v_add_co_u32_e32 v3, vcc, v3, v7
	v_addc_co_u32_e32 v5, vcc, v5, v9, vcc
	v_mul_lo_u32 v7, s0, v5
	v_mul_hi_u32 v9, s0, v3
	v_add_u32_e32 v7, v9, v7
	v_mul_lo_u32 v9, s1, v3
	v_add_u32_e32 v7, v7, v9
	v_mul_lo_u32 v11, s0, v3
	v_mul_hi_u32 v14, v5, v11
	v_mul_lo_u32 v15, v5, v11
	v_mul_lo_u32 v17, v3, v7
	v_mul_hi_u32 v11, v3, v11
	v_mul_hi_u32 v16, v3, v7
	v_add_co_u32_e32 v11, vcc, v11, v17
	v_addc_co_u32_e32 v16, vcc, 0, v16, vcc
	v_add_co_u32_e32 v11, vcc, v11, v15
	v_mul_hi_u32 v9, v5, v7
	v_addc_co_u32_e32 v11, vcc, v16, v14, vcc
	v_addc_co_u32_e32 v9, vcc, 0, v9, vcc
	v_mul_lo_u32 v7, v5, v7
	v_add_co_u32_e32 v7, vcc, v11, v7
	v_addc_co_u32_e32 v9, vcc, 0, v9, vcc
	v_add_co_u32_e32 v3, vcc, v3, v7
	v_addc_co_u32_e32 v5, vcc, v5, v9, vcc
	v_ashrrev_i32_e32 v7, 31, v13
	v_add_co_u32_e32 v9, vcc, v12, v7
	v_xor_b32_e32 v9, v9, v7
	v_addc_co_u32_e32 v11, vcc, v13, v7, vcc
	v_mad_u64_u32 v[14:15], s[0:1], v9, v5, 0
	v_mul_hi_u32 v13, v9, v3
	v_xor_b32_e32 v11, v11, v7
	v_add_co_u32_e32 v13, vcc, v13, v14
	v_addc_co_u32_e32 v18, vcc, 0, v15, vcc
	v_mad_u64_u32 v[16:17], s[0:1], v11, v3, 0
	v_add_co_u32_e32 v3, vcc, v13, v16
	v_mad_u64_u32 v[14:15], s[0:1], v11, v5, 0
	v_addc_co_u32_e32 v3, vcc, v18, v17, vcc
	v_addc_co_u32_e32 v5, vcc, 0, v15, vcc
	v_add_co_u32_e32 v3, vcc, v3, v14
	v_addc_co_u32_e32 v5, vcc, 0, v5, vcc
	v_mul_lo_u32 v13, s41, v3
	v_mul_lo_u32 v16, s40, v5
	v_mad_u64_u32 v[14:15], s[0:1], s40, v3, 0
	v_add3_u32 v13, v15, v16, v13
	v_sub_u32_e32 v15, v11, v13
	v_mov_b32_e32 v16, s41
	v_sub_co_u32_e32 v9, vcc, v9, v14
	v_subb_co_u32_e64 v14, s[0:1], v15, v16, vcc
	v_subrev_co_u32_e64 v15, s[0:1], s40, v9
	v_subbrev_co_u32_e64 v14, s[0:1], 0, v14, s[0:1]
	v_cmp_le_u32_e64 s[0:1], s41, v14
	v_cndmask_b32_e64 v16, 0, -1, s[0:1]
	v_cmp_le_u32_e64 s[0:1], s40, v15
	v_cndmask_b32_e64 v15, 0, -1, s[0:1]
	v_cmp_eq_u32_e64 s[0:1], s41, v14
	v_cndmask_b32_e64 v14, v16, v15, s[0:1]
	v_add_co_u32_e64 v15, s[0:1], 2, v3
	v_subb_co_u32_e32 v11, vcc, v11, v13, vcc
	v_addc_co_u32_e64 v16, s[0:1], 0, v5, s[0:1]
	v_cmp_le_u32_e32 vcc, s41, v11
	v_add_co_u32_e64 v17, s[0:1], 1, v3
	v_cndmask_b32_e64 v13, 0, -1, vcc
	v_cmp_le_u32_e32 vcc, s40, v9
	v_addc_co_u32_e64 v18, s[0:1], 0, v5, s[0:1]
	v_cndmask_b32_e64 v9, 0, -1, vcc
	v_cmp_eq_u32_e32 vcc, s41, v11
	v_cmp_ne_u32_e64 s[0:1], 0, v14
	v_cndmask_b32_e32 v9, v13, v9, vcc
	v_cmp_ne_u32_e32 vcc, 0, v9
	v_cndmask_b32_e64 v9, v17, v15, s[0:1]
	v_cndmask_b32_e64 v14, v18, v16, s[0:1]
	v_cndmask_b32_e32 v3, v3, v9, vcc
	v_xor_b32_e32 v9, s39, v7
	v_xor_b32_e32 v7, s38, v7
	v_cndmask_b32_e32 v5, v5, v14, vcc
	v_xor_b32_e32 v3, v3, v7
	v_xor_b32_e32 v5, v5, v9
	v_sub_co_u32_e32 v14, vcc, v3, v7
	v_subb_co_u32_e32 v15, vcc, v5, v9, vcc
.LBB97_20:                              ;   in Loop: Header=BB97_18 Depth=2
	s_andn2_saveexec_b64 s[0:1], s[36:37]
	s_cbranch_execz .LBB97_22
; %bb.21:                               ;   in Loop: Header=BB97_18 Depth=2
	v_cvt_f32_u32_e32 v3, s52
	s_sub_i32 s36, 0, s52
	v_mov_b32_e32 v15, v2
	v_rcp_iflag_f32_e32 v3, v3
	v_mul_f32_e32 v3, 0x4f7ffffe, v3
	v_cvt_u32_f32_e32 v3, v3
	v_mul_lo_u32 v5, s36, v3
	v_mul_hi_u32 v5, v3, v5
	v_add_u32_e32 v3, v3, v5
	v_mul_hi_u32 v3, v12, v3
	v_mul_lo_u32 v5, v3, s52
	v_sub_u32_e32 v5, v12, v5
	v_add_u32_e32 v7, 1, v3
	v_subrev_u32_e32 v9, s52, v5
	v_cmp_le_u32_e32 vcc, s52, v5
	v_cndmask_b32_e32 v5, v5, v9, vcc
	v_cndmask_b32_e32 v3, v3, v7, vcc
	v_add_u32_e32 v7, 1, v3
	v_cmp_le_u32_e32 vcc, s52, v5
	v_cndmask_b32_e32 v14, v3, v7, vcc
.LBB97_22:                              ;   in Loop: Header=BB97_18 Depth=2
	s_or_b64 exec, exec, s[0:1]
	s_add_u32 s0, s46, s2
	s_addc_u32 s1, s47, s3
	s_add_i32 s2, s20, -1
	s_mov_b32 s3, s21
	s_lshl_b64 s[36:37], s[2:3], 2
	s_add_u32 s2, s33, s36
	s_addc_u32 s3, s42, s37
	s_load_dword s53, s[2:3], 0x8
	s_load_dword s54, s[34:35], 0x6c
	;; [unrolled: 1-line block ×3, first 2 shown]
                                        ; implicit-def: $vgpr16_vgpr17
	s_waitcnt lgkmcnt(0)
	s_ashr_i32 s0, s53, 31
	v_or_b32_e32 v3, s0, v15
	v_cmp_ne_u64_e32 vcc, 0, v[2:3]
	s_and_saveexec_b64 s[34:35], vcc
	s_xor_b64 s[34:35], exec, s[34:35]
	s_cbranch_execz .LBB97_24
; %bb.23:                               ;   in Loop: Header=BB97_18 Depth=2
	s_add_u32 s40, s53, s0
	s_mov_b32 s38, s0
	s_mov_b32 s39, s0
	s_addc_u32 s41, s0, s0
	s_xor_b64 s[40:41], s[40:41], s[38:39]
	v_cvt_f32_u32_e32 v3, s40
	v_cvt_f32_u32_e32 v5, s41
	s_sub_u32 s0, 0, s40
	s_subb_u32 s1, 0, s41
	v_mac_f32_e32 v3, 0x4f800000, v5
	v_rcp_f32_e32 v3, v3
	v_mul_f32_e32 v3, 0x5f7ffffc, v3
	v_mul_f32_e32 v5, 0x2f800000, v3
	v_trunc_f32_e32 v5, v5
	v_mac_f32_e32 v3, 0xcf800000, v5
	v_cvt_u32_f32_e32 v5, v5
	v_cvt_u32_f32_e32 v3, v3
	v_mul_lo_u32 v7, s0, v5
	v_mul_hi_u32 v11, s0, v3
	v_mul_lo_u32 v9, s1, v3
	v_add_u32_e32 v7, v11, v7
	v_mul_lo_u32 v13, s0, v3
	v_add_u32_e32 v7, v7, v9
	v_mul_lo_u32 v11, v3, v7
	v_mul_hi_u32 v16, v3, v13
	v_mul_hi_u32 v9, v3, v7
	v_add_co_u32_e32 v11, vcc, v16, v11
	v_addc_co_u32_e32 v9, vcc, 0, v9, vcc
	v_mul_hi_u32 v17, v5, v13
	v_mul_lo_u32 v13, v5, v13
	v_add_co_u32_e32 v11, vcc, v11, v13
	v_mul_hi_u32 v16, v5, v7
	v_addc_co_u32_e32 v9, vcc, v9, v17, vcc
	v_addc_co_u32_e32 v11, vcc, 0, v16, vcc
	v_mul_lo_u32 v7, v5, v7
	v_add_co_u32_e32 v7, vcc, v9, v7
	v_addc_co_u32_e32 v9, vcc, 0, v11, vcc
	v_add_co_u32_e32 v3, vcc, v3, v7
	v_addc_co_u32_e32 v5, vcc, v5, v9, vcc
	v_mul_lo_u32 v7, s0, v5
	v_mul_hi_u32 v9, s0, v3
	v_add_u32_e32 v7, v9, v7
	v_mul_lo_u32 v9, s1, v3
	v_add_u32_e32 v7, v7, v9
	v_mul_lo_u32 v11, s0, v3
	v_mul_hi_u32 v13, v5, v11
	v_mul_lo_u32 v16, v5, v11
	v_mul_lo_u32 v18, v3, v7
	v_mul_hi_u32 v11, v3, v11
	v_mul_hi_u32 v17, v3, v7
	v_add_co_u32_e32 v11, vcc, v11, v18
	v_addc_co_u32_e32 v17, vcc, 0, v17, vcc
	v_add_co_u32_e32 v11, vcc, v11, v16
	v_mul_hi_u32 v9, v5, v7
	v_addc_co_u32_e32 v11, vcc, v17, v13, vcc
	v_addc_co_u32_e32 v9, vcc, 0, v9, vcc
	v_mul_lo_u32 v7, v5, v7
	v_add_co_u32_e32 v7, vcc, v11, v7
	v_addc_co_u32_e32 v9, vcc, 0, v9, vcc
	v_add_co_u32_e32 v3, vcc, v3, v7
	v_addc_co_u32_e32 v5, vcc, v5, v9, vcc
	v_ashrrev_i32_e32 v7, 31, v15
	v_add_co_u32_e32 v9, vcc, v14, v7
	v_xor_b32_e32 v9, v9, v7
	v_addc_co_u32_e32 v11, vcc, v15, v7, vcc
	v_mad_u64_u32 v[16:17], s[0:1], v9, v5, 0
	v_mul_hi_u32 v13, v9, v3
	v_xor_b32_e32 v11, v11, v7
	v_add_co_u32_e32 v13, vcc, v13, v16
	v_addc_co_u32_e32 v15, vcc, 0, v17, vcc
	v_mad_u64_u32 v[18:19], s[0:1], v11, v3, 0
	v_add_co_u32_e32 v3, vcc, v13, v18
	v_mad_u64_u32 v[16:17], s[0:1], v11, v5, 0
	v_addc_co_u32_e32 v3, vcc, v15, v19, vcc
	v_addc_co_u32_e32 v5, vcc, 0, v17, vcc
	v_add_co_u32_e32 v3, vcc, v3, v16
	v_addc_co_u32_e32 v5, vcc, 0, v5, vcc
	v_mul_lo_u32 v13, s41, v3
	v_mul_lo_u32 v15, s40, v5
	v_mad_u64_u32 v[16:17], s[0:1], s40, v3, 0
	v_add3_u32 v13, v17, v15, v13
	v_sub_u32_e32 v15, v11, v13
	v_mov_b32_e32 v17, s41
	v_sub_co_u32_e32 v9, vcc, v9, v16
	v_subb_co_u32_e64 v15, s[0:1], v15, v17, vcc
	v_subrev_co_u32_e64 v16, s[0:1], s40, v9
	v_subbrev_co_u32_e64 v15, s[0:1], 0, v15, s[0:1]
	v_cmp_le_u32_e64 s[0:1], s41, v15
	v_cndmask_b32_e64 v17, 0, -1, s[0:1]
	v_cmp_le_u32_e64 s[0:1], s40, v16
	v_cndmask_b32_e64 v16, 0, -1, s[0:1]
	v_cmp_eq_u32_e64 s[0:1], s41, v15
	v_cndmask_b32_e64 v15, v17, v16, s[0:1]
	v_add_co_u32_e64 v16, s[0:1], 2, v3
	v_subb_co_u32_e32 v11, vcc, v11, v13, vcc
	v_addc_co_u32_e64 v17, s[0:1], 0, v5, s[0:1]
	v_cmp_le_u32_e32 vcc, s41, v11
	v_add_co_u32_e64 v18, s[0:1], 1, v3
	v_cndmask_b32_e64 v13, 0, -1, vcc
	v_cmp_le_u32_e32 vcc, s40, v9
	v_addc_co_u32_e64 v19, s[0:1], 0, v5, s[0:1]
	v_cndmask_b32_e64 v9, 0, -1, vcc
	v_cmp_eq_u32_e32 vcc, s41, v11
	v_cmp_ne_u32_e64 s[0:1], 0, v15
	v_cndmask_b32_e32 v9, v13, v9, vcc
	v_cmp_ne_u32_e32 vcc, 0, v9
	v_cndmask_b32_e64 v9, v18, v16, s[0:1]
	v_cndmask_b32_e64 v15, v19, v17, s[0:1]
	v_cndmask_b32_e32 v3, v3, v9, vcc
	v_xor_b32_e32 v9, s39, v7
	v_xor_b32_e32 v7, s38, v7
	v_cndmask_b32_e32 v5, v5, v15, vcc
	v_xor_b32_e32 v3, v3, v7
	v_xor_b32_e32 v5, v5, v9
	v_sub_co_u32_e32 v16, vcc, v3, v7
	v_subb_co_u32_e32 v17, vcc, v5, v9, vcc
.LBB97_24:                              ;   in Loop: Header=BB97_18 Depth=2
	s_andn2_saveexec_b64 s[0:1], s[34:35]
	s_cbranch_execz .LBB97_26
; %bb.25:                               ;   in Loop: Header=BB97_18 Depth=2
	v_cvt_f32_u32_e32 v3, s53
	s_sub_i32 s34, 0, s53
	v_mov_b32_e32 v17, v2
	v_rcp_iflag_f32_e32 v3, v3
	v_mul_f32_e32 v3, 0x4f7ffffe, v3
	v_cvt_u32_f32_e32 v3, v3
	v_mul_lo_u32 v5, s34, v3
	v_mul_hi_u32 v5, v3, v5
	v_add_u32_e32 v3, v3, v5
	v_mul_hi_u32 v3, v14, v3
	v_mul_lo_u32 v5, v3, s53
	v_sub_u32_e32 v5, v14, v5
	v_add_u32_e32 v7, 1, v3
	v_subrev_u32_e32 v9, s53, v5
	v_cmp_le_u32_e32 vcc, s53, v5
	v_cndmask_b32_e32 v5, v5, v9, vcc
	v_cndmask_b32_e32 v3, v3, v7, vcc
	v_add_u32_e32 v7, 1, v3
	v_cmp_le_u32_e32 vcc, s53, v5
	v_cndmask_b32_e32 v16, v3, v7, vcc
.LBB97_26:                              ;   in Loop: Header=BB97_18 Depth=2
	s_or_b64 exec, exec, s[0:1]
	s_add_u32 s0, s46, s36
	s_addc_u32 s1, s47, s37
	s_add_i32 s34, s20, -2
	s_mov_b32 s35, s21
	s_lshl_b64 s[34:35], s[34:35], 2
	s_add_u32 s36, s33, s34
	s_addc_u32 s37, s42, s35
	s_load_dword s56, s[36:37], 0x8
	s_load_dword s58, s[2:3], 0x6c
	s_load_dword s57, s[0:1], 0x0
                                        ; implicit-def: $vgpr18_vgpr19
	s_waitcnt lgkmcnt(0)
	s_ashr_i32 s0, s56, 31
	v_or_b32_e32 v3, s0, v17
	v_cmp_ne_u64_e32 vcc, 0, v[2:3]
	s_and_saveexec_b64 s[2:3], vcc
	s_xor_b64 s[2:3], exec, s[2:3]
	s_cbranch_execz .LBB97_28
; %bb.27:                               ;   in Loop: Header=BB97_18 Depth=2
	s_add_u32 s40, s56, s0
	s_mov_b32 s38, s0
	s_mov_b32 s39, s0
	s_addc_u32 s41, s0, s0
	s_xor_b64 s[40:41], s[40:41], s[38:39]
	v_cvt_f32_u32_e32 v3, s40
	v_cvt_f32_u32_e32 v5, s41
	s_sub_u32 s0, 0, s40
	s_subb_u32 s1, 0, s41
	v_mac_f32_e32 v3, 0x4f800000, v5
	v_rcp_f32_e32 v3, v3
	v_mul_f32_e32 v3, 0x5f7ffffc, v3
	v_mul_f32_e32 v5, 0x2f800000, v3
	v_trunc_f32_e32 v5, v5
	v_mac_f32_e32 v3, 0xcf800000, v5
	v_cvt_u32_f32_e32 v5, v5
	v_cvt_u32_f32_e32 v3, v3
	v_mul_lo_u32 v7, s0, v5
	v_mul_hi_u32 v11, s0, v3
	v_mul_lo_u32 v9, s1, v3
	v_add_u32_e32 v7, v11, v7
	v_mul_lo_u32 v13, s0, v3
	v_add_u32_e32 v7, v7, v9
	v_mul_lo_u32 v11, v3, v7
	v_mul_hi_u32 v15, v3, v13
	v_mul_hi_u32 v9, v3, v7
	v_add_co_u32_e32 v11, vcc, v15, v11
	v_addc_co_u32_e32 v9, vcc, 0, v9, vcc
	v_mul_hi_u32 v18, v5, v13
	v_mul_lo_u32 v13, v5, v13
	v_add_co_u32_e32 v11, vcc, v11, v13
	v_mul_hi_u32 v15, v5, v7
	v_addc_co_u32_e32 v9, vcc, v9, v18, vcc
	v_addc_co_u32_e32 v11, vcc, 0, v15, vcc
	v_mul_lo_u32 v7, v5, v7
	v_add_co_u32_e32 v7, vcc, v9, v7
	v_addc_co_u32_e32 v9, vcc, 0, v11, vcc
	v_add_co_u32_e32 v3, vcc, v3, v7
	v_addc_co_u32_e32 v5, vcc, v5, v9, vcc
	v_mul_lo_u32 v7, s0, v5
	v_mul_hi_u32 v9, s0, v3
	v_add_u32_e32 v7, v9, v7
	v_mul_lo_u32 v9, s1, v3
	v_add_u32_e32 v7, v7, v9
	v_mul_lo_u32 v11, s0, v3
	v_mul_hi_u32 v13, v5, v11
	v_mul_lo_u32 v15, v5, v11
	v_mul_lo_u32 v19, v3, v7
	v_mul_hi_u32 v11, v3, v11
	v_mul_hi_u32 v18, v3, v7
	v_add_co_u32_e32 v11, vcc, v11, v19
	v_addc_co_u32_e32 v18, vcc, 0, v18, vcc
	v_add_co_u32_e32 v11, vcc, v11, v15
	v_mul_hi_u32 v9, v5, v7
	v_addc_co_u32_e32 v11, vcc, v18, v13, vcc
	v_addc_co_u32_e32 v9, vcc, 0, v9, vcc
	v_mul_lo_u32 v7, v5, v7
	v_add_co_u32_e32 v7, vcc, v11, v7
	v_addc_co_u32_e32 v9, vcc, 0, v9, vcc
	v_add_co_u32_e32 v3, vcc, v3, v7
	v_addc_co_u32_e32 v5, vcc, v5, v9, vcc
	v_ashrrev_i32_e32 v7, 31, v17
	v_add_co_u32_e32 v9, vcc, v16, v7
	v_xor_b32_e32 v9, v9, v7
	v_addc_co_u32_e32 v11, vcc, v17, v7, vcc
	v_mad_u64_u32 v[18:19], s[0:1], v9, v5, 0
	v_mul_hi_u32 v13, v9, v3
	v_xor_b32_e32 v11, v11, v7
	v_add_co_u32_e32 v13, vcc, v13, v18
	v_addc_co_u32_e32 v15, vcc, 0, v19, vcc
	v_mad_u64_u32 v[20:21], s[0:1], v11, v3, 0
	v_add_co_u32_e32 v3, vcc, v13, v20
	v_mad_u64_u32 v[18:19], s[0:1], v11, v5, 0
	v_addc_co_u32_e32 v3, vcc, v15, v21, vcc
	v_addc_co_u32_e32 v5, vcc, 0, v19, vcc
	v_add_co_u32_e32 v3, vcc, v3, v18
	v_addc_co_u32_e32 v5, vcc, 0, v5, vcc
	v_mul_lo_u32 v13, s41, v3
	v_mul_lo_u32 v15, s40, v5
	v_mad_u64_u32 v[18:19], s[0:1], s40, v3, 0
	v_add3_u32 v13, v19, v15, v13
	v_sub_u32_e32 v15, v11, v13
	v_mov_b32_e32 v17, s41
	v_sub_co_u32_e32 v9, vcc, v9, v18
	v_subb_co_u32_e64 v15, s[0:1], v15, v17, vcc
	v_subrev_co_u32_e64 v17, s[0:1], s40, v9
	v_subbrev_co_u32_e64 v15, s[0:1], 0, v15, s[0:1]
	v_cmp_le_u32_e64 s[0:1], s41, v15
	v_cndmask_b32_e64 v18, 0, -1, s[0:1]
	v_cmp_le_u32_e64 s[0:1], s40, v17
	v_cndmask_b32_e64 v17, 0, -1, s[0:1]
	v_cmp_eq_u32_e64 s[0:1], s41, v15
	v_cndmask_b32_e64 v15, v18, v17, s[0:1]
	v_add_co_u32_e64 v17, s[0:1], 2, v3
	v_subb_co_u32_e32 v11, vcc, v11, v13, vcc
	v_addc_co_u32_e64 v18, s[0:1], 0, v5, s[0:1]
	v_cmp_le_u32_e32 vcc, s41, v11
	v_add_co_u32_e64 v19, s[0:1], 1, v3
	v_cndmask_b32_e64 v13, 0, -1, vcc
	v_cmp_le_u32_e32 vcc, s40, v9
	v_addc_co_u32_e64 v20, s[0:1], 0, v5, s[0:1]
	v_cndmask_b32_e64 v9, 0, -1, vcc
	v_cmp_eq_u32_e32 vcc, s41, v11
	v_cmp_ne_u32_e64 s[0:1], 0, v15
	v_cndmask_b32_e32 v9, v13, v9, vcc
	v_cmp_ne_u32_e32 vcc, 0, v9
	v_cndmask_b32_e64 v9, v19, v17, s[0:1]
	v_cndmask_b32_e64 v15, v20, v18, s[0:1]
	v_cndmask_b32_e32 v3, v3, v9, vcc
	v_xor_b32_e32 v9, s39, v7
	v_xor_b32_e32 v7, s38, v7
	v_cndmask_b32_e32 v5, v5, v15, vcc
	v_xor_b32_e32 v3, v3, v7
	v_xor_b32_e32 v5, v5, v9
	v_sub_co_u32_e32 v18, vcc, v3, v7
	v_subb_co_u32_e32 v19, vcc, v5, v9, vcc
.LBB97_28:                              ;   in Loop: Header=BB97_18 Depth=2
	s_andn2_saveexec_b64 s[0:1], s[2:3]
	s_cbranch_execz .LBB97_30
; %bb.29:                               ;   in Loop: Header=BB97_18 Depth=2
	v_cvt_f32_u32_e32 v3, s56
	s_sub_i32 s2, 0, s56
	v_mov_b32_e32 v19, v2
	v_rcp_iflag_f32_e32 v3, v3
	v_mul_f32_e32 v3, 0x4f7ffffe, v3
	v_cvt_u32_f32_e32 v3, v3
	v_mul_lo_u32 v5, s2, v3
	v_mul_hi_u32 v5, v3, v5
	v_add_u32_e32 v3, v3, v5
	v_mul_hi_u32 v3, v16, v3
	v_mul_lo_u32 v5, v3, s56
	v_sub_u32_e32 v5, v16, v5
	v_add_u32_e32 v7, 1, v3
	v_subrev_u32_e32 v9, s56, v5
	v_cmp_le_u32_e32 vcc, s56, v5
	v_cndmask_b32_e32 v5, v5, v9, vcc
	v_cndmask_b32_e32 v3, v3, v7, vcc
	v_add_u32_e32 v7, 1, v3
	v_cmp_le_u32_e32 vcc, s56, v5
	v_cndmask_b32_e32 v18, v3, v7, vcc
.LBB97_30:                              ;   in Loop: Header=BB97_18 Depth=2
	s_or_b64 exec, exec, s[0:1]
	s_add_u32 s0, s46, s34
	s_addc_u32 s1, s47, s35
	s_add_i32 s2, s20, -3
	s_mov_b32 s3, s21
	s_lshl_b64 s[2:3], s[2:3], 2
	s_add_u32 s34, s33, s2
	s_addc_u32 s35, s42, s3
	s_load_dword s59, s[34:35], 0x8
	s_load_dword s60, s[36:37], 0x6c
	s_load_dword s61, s[0:1], 0x0
                                        ; implicit-def: $vgpr20_vgpr21
	s_waitcnt lgkmcnt(0)
	s_ashr_i32 s0, s59, 31
	v_or_b32_e32 v3, s0, v19
	v_cmp_ne_u64_e32 vcc, 0, v[2:3]
	s_and_saveexec_b64 s[36:37], vcc
	s_xor_b64 s[36:37], exec, s[36:37]
	s_cbranch_execz .LBB97_32
; %bb.31:                               ;   in Loop: Header=BB97_18 Depth=2
	s_add_u32 s40, s59, s0
	s_mov_b32 s38, s0
	s_mov_b32 s39, s0
	s_addc_u32 s41, s0, s0
	s_xor_b64 s[40:41], s[40:41], s[38:39]
	v_cvt_f32_u32_e32 v3, s40
	v_cvt_f32_u32_e32 v5, s41
	s_sub_u32 s0, 0, s40
	s_subb_u32 s1, 0, s41
	v_mac_f32_e32 v3, 0x4f800000, v5
	v_rcp_f32_e32 v3, v3
	v_mul_f32_e32 v3, 0x5f7ffffc, v3
	v_mul_f32_e32 v5, 0x2f800000, v3
	v_trunc_f32_e32 v5, v5
	v_mac_f32_e32 v3, 0xcf800000, v5
	v_cvt_u32_f32_e32 v5, v5
	v_cvt_u32_f32_e32 v3, v3
	v_mul_lo_u32 v7, s0, v5
	v_mul_hi_u32 v11, s0, v3
	v_mul_lo_u32 v9, s1, v3
	v_add_u32_e32 v7, v11, v7
	v_mul_lo_u32 v13, s0, v3
	v_add_u32_e32 v7, v7, v9
	v_mul_lo_u32 v11, v3, v7
	v_mul_hi_u32 v15, v3, v13
	v_mul_hi_u32 v9, v3, v7
	v_add_co_u32_e32 v11, vcc, v15, v11
	v_addc_co_u32_e32 v9, vcc, 0, v9, vcc
	v_mul_hi_u32 v17, v5, v13
	v_mul_lo_u32 v13, v5, v13
	v_add_co_u32_e32 v11, vcc, v11, v13
	v_mul_hi_u32 v15, v5, v7
	v_addc_co_u32_e32 v9, vcc, v9, v17, vcc
	v_addc_co_u32_e32 v11, vcc, 0, v15, vcc
	v_mul_lo_u32 v7, v5, v7
	v_add_co_u32_e32 v7, vcc, v9, v7
	v_addc_co_u32_e32 v9, vcc, 0, v11, vcc
	v_add_co_u32_e32 v3, vcc, v3, v7
	v_addc_co_u32_e32 v5, vcc, v5, v9, vcc
	v_mul_lo_u32 v7, s0, v5
	v_mul_hi_u32 v9, s0, v3
	v_add_u32_e32 v7, v9, v7
	v_mul_lo_u32 v9, s1, v3
	v_add_u32_e32 v7, v7, v9
	v_mul_lo_u32 v11, s0, v3
	v_mul_hi_u32 v13, v5, v11
	v_mul_lo_u32 v15, v5, v11
	v_mul_lo_u32 v20, v3, v7
	v_mul_hi_u32 v11, v3, v11
	v_mul_hi_u32 v17, v3, v7
	v_add_co_u32_e32 v11, vcc, v11, v20
	v_addc_co_u32_e32 v17, vcc, 0, v17, vcc
	v_add_co_u32_e32 v11, vcc, v11, v15
	v_mul_hi_u32 v9, v5, v7
	v_addc_co_u32_e32 v11, vcc, v17, v13, vcc
	v_addc_co_u32_e32 v9, vcc, 0, v9, vcc
	v_mul_lo_u32 v7, v5, v7
	v_add_co_u32_e32 v7, vcc, v11, v7
	v_addc_co_u32_e32 v9, vcc, 0, v9, vcc
	v_add_co_u32_e32 v3, vcc, v3, v7
	v_addc_co_u32_e32 v5, vcc, v5, v9, vcc
	v_ashrrev_i32_e32 v7, 31, v19
	v_add_co_u32_e32 v9, vcc, v18, v7
	v_xor_b32_e32 v9, v9, v7
	v_addc_co_u32_e32 v11, vcc, v19, v7, vcc
	v_mad_u64_u32 v[20:21], s[0:1], v9, v5, 0
	v_mul_hi_u32 v13, v9, v3
	v_xor_b32_e32 v11, v11, v7
	v_add_co_u32_e32 v13, vcc, v13, v20
	v_addc_co_u32_e32 v15, vcc, 0, v21, vcc
	v_mad_u64_u32 v[24:25], s[0:1], v11, v3, 0
	v_add_co_u32_e32 v3, vcc, v13, v24
	v_mad_u64_u32 v[20:21], s[0:1], v11, v5, 0
	v_addc_co_u32_e32 v3, vcc, v15, v25, vcc
	v_addc_co_u32_e32 v5, vcc, 0, v21, vcc
	v_add_co_u32_e32 v3, vcc, v3, v20
	v_addc_co_u32_e32 v5, vcc, 0, v5, vcc
	v_mul_lo_u32 v13, s41, v3
	v_mul_lo_u32 v15, s40, v5
	v_mad_u64_u32 v[20:21], s[0:1], s40, v3, 0
	v_add3_u32 v13, v21, v15, v13
	v_sub_u32_e32 v15, v11, v13
	v_mov_b32_e32 v17, s41
	v_sub_co_u32_e32 v9, vcc, v9, v20
	v_subb_co_u32_e64 v15, s[0:1], v15, v17, vcc
	v_subrev_co_u32_e64 v17, s[0:1], s40, v9
	v_subbrev_co_u32_e64 v15, s[0:1], 0, v15, s[0:1]
	v_cmp_le_u32_e64 s[0:1], s41, v15
	v_cndmask_b32_e64 v19, 0, -1, s[0:1]
	v_cmp_le_u32_e64 s[0:1], s40, v17
	v_cndmask_b32_e64 v17, 0, -1, s[0:1]
	v_cmp_eq_u32_e64 s[0:1], s41, v15
	v_cndmask_b32_e64 v15, v19, v17, s[0:1]
	v_add_co_u32_e64 v17, s[0:1], 2, v3
	v_subb_co_u32_e32 v11, vcc, v11, v13, vcc
	v_addc_co_u32_e64 v19, s[0:1], 0, v5, s[0:1]
	v_cmp_le_u32_e32 vcc, s41, v11
	v_add_co_u32_e64 v20, s[0:1], 1, v3
	v_cndmask_b32_e64 v13, 0, -1, vcc
	v_cmp_le_u32_e32 vcc, s40, v9
	v_addc_co_u32_e64 v21, s[0:1], 0, v5, s[0:1]
	v_cndmask_b32_e64 v9, 0, -1, vcc
	v_cmp_eq_u32_e32 vcc, s41, v11
	v_cmp_ne_u32_e64 s[0:1], 0, v15
	v_cndmask_b32_e32 v9, v13, v9, vcc
	v_cmp_ne_u32_e32 vcc, 0, v9
	v_cndmask_b32_e64 v9, v20, v17, s[0:1]
	v_cndmask_b32_e64 v15, v21, v19, s[0:1]
	v_cndmask_b32_e32 v3, v3, v9, vcc
	v_xor_b32_e32 v9, s39, v7
	v_xor_b32_e32 v7, s38, v7
	v_cndmask_b32_e32 v5, v5, v15, vcc
	v_xor_b32_e32 v3, v3, v7
	v_xor_b32_e32 v5, v5, v9
	v_sub_co_u32_e32 v20, vcc, v3, v7
	v_subb_co_u32_e32 v21, vcc, v5, v9, vcc
.LBB97_32:                              ;   in Loop: Header=BB97_18 Depth=2
	s_andn2_saveexec_b64 s[0:1], s[36:37]
	s_cbranch_execz .LBB97_34
; %bb.33:                               ;   in Loop: Header=BB97_18 Depth=2
	v_cvt_f32_u32_e32 v3, s59
	s_sub_i32 s36, 0, s59
	v_mov_b32_e32 v21, v2
	v_rcp_iflag_f32_e32 v3, v3
	v_mul_f32_e32 v3, 0x4f7ffffe, v3
	v_cvt_u32_f32_e32 v3, v3
	v_mul_lo_u32 v5, s36, v3
	v_mul_hi_u32 v5, v3, v5
	v_add_u32_e32 v3, v3, v5
	v_mul_hi_u32 v3, v18, v3
	v_mul_lo_u32 v5, v3, s59
	v_sub_u32_e32 v5, v18, v5
	v_add_u32_e32 v7, 1, v3
	v_subrev_u32_e32 v9, s59, v5
	v_cmp_le_u32_e32 vcc, s59, v5
	v_cndmask_b32_e32 v5, v5, v9, vcc
	v_cndmask_b32_e32 v3, v3, v7, vcc
	v_add_u32_e32 v7, 1, v3
	v_cmp_le_u32_e32 vcc, s59, v5
	v_cndmask_b32_e32 v20, v3, v7, vcc
.LBB97_34:                              ;   in Loop: Header=BB97_18 Depth=2
	s_or_b64 exec, exec, s[0:1]
	s_add_u32 s0, s46, s2
	v_mul_lo_u32 v3, v14, s52
	v_mul_lo_u32 v7, v16, s53
	s_load_dword s2, s[34:35], 0x6c
	s_addc_u32 s1, s47, s3
	s_load_dword s0, s[0:1], 0x0
	v_sub_u32_e32 v3, v12, v3
	v_sub_u32_e32 v7, v14, v7
	v_mul_lo_u32 v5, s54, v3
	v_mul_lo_u32 v3, s55, v3
	;; [unrolled: 1-line block ×4, first 2 shown]
	v_add3_u32 v5, v5, v10, v9
	v_add3_u32 v3, v3, v6, v7
	v_mul_lo_u32 v6, v18, s56
	v_mul_lo_u32 v9, v20, s59
	v_sub_u32_e32 v6, v16, v6
	v_sub_u32_e32 v9, v18, v9
	v_mul_lo_u32 v7, s60, v6
	s_waitcnt lgkmcnt(0)
	v_mul_lo_u32 v10, s2, v9
	v_mul_lo_u32 v6, s61, v6
	v_add3_u32 v10, v7, v5, v10
	v_mul_lo_u32 v5, s0, v9
	s_add_i32 s20, s20, -4
	s_cmp_eq_u32 s20, -1
	v_add3_u32 v6, v6, v3, v5
	s_cbranch_scc1 .LBB97_41
; %bb.35:                               ;   in Loop: Header=BB97_18 Depth=2
	v_pk_mov_b32 v[12:13], v[20:21], v[20:21] op_sel:[0,1]
	s_branch .LBB97_18
.LBB97_36:                              ;   in Loop: Header=BB97_37 Depth=2
	s_or_b64 exec, exec, s[0:1]
	s_load_dword s34, s[34:35], 0x6c
	s_add_u32 s0, s46, s2
	s_addc_u32 s1, s47, s3
	s_load_dword s2, s[0:1], 0x0
	v_mul_lo_u32 v3, v12, s53
	v_sub_u32_e32 v3, v14, v3
	s_waitcnt lgkmcnt(0)
	v_mad_u64_u32 v[10:11], s[0:1], s34, v3, v[10:11]
	s_add_i32 s20, s20, -1
	s_xor_b32 s0, s51, s52
	s_add_i32 s52, s52, 1
	s_cmp_lg_u32 s0, 2
	v_mad_u64_u32 v[6:7], s[0:1], s2, v3, v[6:7]
	s_cbranch_scc0 .LBB97_17
.LBB97_37:                              ;   Parent Loop BB97_3 Depth=1
                                        ; =>  This Inner Loop Header: Depth=2
	s_lshl_b64 s[2:3], s[20:21], 2
	s_add_u32 s34, s33, s2
	s_addc_u32 s35, s42, s3
	s_load_dword s53, s[34:35], 0x8
	v_pk_mov_b32 v[14:15], v[12:13], v[12:13] op_sel:[0,1]
                                        ; implicit-def: $vgpr12_vgpr13
	s_waitcnt lgkmcnt(0)
	s_ashr_i32 s0, s53, 31
	v_or_b32_e32 v3, s0, v15
	v_cmp_ne_u64_e32 vcc, 0, v[2:3]
	s_and_saveexec_b64 s[36:37], vcc
	s_xor_b64 s[36:37], exec, s[36:37]
	s_cbranch_execz .LBB97_39
; %bb.38:                               ;   in Loop: Header=BB97_37 Depth=2
	s_add_u32 s40, s53, s0
	s_mov_b32 s38, s0
	s_mov_b32 s39, s0
	s_addc_u32 s41, s0, s0
	s_xor_b64 s[40:41], s[40:41], s[38:39]
	v_cvt_f32_u32_e32 v3, s40
	v_cvt_f32_u32_e32 v5, s41
	s_sub_u32 s0, 0, s40
	s_subb_u32 s1, 0, s41
	v_mac_f32_e32 v3, 0x4f800000, v5
	v_rcp_f32_e32 v3, v3
	v_mul_f32_e32 v3, 0x5f7ffffc, v3
	v_mul_f32_e32 v5, 0x2f800000, v3
	v_trunc_f32_e32 v5, v5
	v_mac_f32_e32 v3, 0xcf800000, v5
	v_cvt_u32_f32_e32 v5, v5
	v_cvt_u32_f32_e32 v3, v3
	v_mul_lo_u32 v7, s0, v5
	v_mul_hi_u32 v11, s0, v3
	v_mul_lo_u32 v9, s1, v3
	v_add_u32_e32 v7, v11, v7
	v_mul_lo_u32 v12, s0, v3
	v_add_u32_e32 v7, v7, v9
	v_mul_lo_u32 v11, v3, v7
	v_mul_hi_u32 v13, v3, v12
	v_mul_hi_u32 v9, v3, v7
	v_add_co_u32_e32 v11, vcc, v13, v11
	v_addc_co_u32_e32 v9, vcc, 0, v9, vcc
	v_mul_hi_u32 v16, v5, v12
	v_mul_lo_u32 v12, v5, v12
	v_add_co_u32_e32 v11, vcc, v11, v12
	v_mul_hi_u32 v13, v5, v7
	v_addc_co_u32_e32 v9, vcc, v9, v16, vcc
	v_addc_co_u32_e32 v11, vcc, 0, v13, vcc
	v_mul_lo_u32 v7, v5, v7
	v_add_co_u32_e32 v7, vcc, v9, v7
	v_addc_co_u32_e32 v9, vcc, 0, v11, vcc
	v_add_co_u32_e32 v3, vcc, v3, v7
	v_addc_co_u32_e32 v5, vcc, v5, v9, vcc
	v_mul_lo_u32 v7, s0, v5
	v_mul_hi_u32 v9, s0, v3
	v_add_u32_e32 v7, v9, v7
	v_mul_lo_u32 v9, s1, v3
	v_add_u32_e32 v7, v7, v9
	v_mul_lo_u32 v11, s0, v3
	v_mul_hi_u32 v12, v5, v11
	v_mul_lo_u32 v13, v5, v11
	v_mul_lo_u32 v17, v3, v7
	v_mul_hi_u32 v11, v3, v11
	v_mul_hi_u32 v16, v3, v7
	v_add_co_u32_e32 v11, vcc, v11, v17
	v_addc_co_u32_e32 v16, vcc, 0, v16, vcc
	v_add_co_u32_e32 v11, vcc, v11, v13
	v_mul_hi_u32 v9, v5, v7
	v_addc_co_u32_e32 v11, vcc, v16, v12, vcc
	v_addc_co_u32_e32 v9, vcc, 0, v9, vcc
	v_mul_lo_u32 v7, v5, v7
	v_add_co_u32_e32 v7, vcc, v11, v7
	v_addc_co_u32_e32 v9, vcc, 0, v9, vcc
	v_add_co_u32_e32 v3, vcc, v3, v7
	v_addc_co_u32_e32 v5, vcc, v5, v9, vcc
	v_ashrrev_i32_e32 v7, 31, v15
	v_add_co_u32_e32 v9, vcc, v14, v7
	v_xor_b32_e32 v9, v9, v7
	v_addc_co_u32_e32 v11, vcc, v15, v7, vcc
	v_mad_u64_u32 v[12:13], s[0:1], v9, v5, 0
	v_mul_hi_u32 v15, v9, v3
	v_xor_b32_e32 v11, v11, v7
	v_add_co_u32_e32 v15, vcc, v15, v12
	v_addc_co_u32_e32 v18, vcc, 0, v13, vcc
	v_mad_u64_u32 v[16:17], s[0:1], v11, v3, 0
	v_add_co_u32_e32 v3, vcc, v15, v16
	v_mad_u64_u32 v[12:13], s[0:1], v11, v5, 0
	v_addc_co_u32_e32 v3, vcc, v18, v17, vcc
	v_addc_co_u32_e32 v5, vcc, 0, v13, vcc
	v_add_co_u32_e32 v3, vcc, v3, v12
	v_addc_co_u32_e32 v5, vcc, 0, v5, vcc
	v_mul_lo_u32 v15, s41, v3
	v_mul_lo_u32 v16, s40, v5
	v_mad_u64_u32 v[12:13], s[0:1], s40, v3, 0
	v_add3_u32 v13, v13, v16, v15
	v_sub_u32_e32 v15, v11, v13
	v_mov_b32_e32 v16, s41
	v_sub_co_u32_e32 v9, vcc, v9, v12
	v_subb_co_u32_e64 v12, s[0:1], v15, v16, vcc
	v_subrev_co_u32_e64 v15, s[0:1], s40, v9
	v_subbrev_co_u32_e64 v12, s[0:1], 0, v12, s[0:1]
	v_cmp_le_u32_e64 s[0:1], s41, v12
	v_cndmask_b32_e64 v16, 0, -1, s[0:1]
	v_cmp_le_u32_e64 s[0:1], s40, v15
	v_cndmask_b32_e64 v15, 0, -1, s[0:1]
	v_cmp_eq_u32_e64 s[0:1], s41, v12
	v_cndmask_b32_e64 v12, v16, v15, s[0:1]
	v_add_co_u32_e64 v15, s[0:1], 2, v3
	v_subb_co_u32_e32 v11, vcc, v11, v13, vcc
	v_addc_co_u32_e64 v16, s[0:1], 0, v5, s[0:1]
	v_cmp_le_u32_e32 vcc, s41, v11
	v_add_co_u32_e64 v17, s[0:1], 1, v3
	v_cndmask_b32_e64 v13, 0, -1, vcc
	v_cmp_le_u32_e32 vcc, s40, v9
	v_addc_co_u32_e64 v18, s[0:1], 0, v5, s[0:1]
	v_cndmask_b32_e64 v9, 0, -1, vcc
	v_cmp_eq_u32_e32 vcc, s41, v11
	v_cmp_ne_u32_e64 s[0:1], 0, v12
	v_cndmask_b32_e32 v9, v13, v9, vcc
	v_cmp_ne_u32_e32 vcc, 0, v9
	v_cndmask_b32_e64 v9, v17, v15, s[0:1]
	v_cndmask_b32_e64 v12, v18, v16, s[0:1]
	v_cndmask_b32_e32 v3, v3, v9, vcc
	v_xor_b32_e32 v9, s39, v7
	v_xor_b32_e32 v7, s38, v7
	v_cndmask_b32_e32 v5, v5, v12, vcc
	v_xor_b32_e32 v3, v3, v7
	v_xor_b32_e32 v5, v5, v9
	v_sub_co_u32_e32 v12, vcc, v3, v7
	v_subb_co_u32_e32 v13, vcc, v5, v9, vcc
.LBB97_39:                              ;   in Loop: Header=BB97_37 Depth=2
	s_andn2_saveexec_b64 s[0:1], s[36:37]
	s_cbranch_execz .LBB97_36
; %bb.40:                               ;   in Loop: Header=BB97_37 Depth=2
	v_cvt_f32_u32_e32 v3, s53
	s_sub_i32 s36, 0, s53
	v_mov_b32_e32 v13, v2
	v_rcp_iflag_f32_e32 v3, v3
	v_mul_f32_e32 v3, 0x4f7ffffe, v3
	v_cvt_u32_f32_e32 v3, v3
	v_mul_lo_u32 v5, s36, v3
	v_mul_hi_u32 v5, v3, v5
	v_add_u32_e32 v3, v3, v5
	v_mul_hi_u32 v3, v14, v3
	v_mul_lo_u32 v5, v3, s53
	v_sub_u32_e32 v5, v14, v5
	v_add_u32_e32 v7, 1, v3
	v_subrev_u32_e32 v9, s53, v5
	v_cmp_le_u32_e32 vcc, s53, v5
	v_cndmask_b32_e32 v5, v5, v9, vcc
	v_cndmask_b32_e32 v3, v3, v7, vcc
	v_add_u32_e32 v7, 1, v3
	v_cmp_le_u32_e32 vcc, s53, v5
	v_cndmask_b32_e32 v12, v3, v7, vcc
	s_branch .LBB97_36
.LBB97_41:                              ;   in Loop: Header=BB97_3 Depth=1
	v_mov_b32_e32 v3, v4
	v_sub_u32_e32 v4, v4, v8
	v_add_u32_e32 v4, 4, v4
	v_ashrrev_i32_e32 v5, 31, v4
	v_cmp_le_i64_e32 vcc, s[8:9], v[4:5]
                                        ; implicit-def: $vgpr14
                                        ; implicit-def: $vgpr12
                                        ; implicit-def: $vgpr11
                                        ; implicit-def: $vgpr9
	s_and_saveexec_b64 s[0:1], vcc
	s_xor_b64 s[0:1], exec, s[0:1]
	s_cbranch_execnz .LBB97_44
; %bb.42:                               ;   in Loop: Header=BB97_3 Depth=1
	s_andn2_saveexec_b64 s[0:1], s[0:1]
	s_cbranch_execnz .LBB97_53
.LBB97_43:                              ;   in Loop: Header=BB97_3 Depth=1
	s_or_b64 exec, exec, s[0:1]
	v_cmp_gt_i32_e32 vcc, s13, v3
	s_and_saveexec_b64 s[0:1], vcc
	s_cbranch_execz .LBB97_2
	s_branch .LBB97_54
.LBB97_44:                              ;   in Loop: Header=BB97_3 Depth=1
	v_cmp_gt_i32_e32 vcc, s13, v3
	v_mov_b32_e32 v13, 0
	v_mov_b32_e32 v11, 0
	;; [unrolled: 1-line block ×4, first 2 shown]
	s_and_saveexec_b64 s[2:3], vcc
	s_cbranch_execz .LBB97_52
; %bb.45:                               ;   in Loop: Header=BB97_3 Depth=1
	v_ashrrev_i32_e32 v11, 31, v10
	v_lshlrev_b64 v[4:5], 1, v[10:11]
	v_mov_b32_e32 v7, s7
	v_add_co_u32_e32 v4, vcc, s6, v4
	v_addc_co_u32_e32 v5, vcc, v7, v5, vcc
	global_load_ushort v7, v[4:5], off
	v_add_u32_e32 v9, 1, v3
	v_cmp_gt_i32_e32 vcc, s13, v9
	v_mov_b32_e32 v9, 0
	v_mov_b32_e32 v11, 0
	;; [unrolled: 1-line block ×3, first 2 shown]
	s_and_saveexec_b64 s[34:35], vcc
	s_xor_b64 s[34:35], exec, s[34:35]
	s_cbranch_execz .LBB97_51
; %bb.46:                               ;   in Loop: Header=BB97_3 Depth=1
	s_lshl_b64 s[36:37], s[26:27], 1
	v_mov_b32_e32 v9, s37
	v_add_co_u32_e32 v4, vcc, s36, v4
	v_addc_co_u32_e32 v5, vcc, v5, v9, vcc
	global_load_ushort v9, v[4:5], off
	v_add_u32_e32 v4, 2, v3
	v_cmp_gt_i32_e32 vcc, s13, v4
	v_mov_b32_e32 v11, 0
	v_mov_b32_e32 v13, 0
	s_and_saveexec_b64 s[36:37], vcc
	s_xor_b64 s[36:37], exec, s[36:37]
	s_cbranch_execz .LBB97_50
; %bb.47:                               ;   in Loop: Header=BB97_3 Depth=1
	s_add_i32 s20, s26, s26
	v_add_u32_e32 v4, s20, v10
	v_ashrrev_i32_e32 v5, 31, v4
	v_lshlrev_b64 v[10:11], 1, v[4:5]
	v_mov_b32_e32 v5, s7
	v_add_co_u32_e32 v10, vcc, s6, v10
	v_addc_co_u32_e32 v11, vcc, v5, v11, vcc
	global_load_ushort v11, v[10:11], off
	v_add_u32_e32 v5, 3, v3
	v_cmp_gt_i32_e32 vcc, s13, v5
	v_mov_b32_e32 v13, 0
	s_and_saveexec_b64 s[38:39], vcc
	s_xor_b64 s[38:39], exec, s[38:39]
	s_cbranch_execz .LBB97_49
; %bb.48:                               ;   in Loop: Header=BB97_3 Depth=1
	v_add_u32_e32 v4, s26, v4
	v_ashrrev_i32_e32 v5, 31, v4
	v_lshlrev_b64 v[4:5], 1, v[4:5]
	v_mov_b32_e32 v10, s7
	v_add_co_u32_e32 v4, vcc, s6, v4
	v_addc_co_u32_e32 v5, vcc, v10, v5, vcc
	global_load_ushort v13, v[4:5], off
.LBB97_49:                              ;   in Loop: Header=BB97_3 Depth=1
	s_or_b64 exec, exec, s[38:39]
.LBB97_50:                              ;   in Loop: Header=BB97_3 Depth=1
	s_or_b64 exec, exec, s[36:37]
.LBB97_51:                              ;   in Loop: Header=BB97_3 Depth=1
	s_or_b64 exec, exec, s[34:35]
.LBB97_52:                              ;   in Loop: Header=BB97_3 Depth=1
	s_or_b64 exec, exec, s[2:3]
	v_sub_u32_e32 v4, v3, v8
	v_ashrrev_i32_e32 v5, 31, v4
	v_add_u32_e32 v16, 1, v4
	v_cmp_le_i64_e32 vcc, s[8:9], v[4:5]
	v_ashrrev_i32_e32 v17, 31, v16
	s_waitcnt vmcnt(0)
	v_cndmask_b32_e32 v14, 0, v7, vcc
	v_cmp_le_i64_e32 vcc, s[8:9], v[16:17]
	v_add_u32_e32 v8, 2, v4
	v_cndmask_b32_e32 v12, 0, v9, vcc
	v_ashrrev_i32_e32 v9, 31, v8
	v_add_u32_e32 v4, 3, v4
	v_cmp_le_i64_e32 vcc, s[8:9], v[8:9]
	v_ashrrev_i32_e32 v5, 31, v4
	v_cndmask_b32_e32 v11, 0, v11, vcc
	v_cmp_le_i64_e32 vcc, s[8:9], v[4:5]
	v_cndmask_b32_e32 v9, 0, v13, vcc
	s_andn2_saveexec_b64 s[0:1], s[0:1]
	s_cbranch_execz .LBB97_43
.LBB97_53:                              ;   in Loop: Header=BB97_3 Depth=1
	v_mov_b32_e32 v9, 0
	v_mov_b32_e32 v11, 0
	;; [unrolled: 1-line block ×4, first 2 shown]
	s_or_b64 exec, exec, s[0:1]
	v_cmp_gt_i32_e32 vcc, s13, v3
	s_and_saveexec_b64 s[0:1], vcc
	s_cbranch_execz .LBB97_2
.LBB97_54:                              ;   in Loop: Header=BB97_3 Depth=1
	v_ashrrev_i32_e32 v7, 31, v6
	v_lshlrev_b64 v[4:5], 1, v[6:7]
	v_mov_b32_e32 v7, s5
	v_add_co_u32_e32 v4, vcc, s4, v4
	v_addc_co_u32_e32 v5, vcc, v7, v5, vcc
	v_add_u32_e32 v7, 1, v3
	v_cmp_gt_i32_e32 vcc, s13, v7
	global_store_short v[4:5], v14, off
	s_and_saveexec_b64 s[2:3], vcc
	s_xor_b64 s[2:3], exec, s[2:3]
	s_cbranch_execz .LBB97_2
; %bb.55:                               ;   in Loop: Header=BB97_3 Depth=1
	s_lshl_b64 s[2:3], s[28:29], 1
	v_mov_b32_e32 v7, s3
	v_add_co_u32_e32 v4, vcc, s2, v4
	v_addc_co_u32_e32 v5, vcc, v5, v7, vcc
	global_store_short v[4:5], v12, off
	v_add_u32_e32 v4, 2, v3
	v_cmp_gt_i32_e32 vcc, s13, v4
	s_and_saveexec_b64 s[2:3], vcc
	s_xor_b64 s[2:3], exec, s[2:3]
	s_cbranch_execz .LBB97_2
; %bb.56:                               ;   in Loop: Header=BB97_3 Depth=1
	s_add_i32 s2, s28, s28
	v_add_u32_e32 v4, s2, v6
	v_ashrrev_i32_e32 v5, 31, v4
	v_lshlrev_b64 v[6:7], 1, v[4:5]
	v_mov_b32_e32 v5, s5
	v_add_co_u32_e32 v6, vcc, s4, v6
	v_addc_co_u32_e32 v7, vcc, v5, v7, vcc
	v_add_u32_e32 v3, 3, v3
	v_cmp_gt_i32_e32 vcc, s13, v3
	global_store_short v[6:7], v11, off
	s_and_saveexec_b64 s[2:3], vcc
	s_xor_b64 s[2:3], exec, s[2:3]
	s_cbranch_execz .LBB97_2
; %bb.57:                               ;   in Loop: Header=BB97_3 Depth=1
	v_add_u32_e32 v4, s28, v4
	v_ashrrev_i32_e32 v5, 31, v4
	v_lshlrev_b64 v[4:5], 1, v[4:5]
	v_mov_b32_e32 v3, s5
	v_add_co_u32_e32 v4, vcc, s4, v4
	v_addc_co_u32_e32 v5, vcc, v3, v5, vcc
	global_store_short v[4:5], v9, off
	s_branch .LBB97_2
.LBB97_58:
	s_endpgm
	.section	.rodata,"a",@progbits
	.p2align	6, 0x0
	.amdhsa_kernel _ZN2at6native16triu_tril_kernelIN3c108BFloat16EiLb1ELi4ELb0EEEvNS_4cuda6detail10TensorInfoIT_T0_EENS6_IKS7_S8_EEllS8_
		.amdhsa_group_segment_fixed_size 0
		.amdhsa_private_segment_fixed_size 0
		.amdhsa_kernarg_size 712
		.amdhsa_user_sgpr_count 6
		.amdhsa_user_sgpr_private_segment_buffer 1
		.amdhsa_user_sgpr_dispatch_ptr 0
		.amdhsa_user_sgpr_queue_ptr 0
		.amdhsa_user_sgpr_kernarg_segment_ptr 1
		.amdhsa_user_sgpr_dispatch_id 0
		.amdhsa_user_sgpr_flat_scratch_init 0
		.amdhsa_user_sgpr_kernarg_preload_length 0
		.amdhsa_user_sgpr_kernarg_preload_offset 0
		.amdhsa_user_sgpr_private_segment_size 0
		.amdhsa_uses_dynamic_stack 0
		.amdhsa_system_sgpr_private_segment_wavefront_offset 0
		.amdhsa_system_sgpr_workgroup_id_x 1
		.amdhsa_system_sgpr_workgroup_id_y 0
		.amdhsa_system_sgpr_workgroup_id_z 0
		.amdhsa_system_sgpr_workgroup_info 0
		.amdhsa_system_vgpr_workitem_id 0
		.amdhsa_next_free_vgpr 26
		.amdhsa_next_free_sgpr 62
		.amdhsa_accum_offset 28
		.amdhsa_reserve_vcc 1
		.amdhsa_reserve_flat_scratch 0
		.amdhsa_float_round_mode_32 0
		.amdhsa_float_round_mode_16_64 0
		.amdhsa_float_denorm_mode_32 3
		.amdhsa_float_denorm_mode_16_64 3
		.amdhsa_dx10_clamp 1
		.amdhsa_ieee_mode 1
		.amdhsa_fp16_overflow 0
		.amdhsa_tg_split 0
		.amdhsa_exception_fp_ieee_invalid_op 0
		.amdhsa_exception_fp_denorm_src 0
		.amdhsa_exception_fp_ieee_div_zero 0
		.amdhsa_exception_fp_ieee_overflow 0
		.amdhsa_exception_fp_ieee_underflow 0
		.amdhsa_exception_fp_ieee_inexact 0
		.amdhsa_exception_int_div_zero 0
	.end_amdhsa_kernel
	.section	.text._ZN2at6native16triu_tril_kernelIN3c108BFloat16EiLb1ELi4ELb0EEEvNS_4cuda6detail10TensorInfoIT_T0_EENS6_IKS7_S8_EEllS8_,"axG",@progbits,_ZN2at6native16triu_tril_kernelIN3c108BFloat16EiLb1ELi4ELb0EEEvNS_4cuda6detail10TensorInfoIT_T0_EENS6_IKS7_S8_EEllS8_,comdat
.Lfunc_end97:
	.size	_ZN2at6native16triu_tril_kernelIN3c108BFloat16EiLb1ELi4ELb0EEEvNS_4cuda6detail10TensorInfoIT_T0_EENS6_IKS7_S8_EEllS8_, .Lfunc_end97-_ZN2at6native16triu_tril_kernelIN3c108BFloat16EiLb1ELi4ELb0EEEvNS_4cuda6detail10TensorInfoIT_T0_EENS6_IKS7_S8_EEllS8_
                                        ; -- End function
	.section	.AMDGPU.csdata,"",@progbits
; Kernel info:
; codeLenInByte = 7948
; NumSgprs: 66
; NumVgprs: 26
; NumAgprs: 0
; TotalNumVgprs: 26
; ScratchSize: 0
; MemoryBound: 0
; FloatMode: 240
; IeeeMode: 1
; LDSByteSize: 0 bytes/workgroup (compile time only)
; SGPRBlocks: 8
; VGPRBlocks: 3
; NumSGPRsForWavesPerEU: 66
; NumVGPRsForWavesPerEU: 26
; AccumOffset: 28
; Occupancy: 8
; WaveLimiterHint : 0
; COMPUTE_PGM_RSRC2:SCRATCH_EN: 0
; COMPUTE_PGM_RSRC2:USER_SGPR: 6
; COMPUTE_PGM_RSRC2:TRAP_HANDLER: 0
; COMPUTE_PGM_RSRC2:TGID_X_EN: 1
; COMPUTE_PGM_RSRC2:TGID_Y_EN: 0
; COMPUTE_PGM_RSRC2:TGID_Z_EN: 0
; COMPUTE_PGM_RSRC2:TIDIG_COMP_CNT: 0
; COMPUTE_PGM_RSRC3_GFX90A:ACCUM_OFFSET: 6
; COMPUTE_PGM_RSRC3_GFX90A:TG_SPLIT: 0
	.section	.text._ZN2at6native16triu_tril_kernelIN3c108BFloat16ElLb1ELi4ELb1EEEvNS_4cuda6detail10TensorInfoIT_T0_EENS6_IKS7_S8_EEllS8_,"axG",@progbits,_ZN2at6native16triu_tril_kernelIN3c108BFloat16ElLb1ELi4ELb1EEEvNS_4cuda6detail10TensorInfoIT_T0_EENS6_IKS7_S8_EEllS8_,comdat
	.protected	_ZN2at6native16triu_tril_kernelIN3c108BFloat16ElLb1ELi4ELb1EEEvNS_4cuda6detail10TensorInfoIT_T0_EENS6_IKS7_S8_EEllS8_ ; -- Begin function _ZN2at6native16triu_tril_kernelIN3c108BFloat16ElLb1ELi4ELb1EEEvNS_4cuda6detail10TensorInfoIT_T0_EENS6_IKS7_S8_EEllS8_
	.globl	_ZN2at6native16triu_tril_kernelIN3c108BFloat16ElLb1ELi4ELb1EEEvNS_4cuda6detail10TensorInfoIT_T0_EENS6_IKS7_S8_EEllS8_
	.p2align	8
	.type	_ZN2at6native16triu_tril_kernelIN3c108BFloat16ElLb1ELi4ELb1EEEvNS_4cuda6detail10TensorInfoIT_T0_EENS6_IKS7_S8_EEllS8_,@function
_ZN2at6native16triu_tril_kernelIN3c108BFloat16ElLb1ELi4ELb1EEEvNS_4cuda6detail10TensorInfoIT_T0_EENS6_IKS7_S8_EEllS8_: ; @_ZN2at6native16triu_tril_kernelIN3c108BFloat16ElLb1ELi4ELb1EEEvNS_4cuda6detail10TensorInfoIT_T0_EENS6_IKS7_S8_EEllS8_
; %bb.0:
	s_load_dword s2, s[4:5], 0x364
	s_load_dwordx4 s[8:11], s[4:5], 0x340
	s_add_u32 s0, s4, 0x358
	v_mov_b32_e32 v2, 0
	s_addc_u32 s1, s5, 0
	s_waitcnt lgkmcnt(0)
	s_and_b32 s12, s2, 0xffff
	v_mov_b32_e32 v1, v2
	v_mov_b32_e32 v3, s6
	v_mad_u64_u32 v[0:1], s[2:3], s12, v3, v[0:1]
	v_lshlrev_b64 v[0:1], 2, v[0:1]
	v_cmp_gt_i64_e32 vcc, s[10:11], v[0:1]
	s_and_saveexec_b64 s[2:3], vcc
	s_cbranch_execz .LBB98_27
; %bb.1:
	s_load_dword s13, s[0:1], 0x0
	s_load_dword s18, s[4:5], 0x338
	s_load_dwordx2 s[2:3], s[4:5], 0x350
	s_load_dwordx2 s[6:7], s[4:5], 0x0
	s_mov_b32 s48, 0
	s_waitcnt lgkmcnt(0)
	s_mul_i32 s20, s13, s12
	s_ashr_i32 s19, s18, 31
	s_add_u32 s24, s4, 0x1a8
	s_addc_u32 s25, s5, 0
	s_lshl_b64 s[0:1], s[18:19], 3
	s_add_u32 s16, s0, -16
	s_addc_u32 s17, s1, -1
	s_add_u32 s14, s24, s16
	s_addc_u32 s15, s25, s17
	v_cmp_gt_i64_e64 s[12:13], s[18:19], 2
	s_add_u32 s19, s0, -8
	s_addc_u32 s21, s1, -1
	s_add_u32 s26, s4, 0xd0
	s_addc_u32 s27, s5, 0
	s_add_u32 s4, s26, s19
	v_cvt_f32_u32_e32 v3, s2
	s_addc_u32 s5, s27, s21
	s_add_u32 s16, s26, s16
	s_addc_u32 s17, s27, s17
	s_add_i32 s0, s18, -3
	s_ashr_i32 s1, s0, 31
	v_rcp_iflag_f32_e32 v3, v3
	s_add_u32 s18, s24, s19
	s_addc_u32 s19, s25, s21
	s_lshl_b32 s33, s20, 2
	s_lshl_b64 s[22:23], s[0:1], 3
	s_add_u32 s20, s26, s22
	s_load_dwordx2 s[14:15], s[14:15], 0x0
	s_addc_u32 s21, s27, s23
	v_mul_f32_e32 v3, 0x4f7ffffe, v3
	s_add_u32 s22, s24, s22
	v_cvt_u32_f32_e32 v12, v3
	s_addc_u32 s23, s25, s23
	s_add_u32 s24, s0, 1
	s_addc_u32 s25, s1, 0
	s_mov_b64 s[26:27], 0
	s_branch .LBB98_3
.LBB98_2:                               ;   in Loop: Header=BB98_3 Depth=1
	s_or_b64 exec, exec, s[28:29]
	v_mov_b32_e32 v3, s48
	v_add_co_u32_e32 v0, vcc, s33, v0
	v_addc_co_u32_e32 v1, vcc, v1, v3, vcc
	v_cmp_le_i64_e32 vcc, s[10:11], v[0:1]
	s_or_b64 s[26:27], vcc, s[26:27]
	s_andn2_b64 exec, exec, s[26:27]
	s_cbranch_execz .LBB98_27
.LBB98_3:                               ; =>This Loop Header: Depth=1
                                        ;     Child Loop BB98_23 Depth 2
	v_or_b32_e32 v3, s3, v1
	v_cmp_ne_u64_e32 vcc, 0, v[2:3]
                                        ; implicit-def: $vgpr8_vgpr9
	s_and_saveexec_b64 s[0:1], vcc
	s_xor_b64 s[28:29], exec, s[0:1]
	s_cbranch_execz .LBB98_5
; %bb.4:                                ;   in Loop: Header=BB98_3 Depth=1
	s_ashr_i32 s30, s3, 31
	s_add_u32 s0, s2, s30
	s_mov_b32 s31, s30
	s_addc_u32 s1, s3, s30
	s_xor_b64 s[34:35], s[0:1], s[30:31]
	v_cvt_f32_u32_e32 v3, s34
	v_cvt_f32_u32_e32 v4, s35
	s_sub_u32 s0, 0, s34
	s_subb_u32 s1, 0, s35
	v_mac_f32_e32 v3, 0x4f800000, v4
	v_rcp_f32_e32 v3, v3
	v_mul_f32_e32 v3, 0x5f7ffffc, v3
	v_mul_f32_e32 v4, 0x2f800000, v3
	v_trunc_f32_e32 v4, v4
	v_mac_f32_e32 v3, 0xcf800000, v4
	v_cvt_u32_f32_e32 v4, v4
	v_cvt_u32_f32_e32 v3, v3
	v_mul_lo_u32 v5, s0, v4
	v_mul_hi_u32 v7, s0, v3
	v_mul_lo_u32 v6, s1, v3
	v_add_u32_e32 v5, v7, v5
	v_mul_lo_u32 v8, s0, v3
	v_add_u32_e32 v5, v5, v6
	v_mul_lo_u32 v7, v3, v5
	v_mul_hi_u32 v9, v3, v8
	v_mul_hi_u32 v6, v3, v5
	v_add_co_u32_e32 v7, vcc, v9, v7
	v_addc_co_u32_e32 v6, vcc, 0, v6, vcc
	v_mul_hi_u32 v10, v4, v8
	v_mul_lo_u32 v8, v4, v8
	v_add_co_u32_e32 v7, vcc, v7, v8
	v_mul_hi_u32 v9, v4, v5
	v_addc_co_u32_e32 v6, vcc, v6, v10, vcc
	v_addc_co_u32_e32 v7, vcc, 0, v9, vcc
	v_mul_lo_u32 v5, v4, v5
	v_add_co_u32_e32 v5, vcc, v6, v5
	v_addc_co_u32_e32 v6, vcc, 0, v7, vcc
	v_add_co_u32_e32 v3, vcc, v3, v5
	v_addc_co_u32_e32 v4, vcc, v4, v6, vcc
	v_mul_lo_u32 v5, s0, v4
	v_mul_hi_u32 v6, s0, v3
	v_add_u32_e32 v5, v6, v5
	v_mul_lo_u32 v6, s1, v3
	v_add_u32_e32 v5, v5, v6
	v_mul_lo_u32 v7, s0, v3
	v_mul_hi_u32 v8, v4, v7
	v_mul_lo_u32 v9, v4, v7
	v_mul_lo_u32 v11, v3, v5
	v_mul_hi_u32 v7, v3, v7
	v_mul_hi_u32 v10, v3, v5
	v_add_co_u32_e32 v7, vcc, v7, v11
	v_addc_co_u32_e32 v10, vcc, 0, v10, vcc
	v_add_co_u32_e32 v7, vcc, v7, v9
	v_mul_hi_u32 v6, v4, v5
	v_addc_co_u32_e32 v7, vcc, v10, v8, vcc
	v_addc_co_u32_e32 v6, vcc, 0, v6, vcc
	v_mul_lo_u32 v5, v4, v5
	v_add_co_u32_e32 v5, vcc, v7, v5
	v_addc_co_u32_e32 v6, vcc, 0, v6, vcc
	v_add_co_u32_e32 v3, vcc, v3, v5
	v_addc_co_u32_e32 v6, vcc, v4, v6, vcc
	v_ashrrev_i32_e32 v8, 31, v1
	v_add_co_u32_e32 v4, vcc, v0, v8
	v_addc_co_u32_e32 v5, vcc, v1, v8, vcc
	v_xor_b32_e32 v10, v4, v8
	v_xor_b32_e32 v9, v5, v8
	v_mad_u64_u32 v[4:5], s[0:1], v10, v6, 0
	v_mul_hi_u32 v7, v10, v3
	v_add_co_u32_e32 v11, vcc, v7, v4
	v_addc_co_u32_e32 v13, vcc, 0, v5, vcc
	v_mad_u64_u32 v[4:5], s[0:1], v9, v6, 0
	v_mad_u64_u32 v[6:7], s[0:1], v9, v3, 0
	v_add_co_u32_e32 v3, vcc, v11, v6
	v_addc_co_u32_e32 v3, vcc, v13, v7, vcc
	v_addc_co_u32_e32 v5, vcc, 0, v5, vcc
	v_add_co_u32_e32 v3, vcc, v3, v4
	v_addc_co_u32_e32 v6, vcc, 0, v5, vcc
	v_mul_lo_u32 v7, s35, v3
	v_mul_lo_u32 v11, s34, v6
	v_mad_u64_u32 v[4:5], s[0:1], s34, v3, 0
	v_add3_u32 v5, v5, v11, v7
	v_sub_u32_e32 v7, v9, v5
	v_mov_b32_e32 v11, s35
	v_sub_co_u32_e32 v4, vcc, v10, v4
	v_subb_co_u32_e64 v7, s[0:1], v7, v11, vcc
	v_subrev_co_u32_e64 v10, s[0:1], s34, v4
	v_subbrev_co_u32_e64 v7, s[0:1], 0, v7, s[0:1]
	v_cmp_le_u32_e64 s[0:1], s35, v7
	v_cndmask_b32_e64 v11, 0, -1, s[0:1]
	v_cmp_le_u32_e64 s[0:1], s34, v10
	v_cndmask_b32_e64 v10, 0, -1, s[0:1]
	v_cmp_eq_u32_e64 s[0:1], s35, v7
	v_cndmask_b32_e64 v7, v11, v10, s[0:1]
	v_add_co_u32_e64 v10, s[0:1], 2, v3
	v_subb_co_u32_e32 v5, vcc, v9, v5, vcc
	v_addc_co_u32_e64 v11, s[0:1], 0, v6, s[0:1]
	v_cmp_le_u32_e32 vcc, s35, v5
	v_add_co_u32_e64 v13, s[0:1], 1, v3
	v_cndmask_b32_e64 v9, 0, -1, vcc
	v_cmp_le_u32_e32 vcc, s34, v4
	v_addc_co_u32_e64 v14, s[0:1], 0, v6, s[0:1]
	v_cndmask_b32_e64 v4, 0, -1, vcc
	v_cmp_eq_u32_e32 vcc, s35, v5
	v_cmp_ne_u32_e64 s[0:1], 0, v7
	v_cndmask_b32_e32 v4, v9, v4, vcc
	v_cmp_ne_u32_e32 vcc, 0, v4
	v_cndmask_b32_e64 v5, v13, v10, s[0:1]
	v_cndmask_b32_e64 v7, v14, v11, s[0:1]
	v_cndmask_b32_e32 v3, v3, v5, vcc
	v_xor_b32_e32 v5, s30, v8
	v_cndmask_b32_e32 v4, v6, v7, vcc
	v_xor_b32_e32 v3, v3, v5
	v_xor_b32_e32 v4, v4, v5
	v_sub_co_u32_e32 v8, vcc, v3, v5
	v_subb_co_u32_e32 v9, vcc, v4, v5, vcc
.LBB98_5:                               ;   in Loop: Header=BB98_3 Depth=1
	s_andn2_saveexec_b64 s[0:1], s[28:29]
	s_cbranch_execz .LBB98_7
; %bb.6:                                ;   in Loop: Header=BB98_3 Depth=1
	s_sub_i32 s28, 0, s2
	v_mul_lo_u32 v3, s28, v12
	v_mul_hi_u32 v3, v12, v3
	v_add_u32_e32 v3, v12, v3
	v_mul_hi_u32 v3, v0, v3
	v_mul_lo_u32 v4, v3, s2
	v_sub_u32_e32 v4, v0, v4
	v_subrev_u32_e32 v5, s2, v4
	v_cmp_le_u32_e32 vcc, s2, v4
	v_cndmask_b32_e32 v4, v4, v5, vcc
	v_add_u32_e32 v5, 1, v3
	v_cndmask_b32_e32 v3, v3, v5, vcc
	v_add_u32_e32 v5, 1, v3
	v_cmp_le_u32_e32 vcc, s2, v4
	v_cndmask_b32_e32 v8, v3, v5, vcc
	v_mov_b32_e32 v9, v2
.LBB98_7:                               ;   in Loop: Header=BB98_3 Depth=1
	s_or_b64 exec, exec, s[0:1]
	s_waitcnt lgkmcnt(0)
	v_or_b32_e32 v3, s15, v9
	v_cmp_ne_u64_e32 vcc, 0, v[2:3]
                                        ; implicit-def: $vgpr6_vgpr7
	s_and_saveexec_b64 s[0:1], vcc
	s_xor_b64 s[28:29], exec, s[0:1]
	s_cbranch_execz .LBB98_9
; %bb.8:                                ;   in Loop: Header=BB98_3 Depth=1
	s_ashr_i32 s30, s15, 31
	s_add_u32 s0, s14, s30
	s_mov_b32 s31, s30
	s_addc_u32 s1, s15, s30
	s_xor_b64 s[34:35], s[0:1], s[30:31]
	v_cvt_f32_u32_e32 v3, s34
	v_cvt_f32_u32_e32 v4, s35
	s_sub_u32 s0, 0, s34
	s_subb_u32 s1, 0, s35
	v_mac_f32_e32 v3, 0x4f800000, v4
	v_rcp_f32_e32 v3, v3
	v_mul_f32_e32 v3, 0x5f7ffffc, v3
	v_mul_f32_e32 v4, 0x2f800000, v3
	v_trunc_f32_e32 v4, v4
	v_mac_f32_e32 v3, 0xcf800000, v4
	v_cvt_u32_f32_e32 v4, v4
	v_cvt_u32_f32_e32 v3, v3
	v_mul_lo_u32 v5, s0, v4
	v_mul_hi_u32 v7, s0, v3
	v_mul_lo_u32 v6, s1, v3
	v_add_u32_e32 v5, v7, v5
	v_mul_lo_u32 v10, s0, v3
	v_add_u32_e32 v5, v5, v6
	v_mul_lo_u32 v7, v3, v5
	v_mul_hi_u32 v11, v3, v10
	v_mul_hi_u32 v6, v3, v5
	v_add_co_u32_e32 v7, vcc, v11, v7
	v_addc_co_u32_e32 v6, vcc, 0, v6, vcc
	v_mul_hi_u32 v13, v4, v10
	v_mul_lo_u32 v10, v4, v10
	v_add_co_u32_e32 v7, vcc, v7, v10
	v_mul_hi_u32 v11, v4, v5
	v_addc_co_u32_e32 v6, vcc, v6, v13, vcc
	v_addc_co_u32_e32 v7, vcc, 0, v11, vcc
	v_mul_lo_u32 v5, v4, v5
	v_add_co_u32_e32 v5, vcc, v6, v5
	v_addc_co_u32_e32 v6, vcc, 0, v7, vcc
	v_add_co_u32_e32 v3, vcc, v3, v5
	v_addc_co_u32_e32 v4, vcc, v4, v6, vcc
	v_mul_lo_u32 v5, s0, v4
	v_mul_hi_u32 v6, s0, v3
	v_add_u32_e32 v5, v6, v5
	v_mul_lo_u32 v6, s1, v3
	v_add_u32_e32 v5, v5, v6
	v_mul_lo_u32 v7, s0, v3
	v_mul_hi_u32 v10, v4, v7
	v_mul_lo_u32 v11, v4, v7
	v_mul_lo_u32 v14, v3, v5
	v_mul_hi_u32 v7, v3, v7
	v_mul_hi_u32 v13, v3, v5
	v_add_co_u32_e32 v7, vcc, v7, v14
	v_addc_co_u32_e32 v13, vcc, 0, v13, vcc
	v_add_co_u32_e32 v7, vcc, v7, v11
	v_mul_hi_u32 v6, v4, v5
	v_addc_co_u32_e32 v7, vcc, v13, v10, vcc
	v_addc_co_u32_e32 v6, vcc, 0, v6, vcc
	v_mul_lo_u32 v5, v4, v5
	v_add_co_u32_e32 v5, vcc, v7, v5
	v_addc_co_u32_e32 v6, vcc, 0, v6, vcc
	v_add_co_u32_e32 v3, vcc, v3, v5
	v_addc_co_u32_e32 v6, vcc, v4, v6, vcc
	v_ashrrev_i32_e32 v10, 31, v9
	v_add_co_u32_e32 v4, vcc, v8, v10
	v_addc_co_u32_e32 v5, vcc, v9, v10, vcc
	v_xor_b32_e32 v13, v4, v10
	v_xor_b32_e32 v11, v5, v10
	v_mad_u64_u32 v[4:5], s[0:1], v13, v6, 0
	v_mul_hi_u32 v7, v13, v3
	v_add_co_u32_e32 v14, vcc, v7, v4
	v_addc_co_u32_e32 v15, vcc, 0, v5, vcc
	v_mad_u64_u32 v[4:5], s[0:1], v11, v6, 0
	v_mad_u64_u32 v[6:7], s[0:1], v11, v3, 0
	v_add_co_u32_e32 v3, vcc, v14, v6
	v_addc_co_u32_e32 v3, vcc, v15, v7, vcc
	v_addc_co_u32_e32 v5, vcc, 0, v5, vcc
	v_add_co_u32_e32 v3, vcc, v3, v4
	v_addc_co_u32_e32 v6, vcc, 0, v5, vcc
	v_mul_lo_u32 v7, s35, v3
	v_mul_lo_u32 v14, s34, v6
	v_mad_u64_u32 v[4:5], s[0:1], s34, v3, 0
	v_add3_u32 v5, v5, v14, v7
	v_sub_u32_e32 v7, v11, v5
	v_mov_b32_e32 v14, s35
	v_sub_co_u32_e32 v4, vcc, v13, v4
	v_subb_co_u32_e64 v7, s[0:1], v7, v14, vcc
	v_subrev_co_u32_e64 v13, s[0:1], s34, v4
	v_subbrev_co_u32_e64 v7, s[0:1], 0, v7, s[0:1]
	v_cmp_le_u32_e64 s[0:1], s35, v7
	v_cndmask_b32_e64 v14, 0, -1, s[0:1]
	v_cmp_le_u32_e64 s[0:1], s34, v13
	v_cndmask_b32_e64 v13, 0, -1, s[0:1]
	v_cmp_eq_u32_e64 s[0:1], s35, v7
	v_cndmask_b32_e64 v7, v14, v13, s[0:1]
	v_add_co_u32_e64 v13, s[0:1], 2, v3
	v_subb_co_u32_e32 v5, vcc, v11, v5, vcc
	v_addc_co_u32_e64 v14, s[0:1], 0, v6, s[0:1]
	v_cmp_le_u32_e32 vcc, s35, v5
	v_add_co_u32_e64 v15, s[0:1], 1, v3
	v_cndmask_b32_e64 v11, 0, -1, vcc
	v_cmp_le_u32_e32 vcc, s34, v4
	v_addc_co_u32_e64 v16, s[0:1], 0, v6, s[0:1]
	v_cndmask_b32_e64 v4, 0, -1, vcc
	v_cmp_eq_u32_e32 vcc, s35, v5
	v_cmp_ne_u32_e64 s[0:1], 0, v7
	v_cndmask_b32_e32 v4, v11, v4, vcc
	v_cmp_ne_u32_e32 vcc, 0, v4
	v_cndmask_b32_e64 v5, v15, v13, s[0:1]
	v_cndmask_b32_e64 v7, v16, v14, s[0:1]
	v_cndmask_b32_e32 v3, v3, v5, vcc
	v_xor_b32_e32 v5, s30, v10
	v_cndmask_b32_e32 v4, v6, v7, vcc
	v_xor_b32_e32 v3, v3, v5
	v_xor_b32_e32 v4, v4, v5
	v_sub_co_u32_e32 v6, vcc, v3, v5
	v_subb_co_u32_e32 v7, vcc, v4, v5, vcc
.LBB98_9:                               ;   in Loop: Header=BB98_3 Depth=1
	s_andn2_saveexec_b64 s[0:1], s[28:29]
	s_cbranch_execz .LBB98_11
; %bb.10:                               ;   in Loop: Header=BB98_3 Depth=1
	v_cvt_f32_u32_e32 v3, s14
	s_sub_i32 s28, 0, s14
	v_mov_b32_e32 v7, v2
	v_rcp_iflag_f32_e32 v3, v3
	v_mul_f32_e32 v3, 0x4f7ffffe, v3
	v_cvt_u32_f32_e32 v3, v3
	v_mul_lo_u32 v4, s28, v3
	v_mul_hi_u32 v4, v3, v4
	v_add_u32_e32 v3, v3, v4
	v_mul_hi_u32 v3, v8, v3
	v_mul_lo_u32 v4, v3, s14
	v_sub_u32_e32 v4, v8, v4
	v_add_u32_e32 v5, 1, v3
	v_subrev_u32_e32 v6, s14, v4
	v_cmp_le_u32_e32 vcc, s14, v4
	v_cndmask_b32_e32 v4, v4, v6, vcc
	v_cndmask_b32_e32 v3, v3, v5, vcc
	v_add_u32_e32 v5, 1, v3
	v_cmp_le_u32_e32 vcc, s14, v4
	v_cndmask_b32_e32 v6, v3, v5, vcc
.LBB98_11:                              ;   in Loop: Header=BB98_3 Depth=1
	s_or_b64 exec, exec, s[0:1]
	v_mul_lo_u32 v3, v9, s2
	v_mul_lo_u32 v10, v8, s3
	v_mad_u64_u32 v[4:5], s[0:1], v8, s2, 0
	v_add3_u32 v3, v5, v10, v3
	v_sub_co_u32_e32 v4, vcc, v0, v4
	v_subb_co_u32_e32 v5, vcc, v1, v3, vcc
	v_mul_lo_u32 v3, v7, s14
	v_mul_lo_u32 v13, v6, s15
	v_mad_u64_u32 v[10:11], s[0:1], v6, s14, 0
	v_add3_u32 v3, v11, v13, v3
	v_sub_co_u32_e32 v13, vcc, v8, v10
	v_subb_co_u32_e32 v14, vcc, v9, v3, vcc
	v_sub_co_u32_e32 v8, vcc, v4, v13
	v_subb_co_u32_e32 v9, vcc, v5, v14, vcc
	v_cmp_gt_i64_e32 vcc, s[8:9], v[8:9]
	s_and_saveexec_b64 s[28:29], vcc
	s_cbranch_execz .LBB98_2
; %bb.12:                               ;   in Loop: Header=BB98_3 Depth=1
	s_load_dwordx2 s[30:31], s[4:5], 0x0
	s_load_dwordx2 s[0:1], s[16:17], 0x0
	s_and_b64 vcc, exec, s[12:13]
	s_mov_b64 s[36:37], s[22:23]
	s_mov_b64 s[38:39], s[20:21]
	s_waitcnt lgkmcnt(0)
	v_mul_lo_u32 v3, s31, v4
	v_mul_lo_u32 v10, s30, v5
	v_mad_u64_u32 v[8:9], s[34:35], s30, v4, 0
	v_add3_u32 v9, v9, v10, v3
	v_mad_u64_u32 v[8:9], s[34:35], s0, v13, v[8:9]
	v_mul_lo_u32 v3, s0, v14
	v_mul_lo_u32 v10, s1, v13
	v_add3_u32 v9, v10, v9, v3
	s_mov_b64 s[34:35], s[24:25]
	s_cbranch_vccnz .LBB98_23
.LBB98_13:                              ;   in Loop: Header=BB98_3 Depth=1
	s_load_dwordx2 s[0:1], s[18:19], 0x0
	s_waitcnt lgkmcnt(0)
	v_cmp_gt_i64_e32 vcc, s[0:1], v[4:5]
	s_and_b64 exec, exec, vcc
	s_cbranch_execz .LBB98_2
; %bb.14:                               ;   in Loop: Header=BB98_3 Depth=1
	v_lshlrev_b64 v[6:7], 1, v[8:9]
	v_mov_b32_e32 v3, s7
	v_add_co_u32_e32 v6, vcc, s6, v6
	v_addc_co_u32_e32 v7, vcc, v3, v7, vcc
	v_add_co_u32_e32 v8, vcc, 1, v4
	v_addc_co_u32_e32 v9, vcc, 0, v5, vcc
	v_cmp_gt_i64_e32 vcc, s[0:1], v[8:9]
	global_store_short v[6:7], v2, off
	s_and_b64 exec, exec, vcc
	s_cbranch_execz .LBB98_2
; %bb.15:                               ;   in Loop: Header=BB98_3 Depth=1
	v_sub_co_u32_e32 v8, vcc, v8, v13
	v_subb_co_u32_e32 v9, vcc, v9, v14, vcc
	v_cmp_gt_i64_e32 vcc, s[8:9], v[8:9]
	s_and_saveexec_b64 s[34:35], vcc
	s_cbranch_execz .LBB98_17
; %bb.16:                               ;   in Loop: Header=BB98_3 Depth=1
	s_lshl_b64 s[36:37], s[30:31], 1
	v_mov_b32_e32 v3, s37
	v_add_co_u32_e32 v8, vcc, s36, v6
	v_addc_co_u32_e32 v9, vcc, v7, v3, vcc
	global_store_short v[8:9], v2, off
.LBB98_17:                              ;   in Loop: Header=BB98_3 Depth=1
	s_or_b64 exec, exec, s[34:35]
	v_add_co_u32_e32 v8, vcc, 2, v4
	v_addc_co_u32_e32 v9, vcc, 0, v5, vcc
	v_cmp_gt_i64_e32 vcc, s[0:1], v[8:9]
	s_and_b64 exec, exec, vcc
	s_cbranch_execz .LBB98_2
; %bb.18:                               ;   in Loop: Header=BB98_3 Depth=1
	v_sub_co_u32_e32 v8, vcc, v8, v13
	v_subb_co_u32_e32 v9, vcc, v9, v14, vcc
	v_cmp_gt_i64_e32 vcc, s[8:9], v[8:9]
	s_and_saveexec_b64 s[34:35], vcc
	s_cbranch_execz .LBB98_20
; %bb.19:                               ;   in Loop: Header=BB98_3 Depth=1
	s_lshl_b64 s[36:37], s[30:31], 2
	v_mov_b32_e32 v3, s37
	v_add_co_u32_e32 v8, vcc, s36, v6
	v_addc_co_u32_e32 v9, vcc, v7, v3, vcc
	global_store_short v[8:9], v2, off
.LBB98_20:                              ;   in Loop: Header=BB98_3 Depth=1
	s_or_b64 exec, exec, s[34:35]
	v_add_co_u32_e32 v4, vcc, 3, v4
	v_addc_co_u32_e32 v5, vcc, 0, v5, vcc
	v_cmp_gt_i64_e32 vcc, s[0:1], v[4:5]
	v_sub_co_u32_e64 v4, s[0:1], v4, v13
	v_subb_co_u32_e64 v5, s[0:1], v5, v14, s[0:1]
	v_cmp_gt_i64_e64 s[0:1], s[8:9], v[4:5]
	s_and_b64 s[0:1], vcc, s[0:1]
	s_and_b64 exec, exec, s[0:1]
	s_cbranch_execz .LBB98_2
; %bb.21:                               ;   in Loop: Header=BB98_3 Depth=1
	v_mad_u64_u32 v[4:5], s[0:1], s30, 6, v[6:7]
	v_mov_b32_e32 v6, v5
	v_mad_u64_u32 v[6:7], s[0:1], s31, 6, v[6:7]
	v_mov_b32_e32 v5, v6
	global_store_short v[4:5], v2, off
	s_branch .LBB98_2
.LBB98_22:                              ;   in Loop: Header=BB98_23 Depth=2
	s_or_b64 exec, exec, s[0:1]
	v_mad_u64_u32 v[16:17], s[0:1], v10, s40, 0
	s_load_dwordx2 s[0:1], s[38:39], 0x0
	s_add_u32 s38, s38, -8
	s_addc_u32 s39, s39, -1
	v_mul_lo_u32 v3, v11, s40
	v_mul_lo_u32 v15, v10, s41
	s_add_u32 s36, s36, -8
	v_add3_u32 v3, v17, v15, v3
	v_sub_co_u32_e32 v6, vcc, v6, v16
	s_addc_u32 s37, s37, -1
	v_subb_co_u32_e32 v3, vcc, v7, v3, vcc
	s_add_u32 s34, s34, -1
	s_waitcnt lgkmcnt(0)
	v_mul_lo_u32 v3, s0, v3
	v_mul_lo_u32 v7, s1, v6
	v_mad_u64_u32 v[8:9], s[0:1], s0, v6, v[8:9]
	s_addc_u32 s35, s35, -1
	v_cmp_lt_i64_e64 s[0:1], s[34:35], 1
	v_add3_u32 v9, v7, v9, v3
	s_and_b64 vcc, exec, s[0:1]
	v_pk_mov_b32 v[6:7], v[10:11], v[10:11] op_sel:[0,1]
	s_cbranch_vccnz .LBB98_13
.LBB98_23:                              ;   Parent Loop BB98_3 Depth=1
                                        ; =>  This Inner Loop Header: Depth=2
	s_load_dwordx2 s[40:41], s[36:37], 0x0
                                        ; implicit-def: $vgpr10_vgpr11
	s_waitcnt lgkmcnt(0)
	v_or_b32_e32 v3, s41, v7
	v_cmp_ne_u64_e32 vcc, 0, v[2:3]
	s_and_saveexec_b64 s[0:1], vcc
	s_xor_b64 s[42:43], exec, s[0:1]
	s_cbranch_execz .LBB98_25
; %bb.24:                               ;   in Loop: Header=BB98_23 Depth=2
	s_ashr_i32 s44, s41, 31
	s_add_u32 s0, s40, s44
	s_mov_b32 s45, s44
	s_addc_u32 s1, s41, s44
	s_xor_b64 s[46:47], s[0:1], s[44:45]
	v_cvt_f32_u32_e32 v3, s46
	v_cvt_f32_u32_e32 v10, s47
	s_sub_u32 s0, 0, s46
	s_subb_u32 s1, 0, s47
	v_mac_f32_e32 v3, 0x4f800000, v10
	v_rcp_f32_e32 v3, v3
	v_mul_f32_e32 v3, 0x5f7ffffc, v3
	v_mul_f32_e32 v10, 0x2f800000, v3
	v_trunc_f32_e32 v10, v10
	v_mac_f32_e32 v3, 0xcf800000, v10
	v_cvt_u32_f32_e32 v10, v10
	v_cvt_u32_f32_e32 v3, v3
	v_mul_lo_u32 v11, s0, v10
	v_mul_hi_u32 v16, s0, v3
	v_mul_lo_u32 v15, s1, v3
	v_add_u32_e32 v11, v16, v11
	v_mul_lo_u32 v17, s0, v3
	v_add_u32_e32 v11, v11, v15
	v_mul_lo_u32 v16, v3, v11
	v_mul_hi_u32 v18, v3, v17
	v_mul_hi_u32 v15, v3, v11
	v_add_co_u32_e32 v16, vcc, v18, v16
	v_addc_co_u32_e32 v15, vcc, 0, v15, vcc
	v_mul_hi_u32 v19, v10, v17
	v_mul_lo_u32 v17, v10, v17
	v_add_co_u32_e32 v16, vcc, v16, v17
	v_mul_hi_u32 v18, v10, v11
	v_addc_co_u32_e32 v15, vcc, v15, v19, vcc
	v_addc_co_u32_e32 v16, vcc, 0, v18, vcc
	v_mul_lo_u32 v11, v10, v11
	v_add_co_u32_e32 v11, vcc, v15, v11
	v_addc_co_u32_e32 v15, vcc, 0, v16, vcc
	v_add_co_u32_e32 v3, vcc, v3, v11
	v_addc_co_u32_e32 v10, vcc, v10, v15, vcc
	v_mul_lo_u32 v11, s0, v10
	v_mul_hi_u32 v15, s0, v3
	v_add_u32_e32 v11, v15, v11
	v_mul_lo_u32 v15, s1, v3
	v_add_u32_e32 v11, v11, v15
	v_mul_lo_u32 v16, s0, v3
	v_mul_hi_u32 v17, v10, v16
	v_mul_lo_u32 v18, v10, v16
	v_mul_lo_u32 v20, v3, v11
	v_mul_hi_u32 v16, v3, v16
	v_mul_hi_u32 v19, v3, v11
	v_add_co_u32_e32 v16, vcc, v16, v20
	v_addc_co_u32_e32 v19, vcc, 0, v19, vcc
	v_add_co_u32_e32 v16, vcc, v16, v18
	v_mul_hi_u32 v15, v10, v11
	v_addc_co_u32_e32 v16, vcc, v19, v17, vcc
	v_addc_co_u32_e32 v15, vcc, 0, v15, vcc
	v_mul_lo_u32 v11, v10, v11
	v_add_co_u32_e32 v11, vcc, v16, v11
	v_addc_co_u32_e32 v15, vcc, 0, v15, vcc
	v_add_co_u32_e32 v3, vcc, v3, v11
	v_addc_co_u32_e32 v15, vcc, v10, v15, vcc
	v_ashrrev_i32_e32 v18, 31, v7
	v_add_co_u32_e32 v10, vcc, v6, v18
	v_addc_co_u32_e32 v11, vcc, v7, v18, vcc
	v_xor_b32_e32 v20, v10, v18
	v_xor_b32_e32 v19, v11, v18
	v_mad_u64_u32 v[10:11], s[0:1], v20, v15, 0
	v_mul_hi_u32 v16, v20, v3
	v_add_co_u32_e32 v21, vcc, v16, v10
	v_addc_co_u32_e32 v22, vcc, 0, v11, vcc
	v_mad_u64_u32 v[16:17], s[0:1], v19, v3, 0
	v_add_co_u32_e32 v3, vcc, v21, v16
	v_mad_u64_u32 v[10:11], s[0:1], v19, v15, 0
	v_addc_co_u32_e32 v3, vcc, v22, v17, vcc
	v_addc_co_u32_e32 v11, vcc, 0, v11, vcc
	v_add_co_u32_e32 v3, vcc, v3, v10
	v_addc_co_u32_e32 v15, vcc, 0, v11, vcc
	v_mul_lo_u32 v16, s47, v3
	v_mul_lo_u32 v17, s46, v15
	v_mad_u64_u32 v[10:11], s[0:1], s46, v3, 0
	v_add3_u32 v11, v11, v17, v16
	v_sub_u32_e32 v16, v19, v11
	v_mov_b32_e32 v17, s47
	v_sub_co_u32_e32 v10, vcc, v20, v10
	v_subb_co_u32_e64 v16, s[0:1], v16, v17, vcc
	v_subrev_co_u32_e64 v17, s[0:1], s46, v10
	v_subbrev_co_u32_e64 v16, s[0:1], 0, v16, s[0:1]
	v_cmp_le_u32_e64 s[0:1], s47, v16
	v_cndmask_b32_e64 v20, 0, -1, s[0:1]
	v_cmp_le_u32_e64 s[0:1], s46, v17
	v_cndmask_b32_e64 v17, 0, -1, s[0:1]
	v_cmp_eq_u32_e64 s[0:1], s47, v16
	v_cndmask_b32_e64 v16, v20, v17, s[0:1]
	v_add_co_u32_e64 v17, s[0:1], 2, v3
	v_subb_co_u32_e32 v11, vcc, v19, v11, vcc
	v_addc_co_u32_e64 v20, s[0:1], 0, v15, s[0:1]
	v_cmp_le_u32_e32 vcc, s47, v11
	v_add_co_u32_e64 v21, s[0:1], 1, v3
	v_cndmask_b32_e64 v19, 0, -1, vcc
	v_cmp_le_u32_e32 vcc, s46, v10
	v_addc_co_u32_e64 v22, s[0:1], 0, v15, s[0:1]
	v_cndmask_b32_e64 v10, 0, -1, vcc
	v_cmp_eq_u32_e32 vcc, s47, v11
	v_cmp_ne_u32_e64 s[0:1], 0, v16
	v_cndmask_b32_e32 v10, v19, v10, vcc
	v_cmp_ne_u32_e32 vcc, 0, v10
	v_cndmask_b32_e64 v11, v21, v17, s[0:1]
	v_cndmask_b32_e64 v16, v22, v20, s[0:1]
	v_cndmask_b32_e32 v3, v3, v11, vcc
	v_xor_b32_e32 v11, s44, v18
	v_cndmask_b32_e32 v10, v15, v16, vcc
	v_xor_b32_e32 v3, v3, v11
	v_xor_b32_e32 v15, v10, v11
	v_sub_co_u32_e32 v10, vcc, v3, v11
	v_subb_co_u32_e32 v11, vcc, v15, v11, vcc
.LBB98_25:                              ;   in Loop: Header=BB98_23 Depth=2
	s_andn2_saveexec_b64 s[0:1], s[42:43]
	s_cbranch_execz .LBB98_22
; %bb.26:                               ;   in Loop: Header=BB98_23 Depth=2
	v_cvt_f32_u32_e32 v3, s40
	s_sub_i32 s42, 0, s40
	v_rcp_iflag_f32_e32 v3, v3
	v_mul_f32_e32 v3, 0x4f7ffffe, v3
	v_cvt_u32_f32_e32 v3, v3
	v_mul_lo_u32 v10, s42, v3
	v_mul_hi_u32 v10, v3, v10
	v_add_u32_e32 v3, v3, v10
	v_mul_hi_u32 v3, v6, v3
	v_mul_lo_u32 v10, v3, s40
	v_sub_u32_e32 v10, v6, v10
	v_add_u32_e32 v11, 1, v3
	v_subrev_u32_e32 v15, s40, v10
	v_cmp_le_u32_e32 vcc, s40, v10
	v_cndmask_b32_e32 v10, v10, v15, vcc
	v_cndmask_b32_e32 v3, v3, v11, vcc
	v_add_u32_e32 v11, 1, v3
	v_cmp_le_u32_e32 vcc, s40, v10
	v_cndmask_b32_e32 v10, v3, v11, vcc
	v_mov_b32_e32 v11, v2
	s_branch .LBB98_22
.LBB98_27:
	s_endpgm
	.section	.rodata,"a",@progbits
	.p2align	6, 0x0
	.amdhsa_kernel _ZN2at6native16triu_tril_kernelIN3c108BFloat16ElLb1ELi4ELb1EEEvNS_4cuda6detail10TensorInfoIT_T0_EENS6_IKS7_S8_EEllS8_
		.amdhsa_group_segment_fixed_size 0
		.amdhsa_private_segment_fixed_size 0
		.amdhsa_kernarg_size 1112
		.amdhsa_user_sgpr_count 6
		.amdhsa_user_sgpr_private_segment_buffer 1
		.amdhsa_user_sgpr_dispatch_ptr 0
		.amdhsa_user_sgpr_queue_ptr 0
		.amdhsa_user_sgpr_kernarg_segment_ptr 1
		.amdhsa_user_sgpr_dispatch_id 0
		.amdhsa_user_sgpr_flat_scratch_init 0
		.amdhsa_user_sgpr_kernarg_preload_length 0
		.amdhsa_user_sgpr_kernarg_preload_offset 0
		.amdhsa_user_sgpr_private_segment_size 0
		.amdhsa_uses_dynamic_stack 0
		.amdhsa_system_sgpr_private_segment_wavefront_offset 0
		.amdhsa_system_sgpr_workgroup_id_x 1
		.amdhsa_system_sgpr_workgroup_id_y 0
		.amdhsa_system_sgpr_workgroup_id_z 0
		.amdhsa_system_sgpr_workgroup_info 0
		.amdhsa_system_vgpr_workitem_id 0
		.amdhsa_next_free_vgpr 23
		.amdhsa_next_free_sgpr 49
		.amdhsa_accum_offset 24
		.amdhsa_reserve_vcc 1
		.amdhsa_reserve_flat_scratch 0
		.amdhsa_float_round_mode_32 0
		.amdhsa_float_round_mode_16_64 0
		.amdhsa_float_denorm_mode_32 3
		.amdhsa_float_denorm_mode_16_64 3
		.amdhsa_dx10_clamp 1
		.amdhsa_ieee_mode 1
		.amdhsa_fp16_overflow 0
		.amdhsa_tg_split 0
		.amdhsa_exception_fp_ieee_invalid_op 0
		.amdhsa_exception_fp_denorm_src 0
		.amdhsa_exception_fp_ieee_div_zero 0
		.amdhsa_exception_fp_ieee_overflow 0
		.amdhsa_exception_fp_ieee_underflow 0
		.amdhsa_exception_fp_ieee_inexact 0
		.amdhsa_exception_int_div_zero 0
	.end_amdhsa_kernel
	.section	.text._ZN2at6native16triu_tril_kernelIN3c108BFloat16ElLb1ELi4ELb1EEEvNS_4cuda6detail10TensorInfoIT_T0_EENS6_IKS7_S8_EEllS8_,"axG",@progbits,_ZN2at6native16triu_tril_kernelIN3c108BFloat16ElLb1ELi4ELb1EEEvNS_4cuda6detail10TensorInfoIT_T0_EENS6_IKS7_S8_EEllS8_,comdat
.Lfunc_end98:
	.size	_ZN2at6native16triu_tril_kernelIN3c108BFloat16ElLb1ELi4ELb1EEEvNS_4cuda6detail10TensorInfoIT_T0_EENS6_IKS7_S8_EEllS8_, .Lfunc_end98-_ZN2at6native16triu_tril_kernelIN3c108BFloat16ElLb1ELi4ELb1EEEvNS_4cuda6detail10TensorInfoIT_T0_EENS6_IKS7_S8_EEllS8_
                                        ; -- End function
	.section	.AMDGPU.csdata,"",@progbits
; Kernel info:
; codeLenInByte = 3332
; NumSgprs: 53
; NumVgprs: 23
; NumAgprs: 0
; TotalNumVgprs: 23
; ScratchSize: 0
; MemoryBound: 0
; FloatMode: 240
; IeeeMode: 1
; LDSByteSize: 0 bytes/workgroup (compile time only)
; SGPRBlocks: 6
; VGPRBlocks: 2
; NumSGPRsForWavesPerEU: 53
; NumVGPRsForWavesPerEU: 23
; AccumOffset: 24
; Occupancy: 8
; WaveLimiterHint : 0
; COMPUTE_PGM_RSRC2:SCRATCH_EN: 0
; COMPUTE_PGM_RSRC2:USER_SGPR: 6
; COMPUTE_PGM_RSRC2:TRAP_HANDLER: 0
; COMPUTE_PGM_RSRC2:TGID_X_EN: 1
; COMPUTE_PGM_RSRC2:TGID_Y_EN: 0
; COMPUTE_PGM_RSRC2:TGID_Z_EN: 0
; COMPUTE_PGM_RSRC2:TIDIG_COMP_CNT: 0
; COMPUTE_PGM_RSRC3_GFX90A:ACCUM_OFFSET: 5
; COMPUTE_PGM_RSRC3_GFX90A:TG_SPLIT: 0
	.section	.text._ZN2at6native16triu_tril_kernelIN3c108BFloat16ElLb1ELi4ELb0EEEvNS_4cuda6detail10TensorInfoIT_T0_EENS6_IKS7_S8_EEllS8_,"axG",@progbits,_ZN2at6native16triu_tril_kernelIN3c108BFloat16ElLb1ELi4ELb0EEEvNS_4cuda6detail10TensorInfoIT_T0_EENS6_IKS7_S8_EEllS8_,comdat
	.protected	_ZN2at6native16triu_tril_kernelIN3c108BFloat16ElLb1ELi4ELb0EEEvNS_4cuda6detail10TensorInfoIT_T0_EENS6_IKS7_S8_EEllS8_ ; -- Begin function _ZN2at6native16triu_tril_kernelIN3c108BFloat16ElLb1ELi4ELb0EEEvNS_4cuda6detail10TensorInfoIT_T0_EENS6_IKS7_S8_EEllS8_
	.globl	_ZN2at6native16triu_tril_kernelIN3c108BFloat16ElLb1ELi4ELb0EEEvNS_4cuda6detail10TensorInfoIT_T0_EENS6_IKS7_S8_EEllS8_
	.p2align	8
	.type	_ZN2at6native16triu_tril_kernelIN3c108BFloat16ElLb1ELi4ELb0EEEvNS_4cuda6detail10TensorInfoIT_T0_EENS6_IKS7_S8_EEllS8_,@function
_ZN2at6native16triu_tril_kernelIN3c108BFloat16ElLb1ELi4ELb0EEEvNS_4cuda6detail10TensorInfoIT_T0_EENS6_IKS7_S8_EEllS8_: ; @_ZN2at6native16triu_tril_kernelIN3c108BFloat16ElLb1ELi4ELb0EEEvNS_4cuda6detail10TensorInfoIT_T0_EENS6_IKS7_S8_EEllS8_
; %bb.0:
	s_load_dword s2, s[4:5], 0x364
	s_load_dwordx4 s[8:11], s[4:5], 0x340
	s_add_u32 s0, s4, 0x358
	v_mov_b32_e32 v2, 0
	s_addc_u32 s1, s5, 0
	s_waitcnt lgkmcnt(0)
	s_and_b32 s7, s2, 0xffff
	v_mov_b32_e32 v1, v2
	v_mov_b32_e32 v3, s6
	v_mad_u64_u32 v[0:1], s[2:3], s7, v3, v[0:1]
	v_lshlrev_b64 v[0:1], 2, v[0:1]
	v_cmp_gt_i64_e32 vcc, s[10:11], v[0:1]
	s_and_saveexec_b64 s[2:3], vcc
	s_cbranch_execz .LBB99_32
; %bb.1:
	s_load_dword s6, s[0:1], 0x0
	s_load_dwordx2 s[2:3], s[4:5], 0x350
	s_load_dword s26, s[4:5], 0x338
	s_add_u32 s12, s4, 0x1a0
	s_addc_u32 s13, s5, 0
	s_waitcnt lgkmcnt(0)
	s_mul_i32 s28, s6, s7
	v_cvt_f32_u32_e32 v3, s2
	s_ashr_i32 s27, s26, 31
	s_add_u32 s36, s4, 0x1a8
	s_addc_u32 s37, s5, 0
	s_lshl_b64 s[0:1], s[26:27], 3
	s_add_u32 s22, s0, -16
	s_addc_u32 s23, s1, -1
	s_add_u32 s0, s36, s22
	s_addc_u32 s1, s37, s23
	s_add_u32 s20, s12, s22
	s_addc_u32 s21, s13, s23
	;; [unrolled: 2-line block ×3, first 2 shown]
	s_load_dwordx4 s[12:15], s[0:1], 0x0
	s_load_dwordx4 s[16:19], s[20:21], 0xd0
	s_add_u32 s0, s30, s22
	s_addc_u32 s1, s31, s23
	s_load_dwordx4 s[20:23], s[0:1], 0x0
	s_load_dwordx2 s[6:7], s[4:5], 0x1a0
	v_rcp_iflag_f32_e32 v3, v3
	s_load_dwordx2 s[4:5], s[4:5], 0x0
	s_add_i32 s0, s26, -3
	s_ashr_i32 s1, s0, 31
	s_lshl_b32 s33, s28, 2
	s_waitcnt lgkmcnt(0)
	s_mul_i32 s28, s19, 6
	s_mul_hi_u32 s29, s18, 6
	s_mul_i32 s34, s23, 6
	s_mul_hi_u32 s35, s22, 6
	v_cmp_gt_i64_e64 s[24:25], s[26:27], 2
	s_lshl_b64 s[26:27], s[18:19], 2
	s_add_i32 s55, s29, s28
	s_lshl_b64 s[28:29], s[22:23], 2
	s_add_i32 s57, s35, s34
	s_lshl_b64 s[34:35], s[0:1], 3
	s_add_u32 s30, s30, s34
	s_addc_u32 s31, s31, s35
	v_mul_f32_e32 v3, 0x4f7ffffe, v3
	s_add_u32 s34, s36, s34
	v_cvt_u32_f32_e32 v14, v3
	s_addc_u32 s35, s37, s35
	s_add_u32 s36, s0, 1
	s_mov_b32 s54, 0
	s_mul_i32 s56, s18, 6
	s_mul_i32 s58, s22, 6
	s_addc_u32 s37, s1, 0
	s_mov_b64 s[38:39], 0
	s_branch .LBB99_3
.LBB99_2:                               ;   in Loop: Header=BB99_3 Depth=1
	s_or_b64 exec, exec, s[0:1]
	v_mov_b32_e32 v3, s54
	v_add_co_u32_e32 v0, vcc, s33, v0
	v_addc_co_u32_e32 v1, vcc, v1, v3, vcc
	v_cmp_le_i64_e32 vcc, s[10:11], v[0:1]
	s_or_b64 s[38:39], vcc, s[38:39]
	s_andn2_b64 exec, exec, s[38:39]
	s_cbranch_execz .LBB99_32
.LBB99_3:                               ; =>This Loop Header: Depth=1
                                        ;     Child Loop BB99_28 Depth 2
	v_or_b32_e32 v3, s3, v1
	v_cmp_ne_u64_e32 vcc, 0, v[2:3]
                                        ; implicit-def: $vgpr6_vgpr7
	s_and_saveexec_b64 s[0:1], vcc
	s_xor_b64 s[40:41], exec, s[0:1]
	s_cbranch_execz .LBB99_5
; %bb.4:                                ;   in Loop: Header=BB99_3 Depth=1
	s_ashr_i32 s42, s3, 31
	s_add_u32 s0, s2, s42
	s_mov_b32 s43, s42
	s_addc_u32 s1, s3, s42
	s_xor_b64 s[44:45], s[0:1], s[42:43]
	v_cvt_f32_u32_e32 v3, s44
	v_cvt_f32_u32_e32 v4, s45
	s_sub_u32 s0, 0, s44
	s_subb_u32 s1, 0, s45
	v_mac_f32_e32 v3, 0x4f800000, v4
	v_rcp_f32_e32 v3, v3
	v_mul_f32_e32 v3, 0x5f7ffffc, v3
	v_mul_f32_e32 v4, 0x2f800000, v3
	v_trunc_f32_e32 v4, v4
	v_mac_f32_e32 v3, 0xcf800000, v4
	v_cvt_u32_f32_e32 v4, v4
	v_cvt_u32_f32_e32 v3, v3
	v_mul_lo_u32 v5, s0, v4
	v_mul_hi_u32 v7, s0, v3
	v_mul_lo_u32 v6, s1, v3
	v_add_u32_e32 v5, v7, v5
	v_mul_lo_u32 v8, s0, v3
	v_add_u32_e32 v5, v5, v6
	v_mul_lo_u32 v7, v3, v5
	v_mul_hi_u32 v9, v3, v8
	v_mul_hi_u32 v6, v3, v5
	v_add_co_u32_e32 v7, vcc, v9, v7
	v_addc_co_u32_e32 v6, vcc, 0, v6, vcc
	v_mul_hi_u32 v10, v4, v8
	v_mul_lo_u32 v8, v4, v8
	v_add_co_u32_e32 v7, vcc, v7, v8
	v_mul_hi_u32 v9, v4, v5
	v_addc_co_u32_e32 v6, vcc, v6, v10, vcc
	v_addc_co_u32_e32 v7, vcc, 0, v9, vcc
	v_mul_lo_u32 v5, v4, v5
	v_add_co_u32_e32 v5, vcc, v6, v5
	v_addc_co_u32_e32 v6, vcc, 0, v7, vcc
	v_add_co_u32_e32 v3, vcc, v3, v5
	v_addc_co_u32_e32 v4, vcc, v4, v6, vcc
	v_mul_lo_u32 v5, s0, v4
	v_mul_hi_u32 v6, s0, v3
	v_add_u32_e32 v5, v6, v5
	v_mul_lo_u32 v6, s1, v3
	v_add_u32_e32 v5, v5, v6
	v_mul_lo_u32 v7, s0, v3
	v_mul_hi_u32 v8, v4, v7
	v_mul_lo_u32 v9, v4, v7
	v_mul_lo_u32 v11, v3, v5
	v_mul_hi_u32 v7, v3, v7
	v_mul_hi_u32 v10, v3, v5
	v_add_co_u32_e32 v7, vcc, v7, v11
	v_addc_co_u32_e32 v10, vcc, 0, v10, vcc
	v_add_co_u32_e32 v7, vcc, v7, v9
	v_mul_hi_u32 v6, v4, v5
	v_addc_co_u32_e32 v7, vcc, v10, v8, vcc
	v_addc_co_u32_e32 v6, vcc, 0, v6, vcc
	v_mul_lo_u32 v5, v4, v5
	v_add_co_u32_e32 v5, vcc, v7, v5
	v_addc_co_u32_e32 v6, vcc, 0, v6, vcc
	v_add_co_u32_e32 v3, vcc, v3, v5
	v_addc_co_u32_e32 v6, vcc, v4, v6, vcc
	v_ashrrev_i32_e32 v8, 31, v1
	v_add_co_u32_e32 v4, vcc, v0, v8
	v_addc_co_u32_e32 v5, vcc, v1, v8, vcc
	v_xor_b32_e32 v10, v4, v8
	v_xor_b32_e32 v9, v5, v8
	v_mad_u64_u32 v[4:5], s[0:1], v10, v6, 0
	v_mul_hi_u32 v7, v10, v3
	v_add_co_u32_e32 v11, vcc, v7, v4
	v_addc_co_u32_e32 v12, vcc, 0, v5, vcc
	v_mad_u64_u32 v[4:5], s[0:1], v9, v6, 0
	v_mad_u64_u32 v[6:7], s[0:1], v9, v3, 0
	v_add_co_u32_e32 v3, vcc, v11, v6
	v_addc_co_u32_e32 v3, vcc, v12, v7, vcc
	v_addc_co_u32_e32 v5, vcc, 0, v5, vcc
	v_add_co_u32_e32 v3, vcc, v3, v4
	v_addc_co_u32_e32 v6, vcc, 0, v5, vcc
	v_mul_lo_u32 v7, s45, v3
	v_mul_lo_u32 v11, s44, v6
	v_mad_u64_u32 v[4:5], s[0:1], s44, v3, 0
	v_add3_u32 v5, v5, v11, v7
	v_sub_u32_e32 v7, v9, v5
	v_mov_b32_e32 v11, s45
	v_sub_co_u32_e32 v4, vcc, v10, v4
	v_subb_co_u32_e64 v7, s[0:1], v7, v11, vcc
	v_subrev_co_u32_e64 v10, s[0:1], s44, v4
	v_subbrev_co_u32_e64 v7, s[0:1], 0, v7, s[0:1]
	v_cmp_le_u32_e64 s[0:1], s45, v7
	v_cndmask_b32_e64 v11, 0, -1, s[0:1]
	v_cmp_le_u32_e64 s[0:1], s44, v10
	v_cndmask_b32_e64 v10, 0, -1, s[0:1]
	v_cmp_eq_u32_e64 s[0:1], s45, v7
	v_cndmask_b32_e64 v7, v11, v10, s[0:1]
	v_add_co_u32_e64 v10, s[0:1], 2, v3
	v_subb_co_u32_e32 v5, vcc, v9, v5, vcc
	v_addc_co_u32_e64 v11, s[0:1], 0, v6, s[0:1]
	v_cmp_le_u32_e32 vcc, s45, v5
	v_add_co_u32_e64 v12, s[0:1], 1, v3
	v_cndmask_b32_e64 v9, 0, -1, vcc
	v_cmp_le_u32_e32 vcc, s44, v4
	v_addc_co_u32_e64 v13, s[0:1], 0, v6, s[0:1]
	v_cndmask_b32_e64 v4, 0, -1, vcc
	v_cmp_eq_u32_e32 vcc, s45, v5
	v_cmp_ne_u32_e64 s[0:1], 0, v7
	v_cndmask_b32_e32 v4, v9, v4, vcc
	v_cmp_ne_u32_e32 vcc, 0, v4
	v_cndmask_b32_e64 v5, v12, v10, s[0:1]
	v_cndmask_b32_e64 v7, v13, v11, s[0:1]
	v_cndmask_b32_e32 v3, v3, v5, vcc
	v_xor_b32_e32 v5, s42, v8
	v_cndmask_b32_e32 v4, v6, v7, vcc
	v_xor_b32_e32 v3, v3, v5
	v_xor_b32_e32 v4, v4, v5
	v_sub_co_u32_e32 v6, vcc, v3, v5
	v_subb_co_u32_e32 v7, vcc, v4, v5, vcc
.LBB99_5:                               ;   in Loop: Header=BB99_3 Depth=1
	s_andn2_saveexec_b64 s[0:1], s[40:41]
	s_cbranch_execz .LBB99_7
; %bb.6:                                ;   in Loop: Header=BB99_3 Depth=1
	s_sub_i32 s40, 0, s2
	v_mul_lo_u32 v3, s40, v14
	v_mul_hi_u32 v3, v14, v3
	v_add_u32_e32 v3, v14, v3
	v_mul_hi_u32 v3, v0, v3
	v_mul_lo_u32 v4, v3, s2
	v_sub_u32_e32 v4, v0, v4
	v_subrev_u32_e32 v5, s2, v4
	v_cmp_le_u32_e32 vcc, s2, v4
	v_cndmask_b32_e32 v4, v4, v5, vcc
	v_add_u32_e32 v5, 1, v3
	v_cndmask_b32_e32 v3, v3, v5, vcc
	v_add_u32_e32 v5, 1, v3
	v_cmp_le_u32_e32 vcc, s2, v4
	v_cndmask_b32_e32 v6, v3, v5, vcc
	v_mov_b32_e32 v7, v2
.LBB99_7:                               ;   in Loop: Header=BB99_3 Depth=1
	s_or_b64 exec, exec, s[0:1]
	v_or_b32_e32 v3, s13, v7
	v_cmp_ne_u64_e32 vcc, 0, v[2:3]
                                        ; implicit-def: $vgpr10_vgpr11
	s_and_saveexec_b64 s[0:1], vcc
	s_xor_b64 s[40:41], exec, s[0:1]
	s_cbranch_execz .LBB99_9
; %bb.8:                                ;   in Loop: Header=BB99_3 Depth=1
	s_ashr_i32 s42, s13, 31
	s_add_u32 s0, s12, s42
	s_mov_b32 s43, s42
	s_addc_u32 s1, s13, s42
	s_xor_b64 s[44:45], s[0:1], s[42:43]
	v_cvt_f32_u32_e32 v3, s44
	v_cvt_f32_u32_e32 v4, s45
	s_sub_u32 s0, 0, s44
	s_subb_u32 s1, 0, s45
	v_mac_f32_e32 v3, 0x4f800000, v4
	v_rcp_f32_e32 v3, v3
	v_mul_f32_e32 v3, 0x5f7ffffc, v3
	v_mul_f32_e32 v4, 0x2f800000, v3
	v_trunc_f32_e32 v4, v4
	v_mac_f32_e32 v3, 0xcf800000, v4
	v_cvt_u32_f32_e32 v4, v4
	v_cvt_u32_f32_e32 v3, v3
	v_mul_lo_u32 v5, s0, v4
	v_mul_hi_u32 v9, s0, v3
	v_mul_lo_u32 v8, s1, v3
	v_add_u32_e32 v5, v9, v5
	v_mul_lo_u32 v10, s0, v3
	v_add_u32_e32 v5, v5, v8
	v_mul_lo_u32 v9, v3, v5
	v_mul_hi_u32 v11, v3, v10
	v_mul_hi_u32 v8, v3, v5
	v_add_co_u32_e32 v9, vcc, v11, v9
	v_addc_co_u32_e32 v8, vcc, 0, v8, vcc
	v_mul_hi_u32 v12, v4, v10
	v_mul_lo_u32 v10, v4, v10
	v_add_co_u32_e32 v9, vcc, v9, v10
	v_mul_hi_u32 v11, v4, v5
	v_addc_co_u32_e32 v8, vcc, v8, v12, vcc
	v_addc_co_u32_e32 v9, vcc, 0, v11, vcc
	v_mul_lo_u32 v5, v4, v5
	v_add_co_u32_e32 v5, vcc, v8, v5
	v_addc_co_u32_e32 v8, vcc, 0, v9, vcc
	v_add_co_u32_e32 v3, vcc, v3, v5
	v_addc_co_u32_e32 v4, vcc, v4, v8, vcc
	v_mul_lo_u32 v5, s0, v4
	v_mul_hi_u32 v8, s0, v3
	v_add_u32_e32 v5, v8, v5
	v_mul_lo_u32 v8, s1, v3
	v_add_u32_e32 v5, v5, v8
	v_mul_lo_u32 v9, s0, v3
	v_mul_hi_u32 v10, v4, v9
	v_mul_lo_u32 v11, v4, v9
	v_mul_lo_u32 v13, v3, v5
	v_mul_hi_u32 v9, v3, v9
	v_mul_hi_u32 v12, v3, v5
	v_add_co_u32_e32 v9, vcc, v9, v13
	v_addc_co_u32_e32 v12, vcc, 0, v12, vcc
	v_add_co_u32_e32 v9, vcc, v9, v11
	v_mul_hi_u32 v8, v4, v5
	v_addc_co_u32_e32 v9, vcc, v12, v10, vcc
	v_addc_co_u32_e32 v8, vcc, 0, v8, vcc
	v_mul_lo_u32 v5, v4, v5
	v_add_co_u32_e32 v5, vcc, v9, v5
	v_addc_co_u32_e32 v8, vcc, 0, v8, vcc
	v_add_co_u32_e32 v3, vcc, v3, v5
	v_addc_co_u32_e32 v8, vcc, v4, v8, vcc
	v_ashrrev_i32_e32 v10, 31, v7
	v_add_co_u32_e32 v4, vcc, v6, v10
	v_addc_co_u32_e32 v5, vcc, v7, v10, vcc
	v_xor_b32_e32 v12, v4, v10
	v_xor_b32_e32 v11, v5, v10
	v_mad_u64_u32 v[4:5], s[0:1], v12, v8, 0
	v_mul_hi_u32 v9, v12, v3
	v_add_co_u32_e32 v13, vcc, v9, v4
	v_addc_co_u32_e32 v15, vcc, 0, v5, vcc
	v_mad_u64_u32 v[4:5], s[0:1], v11, v8, 0
	v_mad_u64_u32 v[8:9], s[0:1], v11, v3, 0
	v_add_co_u32_e32 v3, vcc, v13, v8
	v_addc_co_u32_e32 v3, vcc, v15, v9, vcc
	v_addc_co_u32_e32 v5, vcc, 0, v5, vcc
	v_add_co_u32_e32 v3, vcc, v3, v4
	v_addc_co_u32_e32 v8, vcc, 0, v5, vcc
	v_mul_lo_u32 v9, s45, v3
	v_mul_lo_u32 v13, s44, v8
	v_mad_u64_u32 v[4:5], s[0:1], s44, v3, 0
	v_add3_u32 v5, v5, v13, v9
	v_sub_u32_e32 v9, v11, v5
	v_mov_b32_e32 v13, s45
	v_sub_co_u32_e32 v4, vcc, v12, v4
	v_subb_co_u32_e64 v9, s[0:1], v9, v13, vcc
	v_subrev_co_u32_e64 v12, s[0:1], s44, v4
	v_subbrev_co_u32_e64 v9, s[0:1], 0, v9, s[0:1]
	v_cmp_le_u32_e64 s[0:1], s45, v9
	v_cndmask_b32_e64 v13, 0, -1, s[0:1]
	v_cmp_le_u32_e64 s[0:1], s44, v12
	v_cndmask_b32_e64 v12, 0, -1, s[0:1]
	v_cmp_eq_u32_e64 s[0:1], s45, v9
	v_cndmask_b32_e64 v9, v13, v12, s[0:1]
	v_add_co_u32_e64 v12, s[0:1], 2, v3
	v_subb_co_u32_e32 v5, vcc, v11, v5, vcc
	v_addc_co_u32_e64 v13, s[0:1], 0, v8, s[0:1]
	v_cmp_le_u32_e32 vcc, s45, v5
	v_add_co_u32_e64 v15, s[0:1], 1, v3
	v_cndmask_b32_e64 v11, 0, -1, vcc
	v_cmp_le_u32_e32 vcc, s44, v4
	v_addc_co_u32_e64 v16, s[0:1], 0, v8, s[0:1]
	v_cndmask_b32_e64 v4, 0, -1, vcc
	v_cmp_eq_u32_e32 vcc, s45, v5
	v_cmp_ne_u32_e64 s[0:1], 0, v9
	v_cndmask_b32_e32 v4, v11, v4, vcc
	v_cmp_ne_u32_e32 vcc, 0, v4
	v_cndmask_b32_e64 v5, v15, v12, s[0:1]
	v_cndmask_b32_e64 v9, v16, v13, s[0:1]
	v_cndmask_b32_e32 v3, v3, v5, vcc
	v_xor_b32_e32 v5, s42, v10
	v_cndmask_b32_e32 v4, v8, v9, vcc
	v_xor_b32_e32 v3, v3, v5
	v_xor_b32_e32 v4, v4, v5
	v_sub_co_u32_e32 v10, vcc, v3, v5
	v_subb_co_u32_e32 v11, vcc, v4, v5, vcc
.LBB99_9:                               ;   in Loop: Header=BB99_3 Depth=1
	s_andn2_saveexec_b64 s[0:1], s[40:41]
	s_cbranch_execz .LBB99_11
; %bb.10:                               ;   in Loop: Header=BB99_3 Depth=1
	v_cvt_f32_u32_e32 v3, s12
	s_sub_i32 s40, 0, s12
	v_mov_b32_e32 v11, v2
	v_rcp_iflag_f32_e32 v3, v3
	v_mul_f32_e32 v3, 0x4f7ffffe, v3
	v_cvt_u32_f32_e32 v3, v3
	v_mul_lo_u32 v4, s40, v3
	v_mul_hi_u32 v4, v3, v4
	v_add_u32_e32 v3, v3, v4
	v_mul_hi_u32 v3, v6, v3
	v_mul_lo_u32 v4, v3, s12
	v_sub_u32_e32 v4, v6, v4
	v_add_u32_e32 v5, 1, v3
	v_subrev_u32_e32 v8, s12, v4
	v_cmp_le_u32_e32 vcc, s12, v4
	v_cndmask_b32_e32 v4, v4, v8, vcc
	v_cndmask_b32_e32 v3, v3, v5, vcc
	v_add_u32_e32 v5, 1, v3
	v_cmp_le_u32_e32 vcc, s12, v4
	v_cndmask_b32_e32 v10, v3, v5, vcc
.LBB99_11:                              ;   in Loop: Header=BB99_3 Depth=1
	s_or_b64 exec, exec, s[0:1]
	v_mul_lo_u32 v3, v7, s2
	v_mul_lo_u32 v8, v6, s3
	v_mad_u64_u32 v[4:5], s[0:1], v6, s2, 0
	v_add3_u32 v3, v5, v8, v3
	v_sub_co_u32_e32 v4, vcc, v0, v4
	v_subb_co_u32_e32 v5, vcc, v1, v3, vcc
	v_mul_lo_u32 v3, v11, s12
	v_mul_lo_u32 v12, v10, s13
	v_mad_u64_u32 v[8:9], s[0:1], v10, s12, 0
	v_add3_u32 v3, v9, v12, v3
	v_sub_co_u32_e32 v15, vcc, v6, v8
	v_subb_co_u32_e32 v16, vcc, v7, v3, vcc
	v_mul_lo_u32 v3, s19, v4
	v_mul_lo_u32 v8, s18, v5
	v_mad_u64_u32 v[6:7], s[0:1], s18, v4, 0
	v_add3_u32 v7, v7, v8, v3
	v_mul_lo_u32 v3, s23, v4
	v_mul_lo_u32 v8, s22, v5
	v_mad_u64_u32 v[12:13], s[0:1], s22, v4, 0
	v_add3_u32 v13, v13, v8, v3
	v_mad_u64_u32 v[8:9], s[0:1], s16, v15, v[6:7]
	v_mul_lo_u32 v3, s16, v16
	v_mul_lo_u32 v6, s17, v15
	v_add3_u32 v9, v6, v9, v3
	v_mad_u64_u32 v[6:7], s[0:1], s20, v15, v[12:13]
	v_mul_lo_u32 v3, s20, v16
	v_mul_lo_u32 v12, s21, v15
	v_add3_u32 v7, v12, v7, v3
	s_and_b64 vcc, exec, s[24:25]
	s_mov_b64 s[40:41], s[36:37]
	s_mov_b64 s[42:43], s[34:35]
	;; [unrolled: 1-line block ×3, first 2 shown]
	s_cbranch_vccnz .LBB99_28
.LBB99_12:                              ;   in Loop: Header=BB99_3 Depth=1
	v_sub_co_u32_e32 v10, vcc, v4, v15
	v_subb_co_u32_e32 v11, vcc, v5, v16, vcc
	v_add_co_u32_e32 v12, vcc, 4, v10
	v_addc_co_u32_e32 v13, vcc, 0, v11, vcc
	v_cmp_le_i64_e32 vcc, s[8:9], v[12:13]
	v_mov_b32_e32 v17, 0
	v_mov_b32_e32 v16, 0
	;; [unrolled: 1-line block ×4, first 2 shown]
	s_and_saveexec_b64 s[0:1], vcc
	s_cbranch_execz .LBB99_22
; %bb.13:                               ;   in Loop: Header=BB99_3 Depth=1
	v_cmp_gt_i64_e32 vcc, s[14:15], v[4:5]
	v_mov_b32_e32 v15, 0
	v_mov_b32_e32 v13, 0
	;; [unrolled: 1-line block ×4, first 2 shown]
	s_and_saveexec_b64 s[40:41], vcc
	s_cbranch_execz .LBB99_21
; %bb.14:                               ;   in Loop: Header=BB99_3 Depth=1
	v_lshlrev_b64 v[8:9], 1, v[8:9]
	v_mov_b32_e32 v3, s7
	v_add_co_u32_e32 v8, vcc, s6, v8
	v_addc_co_u32_e32 v9, vcc, v3, v9, vcc
	global_load_ushort v3, v[8:9], off
	v_add_co_u32_e32 v12, vcc, 1, v4
	v_addc_co_u32_e32 v13, vcc, 0, v5, vcc
	v_cmp_gt_i64_e32 vcc, s[14:15], v[12:13]
	v_mov_b32_e32 v12, 0
	v_mov_b32_e32 v13, 0
	v_mov_b32_e32 v15, 0
	s_and_saveexec_b64 s[42:43], vcc
	s_xor_b64 s[42:43], exec, s[42:43]
	s_cbranch_execz .LBB99_20
; %bb.15:                               ;   in Loop: Header=BB99_3 Depth=1
	s_lshl_b64 s[44:45], s[18:19], 1
	v_mov_b32_e32 v13, s45
	v_add_co_u32_e32 v12, vcc, s44, v8
	v_addc_co_u32_e32 v13, vcc, v9, v13, vcc
	global_load_ushort v12, v[12:13], off
	v_add_co_u32_e32 v16, vcc, 2, v4
	v_addc_co_u32_e32 v17, vcc, 0, v5, vcc
	v_cmp_gt_i64_e32 vcc, s[14:15], v[16:17]
	v_mov_b32_e32 v13, 0
	v_mov_b32_e32 v15, 0
	s_and_saveexec_b64 s[44:45], vcc
	s_xor_b64 s[44:45], exec, s[44:45]
	s_cbranch_execz .LBB99_19
; %bb.16:                               ;   in Loop: Header=BB99_3 Depth=1
	v_mov_b32_e32 v13, s27
	v_add_co_u32_e32 v16, vcc, s26, v8
	v_addc_co_u32_e32 v17, vcc, v9, v13, vcc
	global_load_ushort v13, v[16:17], off
	v_add_co_u32_e32 v16, vcc, 3, v4
	v_addc_co_u32_e32 v17, vcc, 0, v5, vcc
	v_cmp_gt_i64_e32 vcc, s[14:15], v[16:17]
	v_mov_b32_e32 v15, 0
	s_and_saveexec_b64 s[46:47], vcc
	s_xor_b64 s[46:47], exec, s[46:47]
	s_cbranch_execz .LBB99_18
; %bb.17:                               ;   in Loop: Header=BB99_3 Depth=1
	v_mov_b32_e32 v15, s55
	v_add_co_u32_e32 v8, vcc, s56, v8
	v_addc_co_u32_e32 v9, vcc, v9, v15, vcc
	global_load_ushort v15, v[8:9], off
.LBB99_18:                              ;   in Loop: Header=BB99_3 Depth=1
	s_or_b64 exec, exec, s[46:47]
.LBB99_19:                              ;   in Loop: Header=BB99_3 Depth=1
	s_or_b64 exec, exec, s[44:45]
.LBB99_20:                              ;   in Loop: Header=BB99_3 Depth=1
	s_or_b64 exec, exec, s[42:43]
.LBB99_21:                              ;   in Loop: Header=BB99_3 Depth=1
	s_or_b64 exec, exec, s[40:41]
	v_cmp_le_i64_e32 vcc, s[8:9], v[10:11]
	s_waitcnt vmcnt(0)
	v_cndmask_b32_e32 v17, 0, v3, vcc
	v_add_co_u32_e32 v8, vcc, 1, v10
	v_addc_co_u32_e32 v9, vcc, 0, v11, vcc
	v_cmp_le_i64_e32 vcc, s[8:9], v[8:9]
	v_cndmask_b32_e32 v16, 0, v12, vcc
	v_add_co_u32_e32 v8, vcc, 2, v10
	v_addc_co_u32_e32 v9, vcc, 0, v11, vcc
	v_cmp_le_i64_e32 vcc, s[8:9], v[8:9]
	;; [unrolled: 4-line block ×3, first 2 shown]
	v_cndmask_b32_e32 v3, 0, v15, vcc
.LBB99_22:                              ;   in Loop: Header=BB99_3 Depth=1
	s_or_b64 exec, exec, s[0:1]
	v_cmp_gt_i64_e32 vcc, s[14:15], v[4:5]
	s_and_saveexec_b64 s[0:1], vcc
	s_cbranch_execz .LBB99_2
; %bb.23:                               ;   in Loop: Header=BB99_3 Depth=1
	v_lshlrev_b64 v[6:7], 1, v[6:7]
	v_mov_b32_e32 v8, s5
	v_add_co_u32_e32 v6, vcc, s4, v6
	v_addc_co_u32_e32 v7, vcc, v8, v7, vcc
	v_add_co_u32_e32 v8, vcc, 1, v4
	v_addc_co_u32_e32 v9, vcc, 0, v5, vcc
	v_cmp_gt_i64_e32 vcc, s[14:15], v[8:9]
	global_store_short v[6:7], v17, off
	s_and_saveexec_b64 s[40:41], vcc
	s_xor_b64 s[40:41], exec, s[40:41]
	s_cbranch_execz .LBB99_2
; %bb.24:                               ;   in Loop: Header=BB99_3 Depth=1
	s_lshl_b64 s[40:41], s[22:23], 1
	v_mov_b32_e32 v9, s41
	v_add_co_u32_e32 v8, vcc, s40, v6
	v_addc_co_u32_e32 v9, vcc, v7, v9, vcc
	global_store_short v[8:9], v16, off
	v_add_co_u32_e32 v8, vcc, 2, v4
	v_addc_co_u32_e32 v9, vcc, 0, v5, vcc
	v_cmp_gt_i64_e32 vcc, s[14:15], v[8:9]
	s_and_saveexec_b64 s[40:41], vcc
	s_xor_b64 s[40:41], exec, s[40:41]
	s_cbranch_execz .LBB99_2
; %bb.25:                               ;   in Loop: Header=BB99_3 Depth=1
	v_mov_b32_e32 v9, s29
	v_add_co_u32_e32 v8, vcc, s28, v6
	v_addc_co_u32_e32 v9, vcc, v7, v9, vcc
	v_add_co_u32_e32 v4, vcc, 3, v4
	v_addc_co_u32_e32 v5, vcc, 0, v5, vcc
	v_cmp_gt_i64_e32 vcc, s[14:15], v[4:5]
	global_store_short v[8:9], v12, off
	s_and_saveexec_b64 s[40:41], vcc
	s_xor_b64 s[40:41], exec, s[40:41]
	s_cbranch_execz .LBB99_2
; %bb.26:                               ;   in Loop: Header=BB99_3 Depth=1
	v_mov_b32_e32 v5, s57
	v_add_co_u32_e32 v4, vcc, s58, v6
	v_addc_co_u32_e32 v5, vcc, v7, v5, vcc
	global_store_short v[4:5], v3, off
	s_branch .LBB99_2
.LBB99_27:                              ;   in Loop: Header=BB99_28 Depth=2
	s_or_b64 exec, exec, s[0:1]
	v_mad_u64_u32 v[18:19], s[0:1], v12, s46, 0
	v_mul_lo_u32 v3, v13, s46
	v_mul_lo_u32 v17, v12, s47
	s_load_dwordx2 s[0:1], s[42:43], 0xc8
	s_load_dwordx2 s[46:47], s[44:45], 0x0
	s_add_u32 s44, s44, -8
	s_addc_u32 s45, s45, -1
	s_add_u32 s42, s42, -8
	v_add3_u32 v3, v19, v17, v3
	v_sub_co_u32_e32 v10, vcc, v10, v18
	s_addc_u32 s43, s43, -1
	v_subb_co_u32_e32 v3, vcc, v11, v3, vcc
	s_add_u32 s40, s40, -1
	s_waitcnt lgkmcnt(0)
	v_mul_lo_u32 v11, s0, v3
	v_mul_lo_u32 v17, s1, v10
	v_mad_u64_u32 v[8:9], s[0:1], s0, v10, v[8:9]
	v_mad_u64_u32 v[6:7], s[0:1], s46, v10, v[6:7]
	s_addc_u32 s41, s41, -1
	v_add3_u32 v9, v17, v9, v11
	v_mul_lo_u32 v3, s46, v3
	v_mul_lo_u32 v11, s47, v10
	v_cmp_lt_i64_e64 s[0:1], s[40:41], 1
	v_add3_u32 v7, v11, v7, v3
	s_and_b64 vcc, exec, s[0:1]
	v_pk_mov_b32 v[10:11], v[12:13], v[12:13] op_sel:[0,1]
	s_cbranch_vccnz .LBB99_12
.LBB99_28:                              ;   Parent Loop BB99_3 Depth=1
                                        ; =>  This Inner Loop Header: Depth=2
	s_load_dwordx2 s[46:47], s[42:43], 0x0
                                        ; implicit-def: $vgpr12_vgpr13
	s_waitcnt lgkmcnt(0)
	v_or_b32_e32 v3, s47, v11
	v_cmp_ne_u64_e32 vcc, 0, v[2:3]
	s_and_saveexec_b64 s[0:1], vcc
	s_xor_b64 s[48:49], exec, s[0:1]
	s_cbranch_execz .LBB99_30
; %bb.29:                               ;   in Loop: Header=BB99_28 Depth=2
	s_ashr_i32 s50, s47, 31
	s_add_u32 s0, s46, s50
	s_mov_b32 s51, s50
	s_addc_u32 s1, s47, s50
	s_xor_b64 s[52:53], s[0:1], s[50:51]
	v_cvt_f32_u32_e32 v3, s52
	v_cvt_f32_u32_e32 v12, s53
	s_sub_u32 s0, 0, s52
	s_subb_u32 s1, 0, s53
	v_mac_f32_e32 v3, 0x4f800000, v12
	v_rcp_f32_e32 v3, v3
	v_mul_f32_e32 v3, 0x5f7ffffc, v3
	v_mul_f32_e32 v12, 0x2f800000, v3
	v_trunc_f32_e32 v12, v12
	v_mac_f32_e32 v3, 0xcf800000, v12
	v_cvt_u32_f32_e32 v12, v12
	v_cvt_u32_f32_e32 v3, v3
	v_mul_lo_u32 v13, s0, v12
	v_mul_hi_u32 v18, s0, v3
	v_mul_lo_u32 v17, s1, v3
	v_add_u32_e32 v13, v18, v13
	v_mul_lo_u32 v19, s0, v3
	v_add_u32_e32 v13, v13, v17
	v_mul_lo_u32 v18, v3, v13
	v_mul_hi_u32 v20, v3, v19
	v_mul_hi_u32 v17, v3, v13
	v_add_co_u32_e32 v18, vcc, v20, v18
	v_addc_co_u32_e32 v17, vcc, 0, v17, vcc
	v_mul_hi_u32 v21, v12, v19
	v_mul_lo_u32 v19, v12, v19
	v_add_co_u32_e32 v18, vcc, v18, v19
	v_mul_hi_u32 v20, v12, v13
	v_addc_co_u32_e32 v17, vcc, v17, v21, vcc
	v_addc_co_u32_e32 v18, vcc, 0, v20, vcc
	v_mul_lo_u32 v13, v12, v13
	v_add_co_u32_e32 v13, vcc, v17, v13
	v_addc_co_u32_e32 v17, vcc, 0, v18, vcc
	v_add_co_u32_e32 v3, vcc, v3, v13
	v_addc_co_u32_e32 v12, vcc, v12, v17, vcc
	v_mul_lo_u32 v13, s0, v12
	v_mul_hi_u32 v17, s0, v3
	v_add_u32_e32 v13, v17, v13
	v_mul_lo_u32 v17, s1, v3
	v_add_u32_e32 v13, v13, v17
	v_mul_lo_u32 v18, s0, v3
	v_mul_hi_u32 v19, v12, v18
	v_mul_lo_u32 v20, v12, v18
	v_mul_lo_u32 v22, v3, v13
	v_mul_hi_u32 v18, v3, v18
	v_mul_hi_u32 v21, v3, v13
	v_add_co_u32_e32 v18, vcc, v18, v22
	v_addc_co_u32_e32 v21, vcc, 0, v21, vcc
	v_add_co_u32_e32 v18, vcc, v18, v20
	v_mul_hi_u32 v17, v12, v13
	v_addc_co_u32_e32 v18, vcc, v21, v19, vcc
	v_addc_co_u32_e32 v17, vcc, 0, v17, vcc
	v_mul_lo_u32 v13, v12, v13
	v_add_co_u32_e32 v13, vcc, v18, v13
	v_addc_co_u32_e32 v17, vcc, 0, v17, vcc
	v_add_co_u32_e32 v3, vcc, v3, v13
	v_addc_co_u32_e32 v17, vcc, v12, v17, vcc
	v_ashrrev_i32_e32 v20, 31, v11
	v_add_co_u32_e32 v12, vcc, v10, v20
	v_addc_co_u32_e32 v13, vcc, v11, v20, vcc
	v_xor_b32_e32 v22, v12, v20
	v_xor_b32_e32 v21, v13, v20
	v_mad_u64_u32 v[12:13], s[0:1], v22, v17, 0
	v_mul_hi_u32 v18, v22, v3
	v_add_co_u32_e32 v23, vcc, v18, v12
	v_addc_co_u32_e32 v24, vcc, 0, v13, vcc
	v_mad_u64_u32 v[18:19], s[0:1], v21, v3, 0
	v_add_co_u32_e32 v3, vcc, v23, v18
	v_mad_u64_u32 v[12:13], s[0:1], v21, v17, 0
	v_addc_co_u32_e32 v3, vcc, v24, v19, vcc
	v_addc_co_u32_e32 v13, vcc, 0, v13, vcc
	v_add_co_u32_e32 v3, vcc, v3, v12
	v_addc_co_u32_e32 v17, vcc, 0, v13, vcc
	v_mul_lo_u32 v18, s53, v3
	v_mul_lo_u32 v19, s52, v17
	v_mad_u64_u32 v[12:13], s[0:1], s52, v3, 0
	v_add3_u32 v13, v13, v19, v18
	v_sub_u32_e32 v18, v21, v13
	v_mov_b32_e32 v19, s53
	v_sub_co_u32_e32 v12, vcc, v22, v12
	v_subb_co_u32_e64 v18, s[0:1], v18, v19, vcc
	v_subrev_co_u32_e64 v19, s[0:1], s52, v12
	v_subbrev_co_u32_e64 v18, s[0:1], 0, v18, s[0:1]
	v_cmp_le_u32_e64 s[0:1], s53, v18
	v_cndmask_b32_e64 v22, 0, -1, s[0:1]
	v_cmp_le_u32_e64 s[0:1], s52, v19
	v_cndmask_b32_e64 v19, 0, -1, s[0:1]
	v_cmp_eq_u32_e64 s[0:1], s53, v18
	v_cndmask_b32_e64 v18, v22, v19, s[0:1]
	v_add_co_u32_e64 v19, s[0:1], 2, v3
	v_subb_co_u32_e32 v13, vcc, v21, v13, vcc
	v_addc_co_u32_e64 v22, s[0:1], 0, v17, s[0:1]
	v_cmp_le_u32_e32 vcc, s53, v13
	v_add_co_u32_e64 v23, s[0:1], 1, v3
	v_cndmask_b32_e64 v21, 0, -1, vcc
	v_cmp_le_u32_e32 vcc, s52, v12
	v_addc_co_u32_e64 v24, s[0:1], 0, v17, s[0:1]
	v_cndmask_b32_e64 v12, 0, -1, vcc
	v_cmp_eq_u32_e32 vcc, s53, v13
	v_cmp_ne_u32_e64 s[0:1], 0, v18
	v_cndmask_b32_e32 v12, v21, v12, vcc
	v_cmp_ne_u32_e32 vcc, 0, v12
	v_cndmask_b32_e64 v13, v23, v19, s[0:1]
	v_cndmask_b32_e64 v18, v24, v22, s[0:1]
	v_cndmask_b32_e32 v3, v3, v13, vcc
	v_xor_b32_e32 v13, s50, v20
	v_cndmask_b32_e32 v12, v17, v18, vcc
	v_xor_b32_e32 v3, v3, v13
	v_xor_b32_e32 v17, v12, v13
	v_sub_co_u32_e32 v12, vcc, v3, v13
	v_subb_co_u32_e32 v13, vcc, v17, v13, vcc
.LBB99_30:                              ;   in Loop: Header=BB99_28 Depth=2
	s_andn2_saveexec_b64 s[0:1], s[48:49]
	s_cbranch_execz .LBB99_27
; %bb.31:                               ;   in Loop: Header=BB99_28 Depth=2
	v_cvt_f32_u32_e32 v3, s46
	s_sub_i32 s48, 0, s46
	v_rcp_iflag_f32_e32 v3, v3
	v_mul_f32_e32 v3, 0x4f7ffffe, v3
	v_cvt_u32_f32_e32 v3, v3
	v_mul_lo_u32 v12, s48, v3
	v_mul_hi_u32 v12, v3, v12
	v_add_u32_e32 v3, v3, v12
	v_mul_hi_u32 v3, v10, v3
	v_mul_lo_u32 v12, v3, s46
	v_sub_u32_e32 v12, v10, v12
	v_add_u32_e32 v13, 1, v3
	v_subrev_u32_e32 v17, s46, v12
	v_cmp_le_u32_e32 vcc, s46, v12
	v_cndmask_b32_e32 v12, v12, v17, vcc
	v_cndmask_b32_e32 v3, v3, v13, vcc
	v_add_u32_e32 v13, 1, v3
	v_cmp_le_u32_e32 vcc, s46, v12
	v_cndmask_b32_e32 v12, v3, v13, vcc
	v_mov_b32_e32 v13, v2
	s_branch .LBB99_27
.LBB99_32:
	s_endpgm
	.section	.rodata,"a",@progbits
	.p2align	6, 0x0
	.amdhsa_kernel _ZN2at6native16triu_tril_kernelIN3c108BFloat16ElLb1ELi4ELb0EEEvNS_4cuda6detail10TensorInfoIT_T0_EENS6_IKS7_S8_EEllS8_
		.amdhsa_group_segment_fixed_size 0
		.amdhsa_private_segment_fixed_size 0
		.amdhsa_kernarg_size 1112
		.amdhsa_user_sgpr_count 6
		.amdhsa_user_sgpr_private_segment_buffer 1
		.amdhsa_user_sgpr_dispatch_ptr 0
		.amdhsa_user_sgpr_queue_ptr 0
		.amdhsa_user_sgpr_kernarg_segment_ptr 1
		.amdhsa_user_sgpr_dispatch_id 0
		.amdhsa_user_sgpr_flat_scratch_init 0
		.amdhsa_user_sgpr_kernarg_preload_length 0
		.amdhsa_user_sgpr_kernarg_preload_offset 0
		.amdhsa_user_sgpr_private_segment_size 0
		.amdhsa_uses_dynamic_stack 0
		.amdhsa_system_sgpr_private_segment_wavefront_offset 0
		.amdhsa_system_sgpr_workgroup_id_x 1
		.amdhsa_system_sgpr_workgroup_id_y 0
		.amdhsa_system_sgpr_workgroup_id_z 0
		.amdhsa_system_sgpr_workgroup_info 0
		.amdhsa_system_vgpr_workitem_id 0
		.amdhsa_next_free_vgpr 25
		.amdhsa_next_free_sgpr 59
		.amdhsa_accum_offset 28
		.amdhsa_reserve_vcc 1
		.amdhsa_reserve_flat_scratch 0
		.amdhsa_float_round_mode_32 0
		.amdhsa_float_round_mode_16_64 0
		.amdhsa_float_denorm_mode_32 3
		.amdhsa_float_denorm_mode_16_64 3
		.amdhsa_dx10_clamp 1
		.amdhsa_ieee_mode 1
		.amdhsa_fp16_overflow 0
		.amdhsa_tg_split 0
		.amdhsa_exception_fp_ieee_invalid_op 0
		.amdhsa_exception_fp_denorm_src 0
		.amdhsa_exception_fp_ieee_div_zero 0
		.amdhsa_exception_fp_ieee_overflow 0
		.amdhsa_exception_fp_ieee_underflow 0
		.amdhsa_exception_fp_ieee_inexact 0
		.amdhsa_exception_int_div_zero 0
	.end_amdhsa_kernel
	.section	.text._ZN2at6native16triu_tril_kernelIN3c108BFloat16ElLb1ELi4ELb0EEEvNS_4cuda6detail10TensorInfoIT_T0_EENS6_IKS7_S8_EEllS8_,"axG",@progbits,_ZN2at6native16triu_tril_kernelIN3c108BFloat16ElLb1ELi4ELb0EEEvNS_4cuda6detail10TensorInfoIT_T0_EENS6_IKS7_S8_EEllS8_,comdat
.Lfunc_end99:
	.size	_ZN2at6native16triu_tril_kernelIN3c108BFloat16ElLb1ELi4ELb0EEEvNS_4cuda6detail10TensorInfoIT_T0_EENS6_IKS7_S8_EEllS8_, .Lfunc_end99-_ZN2at6native16triu_tril_kernelIN3c108BFloat16ElLb1ELi4ELb0EEEvNS_4cuda6detail10TensorInfoIT_T0_EENS6_IKS7_S8_EEllS8_
                                        ; -- End function
	.section	.AMDGPU.csdata,"",@progbits
; Kernel info:
; codeLenInByte = 3704
; NumSgprs: 63
; NumVgprs: 25
; NumAgprs: 0
; TotalNumVgprs: 25
; ScratchSize: 0
; MemoryBound: 0
; FloatMode: 240
; IeeeMode: 1
; LDSByteSize: 0 bytes/workgroup (compile time only)
; SGPRBlocks: 7
; VGPRBlocks: 3
; NumSGPRsForWavesPerEU: 63
; NumVGPRsForWavesPerEU: 25
; AccumOffset: 28
; Occupancy: 8
; WaveLimiterHint : 0
; COMPUTE_PGM_RSRC2:SCRATCH_EN: 0
; COMPUTE_PGM_RSRC2:USER_SGPR: 6
; COMPUTE_PGM_RSRC2:TRAP_HANDLER: 0
; COMPUTE_PGM_RSRC2:TGID_X_EN: 1
; COMPUTE_PGM_RSRC2:TGID_Y_EN: 0
; COMPUTE_PGM_RSRC2:TGID_Z_EN: 0
; COMPUTE_PGM_RSRC2:TIDIG_COMP_CNT: 0
; COMPUTE_PGM_RSRC3_GFX90A:ACCUM_OFFSET: 6
; COMPUTE_PGM_RSRC3_GFX90A:TG_SPLIT: 0
	.section	.text._ZN2at6native16triu_tril_kernelIbiLb1ELi4ELb1EEEvNS_4cuda6detail10TensorInfoIT_T0_EENS4_IKS5_S6_EEllS6_,"axG",@progbits,_ZN2at6native16triu_tril_kernelIbiLb1ELi4ELb1EEEvNS_4cuda6detail10TensorInfoIT_T0_EENS4_IKS5_S6_EEllS6_,comdat
	.protected	_ZN2at6native16triu_tril_kernelIbiLb1ELi4ELb1EEEvNS_4cuda6detail10TensorInfoIT_T0_EENS4_IKS5_S6_EEllS6_ ; -- Begin function _ZN2at6native16triu_tril_kernelIbiLb1ELi4ELb1EEEvNS_4cuda6detail10TensorInfoIT_T0_EENS4_IKS5_S6_EEllS6_
	.globl	_ZN2at6native16triu_tril_kernelIbiLb1ELi4ELb1EEEvNS_4cuda6detail10TensorInfoIT_T0_EENS4_IKS5_S6_EEllS6_
	.p2align	8
	.type	_ZN2at6native16triu_tril_kernelIbiLb1ELi4ELb1EEEvNS_4cuda6detail10TensorInfoIT_T0_EENS4_IKS5_S6_EEllS6_,@function
_ZN2at6native16triu_tril_kernelIbiLb1ELi4ELb1EEEvNS_4cuda6detail10TensorInfoIT_T0_EENS4_IKS5_S6_EEllS6_: ; @_ZN2at6native16triu_tril_kernelIbiLb1ELi4ELb1EEEvNS_4cuda6detail10TensorInfoIT_T0_EENS4_IKS5_S6_EEllS6_
; %bb.0:
	s_load_dword s2, s[4:5], 0x1d4
	s_load_dwordx4 s[8:11], s[4:5], 0x1b0
	s_add_u32 s0, s4, 0x1c8
	v_mov_b32_e32 v2, 0
	s_addc_u32 s1, s5, 0
	s_waitcnt lgkmcnt(0)
	s_and_b32 s7, s2, 0xffff
	v_mov_b32_e32 v1, v2
	v_mov_b32_e32 v3, s6
	v_mad_u64_u32 v[0:1], s[2:3], s7, v3, v[0:1]
	v_lshlrev_b64 v[0:1], 2, v[0:1]
	v_cmp_gt_i64_e32 vcc, s[10:11], v[0:1]
	s_and_saveexec_b64 s[2:3], vcc
	s_cbranch_execz .LBB100_67
; %bb.1:
	s_load_dword s33, s[4:5], 0x1c0
	s_load_dword s14, s[4:5], 0x1a8
	;; [unrolled: 1-line block ×3, first 2 shown]
	s_load_dwordx2 s[2:3], s[4:5], 0x0
	s_mov_b64 s[22:23], 0
	s_waitcnt lgkmcnt(0)
	s_ashr_i32 s38, s33, 31
	s_ashr_i32 s15, s14, 31
	s_add_u32 s39, s4, 0xe0
	s_addc_u32 s40, s5, 0
	s_add_i32 s0, s14, -2
	s_ashr_i32 s1, s0, 31
	s_lshl_b64 s[12:13], s[0:1], 2
	s_add_u32 s16, s39, s12
	s_addc_u32 s17, s40, s13
	s_load_dword s41, s[16:17], 0x0
	s_lshl_b64 s[16:17], s[14:15], 2
	s_mul_i32 s1, s6, s7
	v_cmp_gt_i64_e64 s[6:7], s[14:15], 2
	v_cvt_f32_u32_e32 v3, s33
	s_waitcnt lgkmcnt(0)
	s_ashr_i32 s42, s41, 31
	s_add_u32 s15, s16, -4
	s_addc_u32 s16, s17, -1
	s_add_u32 s43, s4, 0x6c
	s_addc_u32 s44, s5, 0
	s_add_u32 s4, s43, s15
	v_rcp_iflag_f32_e32 v3, v3
	s_addc_u32 s5, s44, s16
	s_add_u32 s12, s43, s12
	s_addc_u32 s13, s44, s13
	s_add_i32 s45, s14, -3
	s_add_u32 s14, s39, s15
	v_mul_f32_e32 v3, 0x4f7ffffe, v3
	s_addc_u32 s15, s40, s16
	s_lshl_b32 s46, s1, 2
	s_and_b32 s48, s0, 7
	v_cvt_u32_f32_e32 v24, v3
	s_cmp_lg_u32 s48, 0
	s_mov_b32 s17, 0
	s_cselect_b64 s[18:19], -1, 0
	s_cmp_gt_u32 s45, 6
	s_mov_b32 s47, s17
	s_cselect_b64 s[20:21], -1, 0
	s_branch .LBB100_3
.LBB100_2:                              ;   in Loop: Header=BB100_3 Depth=1
	s_or_b64 exec, exec, s[24:25]
	v_mov_b32_e32 v3, s47
	v_add_co_u32_e32 v0, vcc, s46, v0
	v_addc_co_u32_e32 v1, vcc, v1, v3, vcc
	v_cmp_le_i64_e32 vcc, s[10:11], v[0:1]
	s_or_b64 s[22:23], vcc, s[22:23]
	s_andn2_b64 exec, exec, s[22:23]
	s_cbranch_execz .LBB100_67
.LBB100_3:                              ; =>This Loop Header: Depth=1
                                        ;     Child Loop BB100_16 Depth 2
                                        ;     Child Loop BB100_23 Depth 2
	v_or_b32_e32 v3, s38, v1
	v_cmp_ne_u64_e32 vcc, 0, v[2:3]
                                        ; implicit-def: $vgpr4_vgpr5
	s_and_saveexec_b64 s[0:1], vcc
	s_xor_b64 s[24:25], exec, s[0:1]
	s_cbranch_execz .LBB100_5
; %bb.4:                                ;   in Loop: Header=BB100_3 Depth=1
	s_add_u32 s0, s33, s38
	s_mov_b32 s26, s38
	s_mov_b32 s27, s38
	s_addc_u32 s1, s38, s38
	s_xor_b64 s[28:29], s[0:1], s[26:27]
	v_cvt_f32_u32_e32 v3, s28
	v_cvt_f32_u32_e32 v4, s29
	s_sub_u32 s0, 0, s28
	s_subb_u32 s1, 0, s29
	v_mac_f32_e32 v3, 0x4f800000, v4
	v_rcp_f32_e32 v3, v3
	v_mul_f32_e32 v3, 0x5f7ffffc, v3
	v_mul_f32_e32 v4, 0x2f800000, v3
	v_trunc_f32_e32 v4, v4
	v_mac_f32_e32 v3, 0xcf800000, v4
	v_cvt_u32_f32_e32 v4, v4
	v_cvt_u32_f32_e32 v3, v3
	v_mul_lo_u32 v5, s0, v4
	v_mul_hi_u32 v7, s0, v3
	v_mul_lo_u32 v6, s1, v3
	v_add_u32_e32 v5, v7, v5
	v_mul_lo_u32 v8, s0, v3
	v_add_u32_e32 v5, v5, v6
	v_mul_lo_u32 v7, v3, v5
	v_mul_hi_u32 v9, v3, v8
	v_mul_hi_u32 v6, v3, v5
	v_add_co_u32_e32 v7, vcc, v9, v7
	v_addc_co_u32_e32 v6, vcc, 0, v6, vcc
	v_mul_hi_u32 v10, v4, v8
	v_mul_lo_u32 v8, v4, v8
	v_add_co_u32_e32 v7, vcc, v7, v8
	v_mul_hi_u32 v9, v4, v5
	v_addc_co_u32_e32 v6, vcc, v6, v10, vcc
	v_addc_co_u32_e32 v7, vcc, 0, v9, vcc
	v_mul_lo_u32 v5, v4, v5
	v_add_co_u32_e32 v5, vcc, v6, v5
	v_addc_co_u32_e32 v6, vcc, 0, v7, vcc
	v_add_co_u32_e32 v3, vcc, v3, v5
	v_addc_co_u32_e32 v4, vcc, v4, v6, vcc
	v_mul_lo_u32 v5, s0, v4
	v_mul_hi_u32 v6, s0, v3
	v_add_u32_e32 v5, v6, v5
	v_mul_lo_u32 v6, s1, v3
	v_add_u32_e32 v5, v5, v6
	v_mul_lo_u32 v7, s0, v3
	v_mul_hi_u32 v8, v4, v7
	v_mul_lo_u32 v9, v4, v7
	v_mul_lo_u32 v11, v3, v5
	v_mul_hi_u32 v7, v3, v7
	v_mul_hi_u32 v10, v3, v5
	v_add_co_u32_e32 v7, vcc, v7, v11
	v_addc_co_u32_e32 v10, vcc, 0, v10, vcc
	v_add_co_u32_e32 v7, vcc, v7, v9
	v_mul_hi_u32 v6, v4, v5
	v_addc_co_u32_e32 v7, vcc, v10, v8, vcc
	v_addc_co_u32_e32 v6, vcc, 0, v6, vcc
	v_mul_lo_u32 v5, v4, v5
	v_add_co_u32_e32 v5, vcc, v7, v5
	v_addc_co_u32_e32 v6, vcc, 0, v6, vcc
	v_add_co_u32_e32 v3, vcc, v3, v5
	v_addc_co_u32_e32 v6, vcc, v4, v6, vcc
	v_ashrrev_i32_e32 v8, 31, v1
	v_add_co_u32_e32 v4, vcc, v0, v8
	v_addc_co_u32_e32 v5, vcc, v1, v8, vcc
	v_xor_b32_e32 v10, v4, v8
	v_xor_b32_e32 v9, v5, v8
	v_mad_u64_u32 v[4:5], s[0:1], v10, v6, 0
	v_mul_hi_u32 v7, v10, v3
	v_add_co_u32_e32 v11, vcc, v7, v4
	v_addc_co_u32_e32 v12, vcc, 0, v5, vcc
	v_mad_u64_u32 v[4:5], s[0:1], v9, v6, 0
	v_mad_u64_u32 v[6:7], s[0:1], v9, v3, 0
	v_add_co_u32_e32 v3, vcc, v11, v6
	v_addc_co_u32_e32 v3, vcc, v12, v7, vcc
	v_addc_co_u32_e32 v5, vcc, 0, v5, vcc
	v_add_co_u32_e32 v3, vcc, v3, v4
	v_addc_co_u32_e32 v6, vcc, 0, v5, vcc
	v_mul_lo_u32 v7, s29, v3
	v_mul_lo_u32 v11, s28, v6
	v_mad_u64_u32 v[4:5], s[0:1], s28, v3, 0
	v_add3_u32 v5, v5, v11, v7
	v_sub_u32_e32 v7, v9, v5
	v_mov_b32_e32 v11, s29
	v_sub_co_u32_e32 v4, vcc, v10, v4
	v_subb_co_u32_e64 v7, s[0:1], v7, v11, vcc
	v_subrev_co_u32_e64 v10, s[0:1], s28, v4
	v_subbrev_co_u32_e64 v7, s[0:1], 0, v7, s[0:1]
	v_cmp_le_u32_e64 s[0:1], s29, v7
	v_cndmask_b32_e64 v11, 0, -1, s[0:1]
	v_cmp_le_u32_e64 s[0:1], s28, v10
	v_cndmask_b32_e64 v10, 0, -1, s[0:1]
	v_cmp_eq_u32_e64 s[0:1], s29, v7
	v_cndmask_b32_e64 v7, v11, v10, s[0:1]
	v_add_co_u32_e64 v10, s[0:1], 2, v3
	v_subb_co_u32_e32 v5, vcc, v9, v5, vcc
	v_addc_co_u32_e64 v11, s[0:1], 0, v6, s[0:1]
	v_cmp_le_u32_e32 vcc, s29, v5
	v_add_co_u32_e64 v12, s[0:1], 1, v3
	v_cndmask_b32_e64 v9, 0, -1, vcc
	v_cmp_le_u32_e32 vcc, s28, v4
	v_addc_co_u32_e64 v13, s[0:1], 0, v6, s[0:1]
	v_cndmask_b32_e64 v4, 0, -1, vcc
	v_cmp_eq_u32_e32 vcc, s29, v5
	v_cmp_ne_u32_e64 s[0:1], 0, v7
	v_cndmask_b32_e32 v4, v9, v4, vcc
	v_cndmask_b32_e64 v7, v13, v11, s[0:1]
	v_cmp_ne_u32_e32 vcc, 0, v4
	v_cndmask_b32_e64 v5, v12, v10, s[0:1]
	v_cndmask_b32_e32 v4, v6, v7, vcc
	v_cndmask_b32_e32 v3, v3, v5, vcc
	v_xor_b32_e32 v6, s26, v8
	v_xor_b32_e32 v5, s27, v8
	;; [unrolled: 1-line block ×4, first 2 shown]
	v_sub_co_u32_e32 v4, vcc, v3, v6
	v_subb_co_u32_e32 v5, vcc, v7, v5, vcc
.LBB100_5:                              ;   in Loop: Header=BB100_3 Depth=1
	s_andn2_saveexec_b64 s[0:1], s[24:25]
	s_cbranch_execz .LBB100_7
; %bb.6:                                ;   in Loop: Header=BB100_3 Depth=1
	s_sub_i32 s16, 0, s33
	v_mul_lo_u32 v3, s16, v24
	v_mul_hi_u32 v3, v24, v3
	v_add_u32_e32 v3, v24, v3
	v_mul_hi_u32 v3, v0, v3
	v_mul_lo_u32 v4, v3, s33
	v_sub_u32_e32 v4, v0, v4
	v_subrev_u32_e32 v5, s33, v4
	v_cmp_le_u32_e32 vcc, s33, v4
	v_cndmask_b32_e32 v4, v4, v5, vcc
	v_add_u32_e32 v5, 1, v3
	v_cndmask_b32_e32 v3, v3, v5, vcc
	v_add_u32_e32 v5, 1, v3
	v_cmp_le_u32_e32 vcc, s33, v4
	v_cndmask_b32_e32 v4, v3, v5, vcc
	v_mov_b32_e32 v5, v2
.LBB100_7:                              ;   in Loop: Header=BB100_3 Depth=1
	s_or_b64 exec, exec, s[0:1]
	v_or_b32_e32 v3, s42, v5
	v_cmp_ne_u64_e32 vcc, 0, v[2:3]
                                        ; implicit-def: $vgpr6_vgpr7
	s_and_saveexec_b64 s[0:1], vcc
	s_xor_b64 s[24:25], exec, s[0:1]
	s_cbranch_execz .LBB100_9
; %bb.8:                                ;   in Loop: Header=BB100_3 Depth=1
	s_add_u32 s0, s41, s42
	s_mov_b32 s26, s42
	s_mov_b32 s27, s42
	s_addc_u32 s1, s42, s42
	s_xor_b64 s[28:29], s[0:1], s[26:27]
	v_cvt_f32_u32_e32 v3, s28
	v_cvt_f32_u32_e32 v6, s29
	s_sub_u32 s0, 0, s28
	s_subb_u32 s1, 0, s29
	v_mac_f32_e32 v3, 0x4f800000, v6
	v_rcp_f32_e32 v3, v3
	v_mul_f32_e32 v3, 0x5f7ffffc, v3
	v_mul_f32_e32 v6, 0x2f800000, v3
	v_trunc_f32_e32 v6, v6
	v_mac_f32_e32 v3, 0xcf800000, v6
	v_cvt_u32_f32_e32 v6, v6
	v_cvt_u32_f32_e32 v3, v3
	v_mul_lo_u32 v7, s0, v6
	v_mul_hi_u32 v9, s0, v3
	v_mul_lo_u32 v8, s1, v3
	v_add_u32_e32 v7, v9, v7
	v_mul_lo_u32 v10, s0, v3
	v_add_u32_e32 v7, v7, v8
	v_mul_lo_u32 v9, v3, v7
	v_mul_hi_u32 v11, v3, v10
	v_mul_hi_u32 v8, v3, v7
	v_add_co_u32_e32 v9, vcc, v11, v9
	v_addc_co_u32_e32 v8, vcc, 0, v8, vcc
	v_mul_hi_u32 v12, v6, v10
	v_mul_lo_u32 v10, v6, v10
	v_add_co_u32_e32 v9, vcc, v9, v10
	v_mul_hi_u32 v11, v6, v7
	v_addc_co_u32_e32 v8, vcc, v8, v12, vcc
	v_addc_co_u32_e32 v9, vcc, 0, v11, vcc
	v_mul_lo_u32 v7, v6, v7
	v_add_co_u32_e32 v7, vcc, v8, v7
	v_addc_co_u32_e32 v8, vcc, 0, v9, vcc
	v_add_co_u32_e32 v3, vcc, v3, v7
	v_addc_co_u32_e32 v6, vcc, v6, v8, vcc
	v_mul_lo_u32 v7, s0, v6
	v_mul_hi_u32 v8, s0, v3
	v_add_u32_e32 v7, v8, v7
	v_mul_lo_u32 v8, s1, v3
	v_add_u32_e32 v7, v7, v8
	v_mul_lo_u32 v9, s0, v3
	v_mul_hi_u32 v10, v6, v9
	v_mul_lo_u32 v11, v6, v9
	v_mul_lo_u32 v13, v3, v7
	v_mul_hi_u32 v9, v3, v9
	v_mul_hi_u32 v12, v3, v7
	v_add_co_u32_e32 v9, vcc, v9, v13
	v_addc_co_u32_e32 v12, vcc, 0, v12, vcc
	v_add_co_u32_e32 v9, vcc, v9, v11
	v_mul_hi_u32 v8, v6, v7
	v_addc_co_u32_e32 v9, vcc, v12, v10, vcc
	v_addc_co_u32_e32 v8, vcc, 0, v8, vcc
	v_mul_lo_u32 v7, v6, v7
	v_add_co_u32_e32 v7, vcc, v9, v7
	v_addc_co_u32_e32 v8, vcc, 0, v8, vcc
	v_add_co_u32_e32 v3, vcc, v3, v7
	v_addc_co_u32_e32 v8, vcc, v6, v8, vcc
	v_ashrrev_i32_e32 v10, 31, v5
	v_add_co_u32_e32 v6, vcc, v4, v10
	v_xor_b32_e32 v11, v6, v10
	v_addc_co_u32_e32 v5, vcc, v5, v10, vcc
	v_mad_u64_u32 v[6:7], s[0:1], v11, v8, 0
	v_mul_hi_u32 v9, v11, v3
	v_xor_b32_e32 v5, v5, v10
	v_add_co_u32_e32 v12, vcc, v9, v6
	v_addc_co_u32_e32 v13, vcc, 0, v7, vcc
	v_mad_u64_u32 v[6:7], s[0:1], v5, v8, 0
	v_mad_u64_u32 v[8:9], s[0:1], v5, v3, 0
	v_add_co_u32_e32 v3, vcc, v12, v8
	v_addc_co_u32_e32 v3, vcc, v13, v9, vcc
	v_addc_co_u32_e32 v7, vcc, 0, v7, vcc
	v_add_co_u32_e32 v3, vcc, v3, v6
	v_addc_co_u32_e32 v8, vcc, 0, v7, vcc
	v_mul_lo_u32 v9, s29, v3
	v_mul_lo_u32 v12, s28, v8
	v_mad_u64_u32 v[6:7], s[0:1], s28, v3, 0
	v_add3_u32 v7, v7, v12, v9
	v_sub_u32_e32 v9, v5, v7
	v_mov_b32_e32 v12, s29
	v_sub_co_u32_e32 v6, vcc, v11, v6
	v_subb_co_u32_e64 v9, s[0:1], v9, v12, vcc
	v_subrev_co_u32_e64 v11, s[0:1], s28, v6
	v_subbrev_co_u32_e64 v9, s[0:1], 0, v9, s[0:1]
	v_cmp_le_u32_e64 s[0:1], s29, v9
	v_cndmask_b32_e64 v12, 0, -1, s[0:1]
	v_cmp_le_u32_e64 s[0:1], s28, v11
	v_cndmask_b32_e64 v11, 0, -1, s[0:1]
	v_cmp_eq_u32_e64 s[0:1], s29, v9
	v_cndmask_b32_e64 v9, v12, v11, s[0:1]
	v_add_co_u32_e64 v11, s[0:1], 2, v3
	v_subb_co_u32_e32 v5, vcc, v5, v7, vcc
	v_addc_co_u32_e64 v12, s[0:1], 0, v8, s[0:1]
	v_cmp_le_u32_e32 vcc, s29, v5
	v_add_co_u32_e64 v13, s[0:1], 1, v3
	v_cndmask_b32_e64 v7, 0, -1, vcc
	v_cmp_le_u32_e32 vcc, s28, v6
	v_addc_co_u32_e64 v14, s[0:1], 0, v8, s[0:1]
	v_cndmask_b32_e64 v6, 0, -1, vcc
	v_cmp_eq_u32_e32 vcc, s29, v5
	v_cmp_ne_u32_e64 s[0:1], 0, v9
	v_cndmask_b32_e32 v5, v7, v6, vcc
	v_cmp_ne_u32_e32 vcc, 0, v5
	v_cndmask_b32_e64 v6, v13, v11, s[0:1]
	v_cndmask_b32_e64 v9, v14, v12, s[0:1]
	v_cndmask_b32_e32 v3, v3, v6, vcc
	v_xor_b32_e32 v6, s26, v10
	v_cndmask_b32_e32 v5, v8, v9, vcc
	v_xor_b32_e32 v7, s27, v10
	v_xor_b32_e32 v3, v3, v6
	;; [unrolled: 1-line block ×3, first 2 shown]
	v_sub_co_u32_e32 v6, vcc, v3, v6
	v_subb_co_u32_e32 v7, vcc, v5, v7, vcc
.LBB100_9:                              ;   in Loop: Header=BB100_3 Depth=1
	s_andn2_saveexec_b64 s[0:1], s[24:25]
	s_cbranch_execz .LBB100_11
; %bb.10:                               ;   in Loop: Header=BB100_3 Depth=1
	v_cvt_f32_u32_e32 v3, s41
	s_sub_i32 s16, 0, s41
	v_rcp_iflag_f32_e32 v3, v3
	v_mul_f32_e32 v3, 0x4f7ffffe, v3
	v_cvt_u32_f32_e32 v3, v3
	v_mul_lo_u32 v5, s16, v3
	v_mul_hi_u32 v5, v3, v5
	v_add_u32_e32 v3, v3, v5
	v_mul_hi_u32 v3, v4, v3
	v_mul_lo_u32 v5, v3, s41
	v_sub_u32_e32 v5, v4, v5
	v_add_u32_e32 v6, 1, v3
	v_subrev_u32_e32 v7, s41, v5
	v_cmp_le_u32_e32 vcc, s41, v5
	v_cndmask_b32_e32 v5, v5, v7, vcc
	v_cndmask_b32_e32 v3, v3, v6, vcc
	v_add_u32_e32 v6, 1, v3
	v_cmp_le_u32_e32 vcc, s41, v5
	v_cndmask_b32_e32 v6, v3, v6, vcc
	v_mov_b32_e32 v7, v2
.LBB100_11:                             ;   in Loop: Header=BB100_3 Depth=1
	s_or_b64 exec, exec, s[0:1]
	v_mad_u64_u32 v[8:9], s[0:1], v4, s33, 0
	v_sub_co_u32_e32 v26, vcc, v0, v8
	v_mad_u64_u32 v[8:9], s[0:1], v6, s41, 0
	v_sub_co_u32_e32 v25, vcc, v4, v8
	v_sub_u32_e32 v4, v26, v25
	v_ashrrev_i32_e32 v5, 31, v4
	v_cmp_gt_i64_e32 vcc, s[8:9], v[4:5]
	s_and_saveexec_b64 s[24:25], vcc
	s_cbranch_execz .LBB100_2
; %bb.12:                               ;   in Loop: Header=BB100_3 Depth=1
	s_load_dword s49, s[4:5], 0x0
	s_load_dword s0, s[12:13], 0x0
	s_andn2_b64 vcc, exec, s[6:7]
	s_waitcnt lgkmcnt(0)
	v_mul_lo_u32 v4, s49, v26
	v_mad_u64_u32 v[4:5], s[0:1], s0, v25, v[4:5]
	s_cbranch_vccnz .LBB100_57
; %bb.13:                               ;   in Loop: Header=BB100_3 Depth=1
	s_andn2_b64 vcc, exec, s[18:19]
	s_cbranch_vccnz .LBB100_20
; %bb.14:                               ;   in Loop: Header=BB100_3 Depth=1
	s_mov_b32 s36, s48
	s_mov_b32 s16, s45
	s_branch .LBB100_16
.LBB100_15:                             ;   in Loop: Header=BB100_16 Depth=2
	s_or_b64 exec, exec, s[0:1]
	s_add_u32 s0, s43, s26
	s_addc_u32 s1, s44, s27
	s_load_dword s0, s[0:1], 0x0
	v_mul_lo_u32 v3, v6, s37
	v_sub_u32_e32 v3, v8, v3
	s_add_i32 s16, s16, -1
	s_add_i32 s36, s36, -1
	s_cmp_lg_u32 s36, 0
	s_waitcnt lgkmcnt(0)
	v_mad_u64_u32 v[4:5], s[0:1], s0, v3, v[4:5]
	s_cbranch_scc0 .LBB100_21
.LBB100_16:                             ;   Parent Loop BB100_3 Depth=1
                                        ; =>  This Inner Loop Header: Depth=2
	s_lshl_b64 s[26:27], s[16:17], 2
	s_add_u32 s0, s39, s26
	s_addc_u32 s1, s40, s27
	s_load_dword s37, s[0:1], 0x0
	v_pk_mov_b32 v[8:9], v[6:7], v[6:7] op_sel:[0,1]
                                        ; implicit-def: $vgpr6_vgpr7
	s_waitcnt lgkmcnt(0)
	s_ashr_i32 s0, s37, 31
	v_or_b32_e32 v3, s0, v9
	v_cmp_ne_u64_e32 vcc, 0, v[2:3]
	s_and_saveexec_b64 s[28:29], vcc
	s_xor_b64 s[28:29], exec, s[28:29]
	s_cbranch_execz .LBB100_18
; %bb.17:                               ;   in Loop: Header=BB100_16 Depth=2
	s_add_u32 s34, s37, s0
	s_mov_b32 s30, s0
	s_mov_b32 s31, s0
	s_addc_u32 s35, s0, s0
	s_xor_b64 s[34:35], s[34:35], s[30:31]
	v_cvt_f32_u32_e32 v3, s34
	v_cvt_f32_u32_e32 v5, s35
	s_sub_u32 s0, 0, s34
	s_subb_u32 s1, 0, s35
	v_mac_f32_e32 v3, 0x4f800000, v5
	v_rcp_f32_e32 v3, v3
	v_mul_f32_e32 v3, 0x5f7ffffc, v3
	v_mul_f32_e32 v5, 0x2f800000, v3
	v_trunc_f32_e32 v5, v5
	v_mac_f32_e32 v3, 0xcf800000, v5
	v_cvt_u32_f32_e32 v5, v5
	v_cvt_u32_f32_e32 v3, v3
	v_mul_lo_u32 v6, s0, v5
	v_mul_hi_u32 v10, s0, v3
	v_mul_lo_u32 v7, s1, v3
	v_add_u32_e32 v6, v10, v6
	v_mul_lo_u32 v11, s0, v3
	v_add_u32_e32 v6, v6, v7
	v_mul_lo_u32 v10, v3, v6
	v_mul_hi_u32 v12, v3, v11
	v_mul_hi_u32 v7, v3, v6
	v_add_co_u32_e32 v10, vcc, v12, v10
	v_addc_co_u32_e32 v7, vcc, 0, v7, vcc
	v_mul_hi_u32 v13, v5, v11
	v_mul_lo_u32 v11, v5, v11
	v_add_co_u32_e32 v10, vcc, v10, v11
	v_mul_hi_u32 v12, v5, v6
	v_addc_co_u32_e32 v7, vcc, v7, v13, vcc
	v_addc_co_u32_e32 v10, vcc, 0, v12, vcc
	v_mul_lo_u32 v6, v5, v6
	v_add_co_u32_e32 v6, vcc, v7, v6
	v_addc_co_u32_e32 v7, vcc, 0, v10, vcc
	v_add_co_u32_e32 v3, vcc, v3, v6
	v_addc_co_u32_e32 v5, vcc, v5, v7, vcc
	v_mul_lo_u32 v6, s0, v5
	v_mul_hi_u32 v7, s0, v3
	v_add_u32_e32 v6, v7, v6
	v_mul_lo_u32 v7, s1, v3
	v_add_u32_e32 v6, v6, v7
	v_mul_lo_u32 v10, s0, v3
	v_mul_hi_u32 v11, v5, v10
	v_mul_lo_u32 v12, v5, v10
	v_mul_lo_u32 v14, v3, v6
	v_mul_hi_u32 v10, v3, v10
	v_mul_hi_u32 v13, v3, v6
	v_add_co_u32_e32 v10, vcc, v10, v14
	v_addc_co_u32_e32 v13, vcc, 0, v13, vcc
	v_add_co_u32_e32 v10, vcc, v10, v12
	v_mul_hi_u32 v7, v5, v6
	v_addc_co_u32_e32 v10, vcc, v13, v11, vcc
	v_addc_co_u32_e32 v7, vcc, 0, v7, vcc
	v_mul_lo_u32 v6, v5, v6
	v_add_co_u32_e32 v6, vcc, v10, v6
	v_addc_co_u32_e32 v7, vcc, 0, v7, vcc
	v_add_co_u32_e32 v3, vcc, v3, v6
	v_addc_co_u32_e32 v5, vcc, v5, v7, vcc
	v_ashrrev_i32_e32 v12, 31, v9
	v_add_co_u32_e32 v6, vcc, v8, v12
	v_addc_co_u32_e32 v7, vcc, v9, v12, vcc
	v_xor_b32_e32 v13, v6, v12
	v_xor_b32_e32 v9, v7, v12
	v_mad_u64_u32 v[6:7], s[0:1], v13, v5, 0
	v_mul_hi_u32 v10, v13, v3
	v_add_co_u32_e32 v14, vcc, v10, v6
	v_addc_co_u32_e32 v15, vcc, 0, v7, vcc
	v_mad_u64_u32 v[10:11], s[0:1], v9, v3, 0
	v_add_co_u32_e32 v3, vcc, v14, v10
	v_mad_u64_u32 v[6:7], s[0:1], v9, v5, 0
	v_addc_co_u32_e32 v3, vcc, v15, v11, vcc
	v_addc_co_u32_e32 v5, vcc, 0, v7, vcc
	v_add_co_u32_e32 v3, vcc, v3, v6
	v_addc_co_u32_e32 v5, vcc, 0, v5, vcc
	v_mul_lo_u32 v10, s35, v3
	v_mul_lo_u32 v11, s34, v5
	v_mad_u64_u32 v[6:7], s[0:1], s34, v3, 0
	v_add3_u32 v7, v7, v11, v10
	v_sub_u32_e32 v10, v9, v7
	v_mov_b32_e32 v11, s35
	v_sub_co_u32_e32 v6, vcc, v13, v6
	v_subb_co_u32_e64 v10, s[0:1], v10, v11, vcc
	v_subrev_co_u32_e64 v11, s[0:1], s34, v6
	v_subbrev_co_u32_e64 v10, s[0:1], 0, v10, s[0:1]
	v_cmp_le_u32_e64 s[0:1], s35, v10
	v_cndmask_b32_e64 v13, 0, -1, s[0:1]
	v_cmp_le_u32_e64 s[0:1], s34, v11
	v_cndmask_b32_e64 v11, 0, -1, s[0:1]
	v_cmp_eq_u32_e64 s[0:1], s35, v10
	v_cndmask_b32_e64 v10, v13, v11, s[0:1]
	v_add_co_u32_e64 v11, s[0:1], 2, v3
	v_subb_co_u32_e32 v7, vcc, v9, v7, vcc
	v_addc_co_u32_e64 v13, s[0:1], 0, v5, s[0:1]
	v_cmp_le_u32_e32 vcc, s35, v7
	v_add_co_u32_e64 v14, s[0:1], 1, v3
	v_cndmask_b32_e64 v9, 0, -1, vcc
	v_cmp_le_u32_e32 vcc, s34, v6
	v_addc_co_u32_e64 v15, s[0:1], 0, v5, s[0:1]
	v_cndmask_b32_e64 v6, 0, -1, vcc
	v_cmp_eq_u32_e32 vcc, s35, v7
	v_cmp_ne_u32_e64 s[0:1], 0, v10
	v_cndmask_b32_e32 v6, v9, v6, vcc
	v_cmp_ne_u32_e32 vcc, 0, v6
	v_cndmask_b32_e64 v6, v14, v11, s[0:1]
	v_cndmask_b32_e64 v10, v15, v13, s[0:1]
	v_cndmask_b32_e32 v3, v3, v6, vcc
	v_xor_b32_e32 v6, s30, v12
	v_cndmask_b32_e32 v5, v5, v10, vcc
	v_xor_b32_e32 v7, s31, v12
	v_xor_b32_e32 v3, v3, v6
	;; [unrolled: 1-line block ×3, first 2 shown]
	v_sub_co_u32_e32 v6, vcc, v3, v6
	v_subb_co_u32_e32 v7, vcc, v5, v7, vcc
.LBB100_18:                             ;   in Loop: Header=BB100_16 Depth=2
	s_andn2_saveexec_b64 s[0:1], s[28:29]
	s_cbranch_execz .LBB100_15
; %bb.19:                               ;   in Loop: Header=BB100_16 Depth=2
	v_cvt_f32_u32_e32 v3, s37
	s_sub_i32 s28, 0, s37
	v_rcp_iflag_f32_e32 v3, v3
	v_mul_f32_e32 v3, 0x4f7ffffe, v3
	v_cvt_u32_f32_e32 v3, v3
	v_mul_lo_u32 v5, s28, v3
	v_mul_hi_u32 v5, v3, v5
	v_add_u32_e32 v3, v3, v5
	v_mul_hi_u32 v3, v8, v3
	v_mul_lo_u32 v5, v3, s37
	v_sub_u32_e32 v5, v8, v5
	v_add_u32_e32 v6, 1, v3
	v_subrev_u32_e32 v7, s37, v5
	v_cmp_le_u32_e32 vcc, s37, v5
	v_cndmask_b32_e32 v5, v5, v7, vcc
	v_cndmask_b32_e32 v3, v3, v6, vcc
	v_add_u32_e32 v6, 1, v3
	v_cmp_le_u32_e32 vcc, s37, v5
	v_cndmask_b32_e32 v6, v3, v6, vcc
	v_mov_b32_e32 v7, v2
	s_branch .LBB100_15
.LBB100_20:                             ;   in Loop: Header=BB100_3 Depth=1
	s_mov_b32 s16, s45
.LBB100_21:                             ;   in Loop: Header=BB100_3 Depth=1
	s_andn2_b64 vcc, exec, s[20:21]
	s_cbranch_vccnz .LBB100_57
; %bb.22:                               ;   in Loop: Header=BB100_3 Depth=1
	s_add_i32 s26, s16, -7
.LBB100_23:                             ;   Parent Loop BB100_3 Depth=1
                                        ; =>  This Inner Loop Header: Depth=2
	s_add_i32 s16, s26, 7
	s_lshl_b64 s[28:29], s[16:17], 2
	s_add_u32 s0, s39, s28
	s_addc_u32 s1, s40, s29
	s_load_dword s50, s[0:1], 0x0
                                        ; implicit-def: $vgpr8_vgpr9
	s_waitcnt lgkmcnt(0)
	s_ashr_i32 s0, s50, 31
	v_or_b32_e32 v3, s0, v7
	v_cmp_ne_u64_e32 vcc, 0, v[2:3]
	s_and_saveexec_b64 s[30:31], vcc
	s_xor_b64 s[30:31], exec, s[30:31]
	s_cbranch_execz .LBB100_25
; %bb.24:                               ;   in Loop: Header=BB100_23 Depth=2
	s_add_u32 s36, s50, s0
	s_mov_b32 s34, s0
	s_mov_b32 s35, s0
	s_addc_u32 s37, s0, s0
	s_xor_b64 s[36:37], s[36:37], s[34:35]
	v_cvt_f32_u32_e32 v3, s36
	v_cvt_f32_u32_e32 v5, s37
	s_sub_u32 s0, 0, s36
	s_subb_u32 s1, 0, s37
	v_mac_f32_e32 v3, 0x4f800000, v5
	v_rcp_f32_e32 v3, v3
	v_mul_f32_e32 v3, 0x5f7ffffc, v3
	v_mul_f32_e32 v5, 0x2f800000, v3
	v_trunc_f32_e32 v5, v5
	v_mac_f32_e32 v3, 0xcf800000, v5
	v_cvt_u32_f32_e32 v5, v5
	v_cvt_u32_f32_e32 v3, v3
	v_mul_lo_u32 v8, s0, v5
	v_mul_hi_u32 v10, s0, v3
	v_mul_lo_u32 v9, s1, v3
	v_add_u32_e32 v8, v10, v8
	v_mul_lo_u32 v11, s0, v3
	v_add_u32_e32 v8, v8, v9
	v_mul_lo_u32 v10, v3, v8
	v_mul_hi_u32 v12, v3, v11
	v_mul_hi_u32 v9, v3, v8
	v_add_co_u32_e32 v10, vcc, v12, v10
	v_addc_co_u32_e32 v9, vcc, 0, v9, vcc
	v_mul_hi_u32 v13, v5, v11
	v_mul_lo_u32 v11, v5, v11
	v_add_co_u32_e32 v10, vcc, v10, v11
	v_mul_hi_u32 v12, v5, v8
	v_addc_co_u32_e32 v9, vcc, v9, v13, vcc
	v_addc_co_u32_e32 v10, vcc, 0, v12, vcc
	v_mul_lo_u32 v8, v5, v8
	v_add_co_u32_e32 v8, vcc, v9, v8
	v_addc_co_u32_e32 v9, vcc, 0, v10, vcc
	v_add_co_u32_e32 v3, vcc, v3, v8
	v_addc_co_u32_e32 v5, vcc, v5, v9, vcc
	v_mul_lo_u32 v8, s0, v5
	v_mul_hi_u32 v9, s0, v3
	v_add_u32_e32 v8, v9, v8
	v_mul_lo_u32 v9, s1, v3
	v_add_u32_e32 v8, v8, v9
	v_mul_lo_u32 v10, s0, v3
	v_mul_hi_u32 v11, v5, v10
	v_mul_lo_u32 v12, v5, v10
	v_mul_lo_u32 v14, v3, v8
	v_mul_hi_u32 v10, v3, v10
	v_mul_hi_u32 v13, v3, v8
	v_add_co_u32_e32 v10, vcc, v10, v14
	v_addc_co_u32_e32 v13, vcc, 0, v13, vcc
	v_add_co_u32_e32 v10, vcc, v10, v12
	v_mul_hi_u32 v9, v5, v8
	v_addc_co_u32_e32 v10, vcc, v13, v11, vcc
	v_addc_co_u32_e32 v9, vcc, 0, v9, vcc
	v_mul_lo_u32 v8, v5, v8
	v_add_co_u32_e32 v8, vcc, v10, v8
	v_addc_co_u32_e32 v9, vcc, 0, v9, vcc
	v_add_co_u32_e32 v3, vcc, v3, v8
	v_addc_co_u32_e32 v5, vcc, v5, v9, vcc
	v_ashrrev_i32_e32 v12, 31, v7
	v_add_co_u32_e32 v8, vcc, v6, v12
	v_xor_b32_e32 v13, v8, v12
	v_addc_co_u32_e32 v7, vcc, v7, v12, vcc
	v_mad_u64_u32 v[8:9], s[0:1], v13, v5, 0
	v_mul_hi_u32 v10, v13, v3
	v_xor_b32_e32 v7, v7, v12
	v_add_co_u32_e32 v14, vcc, v10, v8
	v_addc_co_u32_e32 v15, vcc, 0, v9, vcc
	v_mad_u64_u32 v[10:11], s[0:1], v7, v3, 0
	v_add_co_u32_e32 v3, vcc, v14, v10
	v_mad_u64_u32 v[8:9], s[0:1], v7, v5, 0
	v_addc_co_u32_e32 v3, vcc, v15, v11, vcc
	v_addc_co_u32_e32 v5, vcc, 0, v9, vcc
	v_add_co_u32_e32 v3, vcc, v3, v8
	v_addc_co_u32_e32 v5, vcc, 0, v5, vcc
	v_mul_lo_u32 v10, s37, v3
	v_mul_lo_u32 v11, s36, v5
	v_mad_u64_u32 v[8:9], s[0:1], s36, v3, 0
	v_add3_u32 v9, v9, v11, v10
	v_sub_u32_e32 v10, v7, v9
	v_mov_b32_e32 v11, s37
	v_sub_co_u32_e32 v8, vcc, v13, v8
	v_subb_co_u32_e64 v10, s[0:1], v10, v11, vcc
	v_subrev_co_u32_e64 v11, s[0:1], s36, v8
	v_subbrev_co_u32_e64 v10, s[0:1], 0, v10, s[0:1]
	v_cmp_le_u32_e64 s[0:1], s37, v10
	v_cndmask_b32_e64 v13, 0, -1, s[0:1]
	v_cmp_le_u32_e64 s[0:1], s36, v11
	v_cndmask_b32_e64 v11, 0, -1, s[0:1]
	v_cmp_eq_u32_e64 s[0:1], s37, v10
	v_cndmask_b32_e64 v10, v13, v11, s[0:1]
	v_add_co_u32_e64 v11, s[0:1], 2, v3
	v_subb_co_u32_e32 v7, vcc, v7, v9, vcc
	v_addc_co_u32_e64 v13, s[0:1], 0, v5, s[0:1]
	v_cmp_le_u32_e32 vcc, s37, v7
	v_add_co_u32_e64 v14, s[0:1], 1, v3
	v_cndmask_b32_e64 v9, 0, -1, vcc
	v_cmp_le_u32_e32 vcc, s36, v8
	v_addc_co_u32_e64 v15, s[0:1], 0, v5, s[0:1]
	v_cndmask_b32_e64 v8, 0, -1, vcc
	v_cmp_eq_u32_e32 vcc, s37, v7
	v_cmp_ne_u32_e64 s[0:1], 0, v10
	v_cndmask_b32_e32 v7, v9, v8, vcc
	v_cmp_ne_u32_e32 vcc, 0, v7
	v_cndmask_b32_e64 v7, v14, v11, s[0:1]
	v_cndmask_b32_e64 v10, v15, v13, s[0:1]
	v_cndmask_b32_e32 v3, v3, v7, vcc
	v_xor_b32_e32 v8, s34, v12
	v_cndmask_b32_e32 v5, v5, v10, vcc
	v_xor_b32_e32 v7, s35, v12
	v_xor_b32_e32 v3, v3, v8
	;; [unrolled: 1-line block ×3, first 2 shown]
	v_sub_co_u32_e32 v8, vcc, v3, v8
	v_subb_co_u32_e32 v9, vcc, v5, v7, vcc
.LBB100_25:                             ;   in Loop: Header=BB100_23 Depth=2
	s_andn2_saveexec_b64 s[0:1], s[30:31]
	s_cbranch_execz .LBB100_27
; %bb.26:                               ;   in Loop: Header=BB100_23 Depth=2
	v_cvt_f32_u32_e32 v3, s50
	s_sub_i32 s16, 0, s50
	v_mov_b32_e32 v9, v2
	v_rcp_iflag_f32_e32 v3, v3
	v_mul_f32_e32 v3, 0x4f7ffffe, v3
	v_cvt_u32_f32_e32 v3, v3
	v_mul_lo_u32 v5, s16, v3
	v_mul_hi_u32 v5, v3, v5
	v_add_u32_e32 v3, v3, v5
	v_mul_hi_u32 v3, v6, v3
	v_mul_lo_u32 v5, v3, s50
	v_sub_u32_e32 v5, v6, v5
	v_add_u32_e32 v7, 1, v3
	v_subrev_u32_e32 v8, s50, v5
	v_cmp_le_u32_e32 vcc, s50, v5
	v_cndmask_b32_e32 v5, v5, v8, vcc
	v_cndmask_b32_e32 v3, v3, v7, vcc
	v_add_u32_e32 v7, 1, v3
	v_cmp_le_u32_e32 vcc, s50, v5
	v_cndmask_b32_e32 v8, v3, v7, vcc
.LBB100_27:                             ;   in Loop: Header=BB100_23 Depth=2
	s_or_b64 exec, exec, s[0:1]
	s_add_u32 s0, s43, s28
	s_addc_u32 s1, s44, s29
	s_add_i32 s16, s26, 6
	s_lshl_b64 s[28:29], s[16:17], 2
	s_add_u32 s30, s39, s28
	s_addc_u32 s31, s40, s29
	s_load_dword s51, s[30:31], 0x0
	s_load_dword s52, s[0:1], 0x0
                                        ; implicit-def: $vgpr10_vgpr11
	s_waitcnt lgkmcnt(0)
	s_ashr_i32 s0, s51, 31
	v_or_b32_e32 v3, s0, v9
	v_cmp_ne_u64_e32 vcc, 0, v[2:3]
	s_and_saveexec_b64 s[30:31], vcc
	s_xor_b64 s[30:31], exec, s[30:31]
	s_cbranch_execz .LBB100_29
; %bb.28:                               ;   in Loop: Header=BB100_23 Depth=2
	s_add_u32 s36, s51, s0
	s_mov_b32 s34, s0
	s_mov_b32 s35, s0
	s_addc_u32 s37, s0, s0
	s_xor_b64 s[36:37], s[36:37], s[34:35]
	v_cvt_f32_u32_e32 v3, s36
	v_cvt_f32_u32_e32 v5, s37
	s_sub_u32 s0, 0, s36
	s_subb_u32 s1, 0, s37
	v_mac_f32_e32 v3, 0x4f800000, v5
	v_rcp_f32_e32 v3, v3
	v_mul_f32_e32 v3, 0x5f7ffffc, v3
	v_mul_f32_e32 v5, 0x2f800000, v3
	v_trunc_f32_e32 v5, v5
	v_mac_f32_e32 v3, 0xcf800000, v5
	v_cvt_u32_f32_e32 v5, v5
	v_cvt_u32_f32_e32 v3, v3
	v_mul_lo_u32 v7, s0, v5
	v_mul_hi_u32 v11, s0, v3
	v_mul_lo_u32 v10, s1, v3
	v_add_u32_e32 v7, v11, v7
	v_mul_lo_u32 v12, s0, v3
	v_add_u32_e32 v7, v7, v10
	v_mul_lo_u32 v11, v3, v7
	v_mul_hi_u32 v13, v3, v12
	v_mul_hi_u32 v10, v3, v7
	v_add_co_u32_e32 v11, vcc, v13, v11
	v_addc_co_u32_e32 v10, vcc, 0, v10, vcc
	v_mul_hi_u32 v14, v5, v12
	v_mul_lo_u32 v12, v5, v12
	v_add_co_u32_e32 v11, vcc, v11, v12
	v_mul_hi_u32 v13, v5, v7
	v_addc_co_u32_e32 v10, vcc, v10, v14, vcc
	v_addc_co_u32_e32 v11, vcc, 0, v13, vcc
	v_mul_lo_u32 v7, v5, v7
	v_add_co_u32_e32 v7, vcc, v10, v7
	v_addc_co_u32_e32 v10, vcc, 0, v11, vcc
	v_add_co_u32_e32 v3, vcc, v3, v7
	v_addc_co_u32_e32 v5, vcc, v5, v10, vcc
	v_mul_lo_u32 v7, s0, v5
	v_mul_hi_u32 v10, s0, v3
	v_add_u32_e32 v7, v10, v7
	v_mul_lo_u32 v10, s1, v3
	v_add_u32_e32 v7, v7, v10
	v_mul_lo_u32 v11, s0, v3
	v_mul_hi_u32 v12, v5, v11
	v_mul_lo_u32 v13, v5, v11
	v_mul_lo_u32 v15, v3, v7
	v_mul_hi_u32 v11, v3, v11
	v_mul_hi_u32 v14, v3, v7
	v_add_co_u32_e32 v11, vcc, v11, v15
	v_addc_co_u32_e32 v14, vcc, 0, v14, vcc
	v_add_co_u32_e32 v11, vcc, v11, v13
	v_mul_hi_u32 v10, v5, v7
	v_addc_co_u32_e32 v11, vcc, v14, v12, vcc
	v_addc_co_u32_e32 v10, vcc, 0, v10, vcc
	v_mul_lo_u32 v7, v5, v7
	v_add_co_u32_e32 v7, vcc, v11, v7
	v_addc_co_u32_e32 v10, vcc, 0, v10, vcc
	v_add_co_u32_e32 v3, vcc, v3, v7
	v_addc_co_u32_e32 v5, vcc, v5, v10, vcc
	v_ashrrev_i32_e32 v7, 31, v9
	v_add_co_u32_e32 v10, vcc, v8, v7
	v_xor_b32_e32 v14, v10, v7
	v_addc_co_u32_e32 v9, vcc, v9, v7, vcc
	v_mad_u64_u32 v[10:11], s[0:1], v14, v5, 0
	v_mul_hi_u32 v12, v14, v3
	v_xor_b32_e32 v9, v9, v7
	v_add_co_u32_e32 v15, vcc, v12, v10
	v_addc_co_u32_e32 v16, vcc, 0, v11, vcc
	v_mad_u64_u32 v[12:13], s[0:1], v9, v3, 0
	v_add_co_u32_e32 v3, vcc, v15, v12
	v_mad_u64_u32 v[10:11], s[0:1], v9, v5, 0
	v_addc_co_u32_e32 v3, vcc, v16, v13, vcc
	v_addc_co_u32_e32 v5, vcc, 0, v11, vcc
	v_add_co_u32_e32 v3, vcc, v3, v10
	v_addc_co_u32_e32 v5, vcc, 0, v5, vcc
	v_mul_lo_u32 v12, s37, v3
	v_mul_lo_u32 v13, s36, v5
	v_mad_u64_u32 v[10:11], s[0:1], s36, v3, 0
	v_add3_u32 v11, v11, v13, v12
	v_sub_u32_e32 v12, v9, v11
	v_mov_b32_e32 v13, s37
	v_sub_co_u32_e32 v10, vcc, v14, v10
	v_subb_co_u32_e64 v12, s[0:1], v12, v13, vcc
	v_subrev_co_u32_e64 v13, s[0:1], s36, v10
	v_subbrev_co_u32_e64 v12, s[0:1], 0, v12, s[0:1]
	v_cmp_le_u32_e64 s[0:1], s37, v12
	v_cndmask_b32_e64 v14, 0, -1, s[0:1]
	v_cmp_le_u32_e64 s[0:1], s36, v13
	v_cndmask_b32_e64 v13, 0, -1, s[0:1]
	v_cmp_eq_u32_e64 s[0:1], s37, v12
	v_cndmask_b32_e64 v12, v14, v13, s[0:1]
	v_add_co_u32_e64 v13, s[0:1], 2, v3
	v_subb_co_u32_e32 v9, vcc, v9, v11, vcc
	v_addc_co_u32_e64 v14, s[0:1], 0, v5, s[0:1]
	v_cmp_le_u32_e32 vcc, s37, v9
	v_add_co_u32_e64 v15, s[0:1], 1, v3
	v_cndmask_b32_e64 v11, 0, -1, vcc
	v_cmp_le_u32_e32 vcc, s36, v10
	v_addc_co_u32_e64 v16, s[0:1], 0, v5, s[0:1]
	v_cndmask_b32_e64 v10, 0, -1, vcc
	v_cmp_eq_u32_e32 vcc, s37, v9
	v_cmp_ne_u32_e64 s[0:1], 0, v12
	v_cndmask_b32_e32 v9, v11, v10, vcc
	v_cmp_ne_u32_e32 vcc, 0, v9
	v_cndmask_b32_e64 v9, v15, v13, s[0:1]
	v_cndmask_b32_e64 v12, v16, v14, s[0:1]
	v_cndmask_b32_e32 v3, v3, v9, vcc
	v_xor_b32_e32 v9, s35, v7
	v_xor_b32_e32 v7, s34, v7
	v_cndmask_b32_e32 v5, v5, v12, vcc
	v_xor_b32_e32 v3, v3, v7
	v_xor_b32_e32 v5, v5, v9
	v_sub_co_u32_e32 v10, vcc, v3, v7
	v_subb_co_u32_e32 v11, vcc, v5, v9, vcc
.LBB100_29:                             ;   in Loop: Header=BB100_23 Depth=2
	s_andn2_saveexec_b64 s[0:1], s[30:31]
	s_cbranch_execz .LBB100_31
; %bb.30:                               ;   in Loop: Header=BB100_23 Depth=2
	v_cvt_f32_u32_e32 v3, s51
	s_sub_i32 s16, 0, s51
	v_mov_b32_e32 v11, v2
	v_rcp_iflag_f32_e32 v3, v3
	v_mul_f32_e32 v3, 0x4f7ffffe, v3
	v_cvt_u32_f32_e32 v3, v3
	v_mul_lo_u32 v5, s16, v3
	v_mul_hi_u32 v5, v3, v5
	v_add_u32_e32 v3, v3, v5
	v_mul_hi_u32 v3, v8, v3
	v_mul_lo_u32 v5, v3, s51
	v_sub_u32_e32 v5, v8, v5
	v_add_u32_e32 v7, 1, v3
	v_subrev_u32_e32 v9, s51, v5
	v_cmp_le_u32_e32 vcc, s51, v5
	v_cndmask_b32_e32 v5, v5, v9, vcc
	v_cndmask_b32_e32 v3, v3, v7, vcc
	v_add_u32_e32 v7, 1, v3
	v_cmp_le_u32_e32 vcc, s51, v5
	v_cndmask_b32_e32 v10, v3, v7, vcc
.LBB100_31:                             ;   in Loop: Header=BB100_23 Depth=2
	s_or_b64 exec, exec, s[0:1]
	s_add_u32 s0, s43, s28
	s_addc_u32 s1, s44, s29
	s_add_i32 s16, s26, 5
	s_lshl_b64 s[28:29], s[16:17], 2
	s_add_u32 s30, s39, s28
	s_addc_u32 s31, s40, s29
	s_load_dword s53, s[30:31], 0x0
	s_load_dword s54, s[0:1], 0x0
                                        ; implicit-def: $vgpr12_vgpr13
	s_waitcnt lgkmcnt(0)
	s_ashr_i32 s0, s53, 31
	v_or_b32_e32 v3, s0, v11
	v_cmp_ne_u64_e32 vcc, 0, v[2:3]
	s_and_saveexec_b64 s[30:31], vcc
	s_xor_b64 s[30:31], exec, s[30:31]
	s_cbranch_execz .LBB100_33
; %bb.32:                               ;   in Loop: Header=BB100_23 Depth=2
	s_add_u32 s36, s53, s0
	s_mov_b32 s34, s0
	s_mov_b32 s35, s0
	s_addc_u32 s37, s0, s0
	s_xor_b64 s[36:37], s[36:37], s[34:35]
	v_cvt_f32_u32_e32 v3, s36
	v_cvt_f32_u32_e32 v5, s37
	s_sub_u32 s0, 0, s36
	s_subb_u32 s1, 0, s37
	v_mac_f32_e32 v3, 0x4f800000, v5
	v_rcp_f32_e32 v3, v3
	v_mul_f32_e32 v3, 0x5f7ffffc, v3
	v_mul_f32_e32 v5, 0x2f800000, v3
	v_trunc_f32_e32 v5, v5
	v_mac_f32_e32 v3, 0xcf800000, v5
	v_cvt_u32_f32_e32 v5, v5
	v_cvt_u32_f32_e32 v3, v3
	v_mul_lo_u32 v7, s0, v5
	v_mul_hi_u32 v12, s0, v3
	v_mul_lo_u32 v9, s1, v3
	v_add_u32_e32 v7, v12, v7
	v_mul_lo_u32 v13, s0, v3
	v_add_u32_e32 v7, v7, v9
	v_mul_lo_u32 v12, v3, v7
	v_mul_hi_u32 v14, v3, v13
	v_mul_hi_u32 v9, v3, v7
	v_add_co_u32_e32 v12, vcc, v14, v12
	v_addc_co_u32_e32 v9, vcc, 0, v9, vcc
	v_mul_hi_u32 v15, v5, v13
	v_mul_lo_u32 v13, v5, v13
	v_add_co_u32_e32 v12, vcc, v12, v13
	v_mul_hi_u32 v14, v5, v7
	v_addc_co_u32_e32 v9, vcc, v9, v15, vcc
	v_addc_co_u32_e32 v12, vcc, 0, v14, vcc
	v_mul_lo_u32 v7, v5, v7
	v_add_co_u32_e32 v7, vcc, v9, v7
	v_addc_co_u32_e32 v9, vcc, 0, v12, vcc
	v_add_co_u32_e32 v3, vcc, v3, v7
	v_addc_co_u32_e32 v5, vcc, v5, v9, vcc
	v_mul_lo_u32 v7, s0, v5
	v_mul_hi_u32 v9, s0, v3
	v_add_u32_e32 v7, v9, v7
	v_mul_lo_u32 v9, s1, v3
	v_add_u32_e32 v7, v7, v9
	v_mul_lo_u32 v12, s0, v3
	v_mul_hi_u32 v13, v5, v12
	v_mul_lo_u32 v14, v5, v12
	v_mul_lo_u32 v16, v3, v7
	v_mul_hi_u32 v12, v3, v12
	v_mul_hi_u32 v15, v3, v7
	v_add_co_u32_e32 v12, vcc, v12, v16
	v_addc_co_u32_e32 v15, vcc, 0, v15, vcc
	v_add_co_u32_e32 v12, vcc, v12, v14
	v_mul_hi_u32 v9, v5, v7
	v_addc_co_u32_e32 v12, vcc, v15, v13, vcc
	v_addc_co_u32_e32 v9, vcc, 0, v9, vcc
	v_mul_lo_u32 v7, v5, v7
	v_add_co_u32_e32 v7, vcc, v12, v7
	v_addc_co_u32_e32 v9, vcc, 0, v9, vcc
	v_add_co_u32_e32 v3, vcc, v3, v7
	v_addc_co_u32_e32 v5, vcc, v5, v9, vcc
	v_ashrrev_i32_e32 v7, 31, v11
	v_add_co_u32_e32 v9, vcc, v10, v7
	v_xor_b32_e32 v9, v9, v7
	v_addc_co_u32_e32 v11, vcc, v11, v7, vcc
	v_mad_u64_u32 v[12:13], s[0:1], v9, v5, 0
	v_mul_hi_u32 v14, v9, v3
	v_xor_b32_e32 v11, v11, v7
	v_add_co_u32_e32 v16, vcc, v14, v12
	v_addc_co_u32_e32 v17, vcc, 0, v13, vcc
	v_mad_u64_u32 v[14:15], s[0:1], v11, v3, 0
	v_add_co_u32_e32 v3, vcc, v16, v14
	v_mad_u64_u32 v[12:13], s[0:1], v11, v5, 0
	v_addc_co_u32_e32 v3, vcc, v17, v15, vcc
	v_addc_co_u32_e32 v5, vcc, 0, v13, vcc
	v_add_co_u32_e32 v3, vcc, v3, v12
	v_addc_co_u32_e32 v5, vcc, 0, v5, vcc
	v_mul_lo_u32 v14, s37, v3
	v_mul_lo_u32 v15, s36, v5
	v_mad_u64_u32 v[12:13], s[0:1], s36, v3, 0
	v_add3_u32 v13, v13, v15, v14
	v_sub_u32_e32 v14, v11, v13
	v_mov_b32_e32 v15, s37
	v_sub_co_u32_e32 v9, vcc, v9, v12
	v_subb_co_u32_e64 v12, s[0:1], v14, v15, vcc
	v_subrev_co_u32_e64 v14, s[0:1], s36, v9
	v_subbrev_co_u32_e64 v12, s[0:1], 0, v12, s[0:1]
	v_cmp_le_u32_e64 s[0:1], s37, v12
	v_cndmask_b32_e64 v15, 0, -1, s[0:1]
	v_cmp_le_u32_e64 s[0:1], s36, v14
	v_cndmask_b32_e64 v14, 0, -1, s[0:1]
	v_cmp_eq_u32_e64 s[0:1], s37, v12
	v_cndmask_b32_e64 v12, v15, v14, s[0:1]
	v_add_co_u32_e64 v14, s[0:1], 2, v3
	v_subb_co_u32_e32 v11, vcc, v11, v13, vcc
	v_addc_co_u32_e64 v15, s[0:1], 0, v5, s[0:1]
	v_cmp_le_u32_e32 vcc, s37, v11
	v_add_co_u32_e64 v16, s[0:1], 1, v3
	v_cndmask_b32_e64 v13, 0, -1, vcc
	v_cmp_le_u32_e32 vcc, s36, v9
	v_addc_co_u32_e64 v17, s[0:1], 0, v5, s[0:1]
	v_cndmask_b32_e64 v9, 0, -1, vcc
	v_cmp_eq_u32_e32 vcc, s37, v11
	v_cmp_ne_u32_e64 s[0:1], 0, v12
	v_cndmask_b32_e32 v9, v13, v9, vcc
	v_cmp_ne_u32_e32 vcc, 0, v9
	v_cndmask_b32_e64 v9, v16, v14, s[0:1]
	v_cndmask_b32_e64 v12, v17, v15, s[0:1]
	v_cndmask_b32_e32 v3, v3, v9, vcc
	v_xor_b32_e32 v9, s35, v7
	v_xor_b32_e32 v7, s34, v7
	v_cndmask_b32_e32 v5, v5, v12, vcc
	v_xor_b32_e32 v3, v3, v7
	v_xor_b32_e32 v5, v5, v9
	v_sub_co_u32_e32 v12, vcc, v3, v7
	v_subb_co_u32_e32 v13, vcc, v5, v9, vcc
.LBB100_33:                             ;   in Loop: Header=BB100_23 Depth=2
	s_andn2_saveexec_b64 s[0:1], s[30:31]
	s_cbranch_execz .LBB100_35
; %bb.34:                               ;   in Loop: Header=BB100_23 Depth=2
	v_cvt_f32_u32_e32 v3, s53
	s_sub_i32 s16, 0, s53
	v_mov_b32_e32 v13, v2
	v_rcp_iflag_f32_e32 v3, v3
	v_mul_f32_e32 v3, 0x4f7ffffe, v3
	v_cvt_u32_f32_e32 v3, v3
	v_mul_lo_u32 v5, s16, v3
	v_mul_hi_u32 v5, v3, v5
	v_add_u32_e32 v3, v3, v5
	v_mul_hi_u32 v3, v10, v3
	v_mul_lo_u32 v5, v3, s53
	v_sub_u32_e32 v5, v10, v5
	v_add_u32_e32 v7, 1, v3
	v_subrev_u32_e32 v9, s53, v5
	v_cmp_le_u32_e32 vcc, s53, v5
	v_cndmask_b32_e32 v5, v5, v9, vcc
	v_cndmask_b32_e32 v3, v3, v7, vcc
	v_add_u32_e32 v7, 1, v3
	v_cmp_le_u32_e32 vcc, s53, v5
	v_cndmask_b32_e32 v12, v3, v7, vcc
.LBB100_35:                             ;   in Loop: Header=BB100_23 Depth=2
	s_or_b64 exec, exec, s[0:1]
	s_add_u32 s0, s43, s28
	s_addc_u32 s1, s44, s29
	s_add_i32 s16, s26, 4
	s_lshl_b64 s[28:29], s[16:17], 2
	s_add_u32 s30, s39, s28
	s_addc_u32 s31, s40, s29
	s_load_dword s55, s[30:31], 0x0
	s_load_dword s56, s[0:1], 0x0
                                        ; implicit-def: $vgpr14_vgpr15
	s_waitcnt lgkmcnt(0)
	s_ashr_i32 s0, s55, 31
	v_or_b32_e32 v3, s0, v13
	v_cmp_ne_u64_e32 vcc, 0, v[2:3]
	s_and_saveexec_b64 s[30:31], vcc
	s_xor_b64 s[30:31], exec, s[30:31]
	s_cbranch_execz .LBB100_37
; %bb.36:                               ;   in Loop: Header=BB100_23 Depth=2
	s_add_u32 s36, s55, s0
	s_mov_b32 s34, s0
	s_mov_b32 s35, s0
	s_addc_u32 s37, s0, s0
	s_xor_b64 s[36:37], s[36:37], s[34:35]
	v_cvt_f32_u32_e32 v3, s36
	v_cvt_f32_u32_e32 v5, s37
	s_sub_u32 s0, 0, s36
	s_subb_u32 s1, 0, s37
	v_mac_f32_e32 v3, 0x4f800000, v5
	v_rcp_f32_e32 v3, v3
	v_mul_f32_e32 v3, 0x5f7ffffc, v3
	v_mul_f32_e32 v5, 0x2f800000, v3
	v_trunc_f32_e32 v5, v5
	v_mac_f32_e32 v3, 0xcf800000, v5
	v_cvt_u32_f32_e32 v5, v5
	v_cvt_u32_f32_e32 v3, v3
	v_mul_lo_u32 v7, s0, v5
	v_mul_hi_u32 v11, s0, v3
	v_mul_lo_u32 v9, s1, v3
	v_add_u32_e32 v7, v11, v7
	v_mul_lo_u32 v14, s0, v3
	v_add_u32_e32 v7, v7, v9
	v_mul_lo_u32 v11, v3, v7
	v_mul_hi_u32 v15, v3, v14
	v_mul_hi_u32 v9, v3, v7
	v_add_co_u32_e32 v11, vcc, v15, v11
	v_addc_co_u32_e32 v9, vcc, 0, v9, vcc
	v_mul_hi_u32 v16, v5, v14
	v_mul_lo_u32 v14, v5, v14
	v_add_co_u32_e32 v11, vcc, v11, v14
	v_mul_hi_u32 v15, v5, v7
	v_addc_co_u32_e32 v9, vcc, v9, v16, vcc
	v_addc_co_u32_e32 v11, vcc, 0, v15, vcc
	v_mul_lo_u32 v7, v5, v7
	v_add_co_u32_e32 v7, vcc, v9, v7
	v_addc_co_u32_e32 v9, vcc, 0, v11, vcc
	v_add_co_u32_e32 v3, vcc, v3, v7
	v_addc_co_u32_e32 v5, vcc, v5, v9, vcc
	v_mul_lo_u32 v7, s0, v5
	v_mul_hi_u32 v9, s0, v3
	v_add_u32_e32 v7, v9, v7
	v_mul_lo_u32 v9, s1, v3
	v_add_u32_e32 v7, v7, v9
	v_mul_lo_u32 v11, s0, v3
	v_mul_hi_u32 v14, v5, v11
	v_mul_lo_u32 v15, v5, v11
	v_mul_lo_u32 v17, v3, v7
	v_mul_hi_u32 v11, v3, v11
	v_mul_hi_u32 v16, v3, v7
	v_add_co_u32_e32 v11, vcc, v11, v17
	v_addc_co_u32_e32 v16, vcc, 0, v16, vcc
	v_add_co_u32_e32 v11, vcc, v11, v15
	v_mul_hi_u32 v9, v5, v7
	v_addc_co_u32_e32 v11, vcc, v16, v14, vcc
	v_addc_co_u32_e32 v9, vcc, 0, v9, vcc
	v_mul_lo_u32 v7, v5, v7
	v_add_co_u32_e32 v7, vcc, v11, v7
	v_addc_co_u32_e32 v9, vcc, 0, v9, vcc
	v_add_co_u32_e32 v3, vcc, v3, v7
	v_addc_co_u32_e32 v5, vcc, v5, v9, vcc
	v_ashrrev_i32_e32 v7, 31, v13
	v_add_co_u32_e32 v9, vcc, v12, v7
	v_xor_b32_e32 v9, v9, v7
	v_addc_co_u32_e32 v11, vcc, v13, v7, vcc
	v_mad_u64_u32 v[14:15], s[0:1], v9, v5, 0
	v_mul_hi_u32 v13, v9, v3
	v_xor_b32_e32 v11, v11, v7
	v_add_co_u32_e32 v13, vcc, v13, v14
	v_addc_co_u32_e32 v18, vcc, 0, v15, vcc
	v_mad_u64_u32 v[16:17], s[0:1], v11, v3, 0
	v_add_co_u32_e32 v3, vcc, v13, v16
	v_mad_u64_u32 v[14:15], s[0:1], v11, v5, 0
	v_addc_co_u32_e32 v3, vcc, v18, v17, vcc
	v_addc_co_u32_e32 v5, vcc, 0, v15, vcc
	v_add_co_u32_e32 v3, vcc, v3, v14
	v_addc_co_u32_e32 v5, vcc, 0, v5, vcc
	v_mul_lo_u32 v13, s37, v3
	v_mul_lo_u32 v16, s36, v5
	v_mad_u64_u32 v[14:15], s[0:1], s36, v3, 0
	v_add3_u32 v13, v15, v16, v13
	v_sub_u32_e32 v15, v11, v13
	v_mov_b32_e32 v16, s37
	v_sub_co_u32_e32 v9, vcc, v9, v14
	v_subb_co_u32_e64 v14, s[0:1], v15, v16, vcc
	v_subrev_co_u32_e64 v15, s[0:1], s36, v9
	v_subbrev_co_u32_e64 v14, s[0:1], 0, v14, s[0:1]
	v_cmp_le_u32_e64 s[0:1], s37, v14
	v_cndmask_b32_e64 v16, 0, -1, s[0:1]
	v_cmp_le_u32_e64 s[0:1], s36, v15
	v_cndmask_b32_e64 v15, 0, -1, s[0:1]
	v_cmp_eq_u32_e64 s[0:1], s37, v14
	v_cndmask_b32_e64 v14, v16, v15, s[0:1]
	v_add_co_u32_e64 v15, s[0:1], 2, v3
	v_subb_co_u32_e32 v11, vcc, v11, v13, vcc
	v_addc_co_u32_e64 v16, s[0:1], 0, v5, s[0:1]
	v_cmp_le_u32_e32 vcc, s37, v11
	v_add_co_u32_e64 v17, s[0:1], 1, v3
	v_cndmask_b32_e64 v13, 0, -1, vcc
	v_cmp_le_u32_e32 vcc, s36, v9
	v_addc_co_u32_e64 v18, s[0:1], 0, v5, s[0:1]
	v_cndmask_b32_e64 v9, 0, -1, vcc
	v_cmp_eq_u32_e32 vcc, s37, v11
	v_cmp_ne_u32_e64 s[0:1], 0, v14
	v_cndmask_b32_e32 v9, v13, v9, vcc
	v_cmp_ne_u32_e32 vcc, 0, v9
	v_cndmask_b32_e64 v9, v17, v15, s[0:1]
	v_cndmask_b32_e64 v14, v18, v16, s[0:1]
	v_cndmask_b32_e32 v3, v3, v9, vcc
	v_xor_b32_e32 v9, s35, v7
	v_xor_b32_e32 v7, s34, v7
	v_cndmask_b32_e32 v5, v5, v14, vcc
	v_xor_b32_e32 v3, v3, v7
	v_xor_b32_e32 v5, v5, v9
	v_sub_co_u32_e32 v14, vcc, v3, v7
	v_subb_co_u32_e32 v15, vcc, v5, v9, vcc
.LBB100_37:                             ;   in Loop: Header=BB100_23 Depth=2
	s_andn2_saveexec_b64 s[0:1], s[30:31]
	s_cbranch_execz .LBB100_39
; %bb.38:                               ;   in Loop: Header=BB100_23 Depth=2
	v_cvt_f32_u32_e32 v3, s55
	s_sub_i32 s16, 0, s55
	v_mov_b32_e32 v15, v2
	v_rcp_iflag_f32_e32 v3, v3
	v_mul_f32_e32 v3, 0x4f7ffffe, v3
	v_cvt_u32_f32_e32 v3, v3
	v_mul_lo_u32 v5, s16, v3
	v_mul_hi_u32 v5, v3, v5
	v_add_u32_e32 v3, v3, v5
	v_mul_hi_u32 v3, v12, v3
	v_mul_lo_u32 v5, v3, s55
	v_sub_u32_e32 v5, v12, v5
	v_add_u32_e32 v7, 1, v3
	v_subrev_u32_e32 v9, s55, v5
	v_cmp_le_u32_e32 vcc, s55, v5
	v_cndmask_b32_e32 v5, v5, v9, vcc
	v_cndmask_b32_e32 v3, v3, v7, vcc
	v_add_u32_e32 v7, 1, v3
	v_cmp_le_u32_e32 vcc, s55, v5
	v_cndmask_b32_e32 v14, v3, v7, vcc
.LBB100_39:                             ;   in Loop: Header=BB100_23 Depth=2
	s_or_b64 exec, exec, s[0:1]
	s_add_u32 s0, s43, s28
	s_addc_u32 s1, s44, s29
	s_add_i32 s16, s26, 3
	s_lshl_b64 s[28:29], s[16:17], 2
	s_add_u32 s30, s39, s28
	s_addc_u32 s31, s40, s29
	s_load_dword s57, s[30:31], 0x0
	s_load_dword s58, s[0:1], 0x0
                                        ; implicit-def: $vgpr16_vgpr17
	s_waitcnt lgkmcnt(0)
	s_ashr_i32 s0, s57, 31
	v_or_b32_e32 v3, s0, v15
	v_cmp_ne_u64_e32 vcc, 0, v[2:3]
	s_and_saveexec_b64 s[30:31], vcc
	s_xor_b64 s[30:31], exec, s[30:31]
	s_cbranch_execz .LBB100_41
; %bb.40:                               ;   in Loop: Header=BB100_23 Depth=2
	s_add_u32 s36, s57, s0
	s_mov_b32 s34, s0
	s_mov_b32 s35, s0
	s_addc_u32 s37, s0, s0
	s_xor_b64 s[36:37], s[36:37], s[34:35]
	v_cvt_f32_u32_e32 v3, s36
	v_cvt_f32_u32_e32 v5, s37
	s_sub_u32 s0, 0, s36
	s_subb_u32 s1, 0, s37
	v_mac_f32_e32 v3, 0x4f800000, v5
	v_rcp_f32_e32 v3, v3
	v_mul_f32_e32 v3, 0x5f7ffffc, v3
	v_mul_f32_e32 v5, 0x2f800000, v3
	v_trunc_f32_e32 v5, v5
	v_mac_f32_e32 v3, 0xcf800000, v5
	v_cvt_u32_f32_e32 v5, v5
	v_cvt_u32_f32_e32 v3, v3
	v_mul_lo_u32 v7, s0, v5
	v_mul_hi_u32 v11, s0, v3
	v_mul_lo_u32 v9, s1, v3
	v_add_u32_e32 v7, v11, v7
	v_mul_lo_u32 v13, s0, v3
	v_add_u32_e32 v7, v7, v9
	v_mul_lo_u32 v11, v3, v7
	v_mul_hi_u32 v16, v3, v13
	v_mul_hi_u32 v9, v3, v7
	v_add_co_u32_e32 v11, vcc, v16, v11
	v_addc_co_u32_e32 v9, vcc, 0, v9, vcc
	v_mul_hi_u32 v17, v5, v13
	v_mul_lo_u32 v13, v5, v13
	v_add_co_u32_e32 v11, vcc, v11, v13
	v_mul_hi_u32 v16, v5, v7
	v_addc_co_u32_e32 v9, vcc, v9, v17, vcc
	v_addc_co_u32_e32 v11, vcc, 0, v16, vcc
	v_mul_lo_u32 v7, v5, v7
	v_add_co_u32_e32 v7, vcc, v9, v7
	v_addc_co_u32_e32 v9, vcc, 0, v11, vcc
	v_add_co_u32_e32 v3, vcc, v3, v7
	v_addc_co_u32_e32 v5, vcc, v5, v9, vcc
	v_mul_lo_u32 v7, s0, v5
	v_mul_hi_u32 v9, s0, v3
	v_add_u32_e32 v7, v9, v7
	v_mul_lo_u32 v9, s1, v3
	v_add_u32_e32 v7, v7, v9
	v_mul_lo_u32 v11, s0, v3
	v_mul_hi_u32 v13, v5, v11
	v_mul_lo_u32 v16, v5, v11
	v_mul_lo_u32 v18, v3, v7
	v_mul_hi_u32 v11, v3, v11
	v_mul_hi_u32 v17, v3, v7
	v_add_co_u32_e32 v11, vcc, v11, v18
	v_addc_co_u32_e32 v17, vcc, 0, v17, vcc
	v_add_co_u32_e32 v11, vcc, v11, v16
	v_mul_hi_u32 v9, v5, v7
	v_addc_co_u32_e32 v11, vcc, v17, v13, vcc
	v_addc_co_u32_e32 v9, vcc, 0, v9, vcc
	v_mul_lo_u32 v7, v5, v7
	v_add_co_u32_e32 v7, vcc, v11, v7
	v_addc_co_u32_e32 v9, vcc, 0, v9, vcc
	v_add_co_u32_e32 v3, vcc, v3, v7
	v_addc_co_u32_e32 v5, vcc, v5, v9, vcc
	v_ashrrev_i32_e32 v7, 31, v15
	v_add_co_u32_e32 v9, vcc, v14, v7
	v_xor_b32_e32 v9, v9, v7
	v_addc_co_u32_e32 v11, vcc, v15, v7, vcc
	v_mad_u64_u32 v[16:17], s[0:1], v9, v5, 0
	v_mul_hi_u32 v13, v9, v3
	v_xor_b32_e32 v11, v11, v7
	v_add_co_u32_e32 v13, vcc, v13, v16
	v_addc_co_u32_e32 v15, vcc, 0, v17, vcc
	v_mad_u64_u32 v[18:19], s[0:1], v11, v3, 0
	v_add_co_u32_e32 v3, vcc, v13, v18
	v_mad_u64_u32 v[16:17], s[0:1], v11, v5, 0
	v_addc_co_u32_e32 v3, vcc, v15, v19, vcc
	v_addc_co_u32_e32 v5, vcc, 0, v17, vcc
	v_add_co_u32_e32 v3, vcc, v3, v16
	v_addc_co_u32_e32 v5, vcc, 0, v5, vcc
	v_mul_lo_u32 v13, s37, v3
	v_mul_lo_u32 v15, s36, v5
	v_mad_u64_u32 v[16:17], s[0:1], s36, v3, 0
	v_add3_u32 v13, v17, v15, v13
	v_sub_u32_e32 v15, v11, v13
	v_mov_b32_e32 v17, s37
	v_sub_co_u32_e32 v9, vcc, v9, v16
	v_subb_co_u32_e64 v15, s[0:1], v15, v17, vcc
	v_subrev_co_u32_e64 v16, s[0:1], s36, v9
	v_subbrev_co_u32_e64 v15, s[0:1], 0, v15, s[0:1]
	v_cmp_le_u32_e64 s[0:1], s37, v15
	v_cndmask_b32_e64 v17, 0, -1, s[0:1]
	v_cmp_le_u32_e64 s[0:1], s36, v16
	v_cndmask_b32_e64 v16, 0, -1, s[0:1]
	v_cmp_eq_u32_e64 s[0:1], s37, v15
	v_cndmask_b32_e64 v15, v17, v16, s[0:1]
	v_add_co_u32_e64 v16, s[0:1], 2, v3
	v_subb_co_u32_e32 v11, vcc, v11, v13, vcc
	v_addc_co_u32_e64 v17, s[0:1], 0, v5, s[0:1]
	v_cmp_le_u32_e32 vcc, s37, v11
	v_add_co_u32_e64 v18, s[0:1], 1, v3
	v_cndmask_b32_e64 v13, 0, -1, vcc
	v_cmp_le_u32_e32 vcc, s36, v9
	v_addc_co_u32_e64 v19, s[0:1], 0, v5, s[0:1]
	v_cndmask_b32_e64 v9, 0, -1, vcc
	v_cmp_eq_u32_e32 vcc, s37, v11
	v_cmp_ne_u32_e64 s[0:1], 0, v15
	v_cndmask_b32_e32 v9, v13, v9, vcc
	v_cmp_ne_u32_e32 vcc, 0, v9
	v_cndmask_b32_e64 v9, v18, v16, s[0:1]
	v_cndmask_b32_e64 v15, v19, v17, s[0:1]
	v_cndmask_b32_e32 v3, v3, v9, vcc
	v_xor_b32_e32 v9, s35, v7
	v_xor_b32_e32 v7, s34, v7
	v_cndmask_b32_e32 v5, v5, v15, vcc
	v_xor_b32_e32 v3, v3, v7
	v_xor_b32_e32 v5, v5, v9
	v_sub_co_u32_e32 v16, vcc, v3, v7
	v_subb_co_u32_e32 v17, vcc, v5, v9, vcc
.LBB100_41:                             ;   in Loop: Header=BB100_23 Depth=2
	s_andn2_saveexec_b64 s[0:1], s[30:31]
	s_cbranch_execz .LBB100_43
; %bb.42:                               ;   in Loop: Header=BB100_23 Depth=2
	v_cvt_f32_u32_e32 v3, s57
	s_sub_i32 s16, 0, s57
	v_mov_b32_e32 v17, v2
	v_rcp_iflag_f32_e32 v3, v3
	v_mul_f32_e32 v3, 0x4f7ffffe, v3
	v_cvt_u32_f32_e32 v3, v3
	v_mul_lo_u32 v5, s16, v3
	v_mul_hi_u32 v5, v3, v5
	v_add_u32_e32 v3, v3, v5
	v_mul_hi_u32 v3, v14, v3
	v_mul_lo_u32 v5, v3, s57
	v_sub_u32_e32 v5, v14, v5
	v_add_u32_e32 v7, 1, v3
	v_subrev_u32_e32 v9, s57, v5
	v_cmp_le_u32_e32 vcc, s57, v5
	v_cndmask_b32_e32 v5, v5, v9, vcc
	v_cndmask_b32_e32 v3, v3, v7, vcc
	v_add_u32_e32 v7, 1, v3
	v_cmp_le_u32_e32 vcc, s57, v5
	v_cndmask_b32_e32 v16, v3, v7, vcc
.LBB100_43:                             ;   in Loop: Header=BB100_23 Depth=2
	s_or_b64 exec, exec, s[0:1]
	s_add_u32 s0, s43, s28
	s_addc_u32 s1, s44, s29
	s_add_i32 s16, s26, 2
	s_lshl_b64 s[28:29], s[16:17], 2
	s_add_u32 s30, s39, s28
	s_addc_u32 s31, s40, s29
	s_load_dword s59, s[30:31], 0x0
	s_load_dword s60, s[0:1], 0x0
                                        ; implicit-def: $vgpr18_vgpr19
	s_waitcnt lgkmcnt(0)
	s_ashr_i32 s0, s59, 31
	v_or_b32_e32 v3, s0, v17
	v_cmp_ne_u64_e32 vcc, 0, v[2:3]
	s_and_saveexec_b64 s[30:31], vcc
	s_xor_b64 s[30:31], exec, s[30:31]
	s_cbranch_execz .LBB100_45
; %bb.44:                               ;   in Loop: Header=BB100_23 Depth=2
	s_add_u32 s36, s59, s0
	s_mov_b32 s34, s0
	s_mov_b32 s35, s0
	s_addc_u32 s37, s0, s0
	s_xor_b64 s[36:37], s[36:37], s[34:35]
	v_cvt_f32_u32_e32 v3, s36
	v_cvt_f32_u32_e32 v5, s37
	s_sub_u32 s0, 0, s36
	s_subb_u32 s1, 0, s37
	v_mac_f32_e32 v3, 0x4f800000, v5
	v_rcp_f32_e32 v3, v3
	v_mul_f32_e32 v3, 0x5f7ffffc, v3
	v_mul_f32_e32 v5, 0x2f800000, v3
	v_trunc_f32_e32 v5, v5
	v_mac_f32_e32 v3, 0xcf800000, v5
	v_cvt_u32_f32_e32 v5, v5
	v_cvt_u32_f32_e32 v3, v3
	v_mul_lo_u32 v7, s0, v5
	v_mul_hi_u32 v11, s0, v3
	v_mul_lo_u32 v9, s1, v3
	v_add_u32_e32 v7, v11, v7
	v_mul_lo_u32 v13, s0, v3
	v_add_u32_e32 v7, v7, v9
	v_mul_lo_u32 v11, v3, v7
	v_mul_hi_u32 v15, v3, v13
	v_mul_hi_u32 v9, v3, v7
	v_add_co_u32_e32 v11, vcc, v15, v11
	v_addc_co_u32_e32 v9, vcc, 0, v9, vcc
	v_mul_hi_u32 v18, v5, v13
	v_mul_lo_u32 v13, v5, v13
	v_add_co_u32_e32 v11, vcc, v11, v13
	v_mul_hi_u32 v15, v5, v7
	v_addc_co_u32_e32 v9, vcc, v9, v18, vcc
	v_addc_co_u32_e32 v11, vcc, 0, v15, vcc
	v_mul_lo_u32 v7, v5, v7
	v_add_co_u32_e32 v7, vcc, v9, v7
	v_addc_co_u32_e32 v9, vcc, 0, v11, vcc
	v_add_co_u32_e32 v3, vcc, v3, v7
	v_addc_co_u32_e32 v5, vcc, v5, v9, vcc
	v_mul_lo_u32 v7, s0, v5
	v_mul_hi_u32 v9, s0, v3
	v_add_u32_e32 v7, v9, v7
	v_mul_lo_u32 v9, s1, v3
	v_add_u32_e32 v7, v7, v9
	v_mul_lo_u32 v11, s0, v3
	v_mul_hi_u32 v13, v5, v11
	v_mul_lo_u32 v15, v5, v11
	v_mul_lo_u32 v19, v3, v7
	v_mul_hi_u32 v11, v3, v11
	v_mul_hi_u32 v18, v3, v7
	v_add_co_u32_e32 v11, vcc, v11, v19
	v_addc_co_u32_e32 v18, vcc, 0, v18, vcc
	v_add_co_u32_e32 v11, vcc, v11, v15
	v_mul_hi_u32 v9, v5, v7
	v_addc_co_u32_e32 v11, vcc, v18, v13, vcc
	v_addc_co_u32_e32 v9, vcc, 0, v9, vcc
	v_mul_lo_u32 v7, v5, v7
	v_add_co_u32_e32 v7, vcc, v11, v7
	v_addc_co_u32_e32 v9, vcc, 0, v9, vcc
	v_add_co_u32_e32 v3, vcc, v3, v7
	v_addc_co_u32_e32 v5, vcc, v5, v9, vcc
	v_ashrrev_i32_e32 v7, 31, v17
	v_add_co_u32_e32 v9, vcc, v16, v7
	v_xor_b32_e32 v9, v9, v7
	v_addc_co_u32_e32 v11, vcc, v17, v7, vcc
	v_mad_u64_u32 v[18:19], s[0:1], v9, v5, 0
	v_mul_hi_u32 v13, v9, v3
	v_xor_b32_e32 v11, v11, v7
	v_add_co_u32_e32 v13, vcc, v13, v18
	v_addc_co_u32_e32 v15, vcc, 0, v19, vcc
	v_mad_u64_u32 v[20:21], s[0:1], v11, v3, 0
	v_add_co_u32_e32 v3, vcc, v13, v20
	v_mad_u64_u32 v[18:19], s[0:1], v11, v5, 0
	v_addc_co_u32_e32 v3, vcc, v15, v21, vcc
	v_addc_co_u32_e32 v5, vcc, 0, v19, vcc
	v_add_co_u32_e32 v3, vcc, v3, v18
	v_addc_co_u32_e32 v5, vcc, 0, v5, vcc
	v_mul_lo_u32 v13, s37, v3
	v_mul_lo_u32 v15, s36, v5
	v_mad_u64_u32 v[18:19], s[0:1], s36, v3, 0
	v_add3_u32 v13, v19, v15, v13
	v_sub_u32_e32 v15, v11, v13
	v_mov_b32_e32 v17, s37
	v_sub_co_u32_e32 v9, vcc, v9, v18
	v_subb_co_u32_e64 v15, s[0:1], v15, v17, vcc
	v_subrev_co_u32_e64 v17, s[0:1], s36, v9
	v_subbrev_co_u32_e64 v15, s[0:1], 0, v15, s[0:1]
	v_cmp_le_u32_e64 s[0:1], s37, v15
	v_cndmask_b32_e64 v18, 0, -1, s[0:1]
	v_cmp_le_u32_e64 s[0:1], s36, v17
	v_cndmask_b32_e64 v17, 0, -1, s[0:1]
	v_cmp_eq_u32_e64 s[0:1], s37, v15
	v_cndmask_b32_e64 v15, v18, v17, s[0:1]
	v_add_co_u32_e64 v17, s[0:1], 2, v3
	v_subb_co_u32_e32 v11, vcc, v11, v13, vcc
	v_addc_co_u32_e64 v18, s[0:1], 0, v5, s[0:1]
	v_cmp_le_u32_e32 vcc, s37, v11
	v_add_co_u32_e64 v19, s[0:1], 1, v3
	v_cndmask_b32_e64 v13, 0, -1, vcc
	v_cmp_le_u32_e32 vcc, s36, v9
	v_addc_co_u32_e64 v20, s[0:1], 0, v5, s[0:1]
	v_cndmask_b32_e64 v9, 0, -1, vcc
	v_cmp_eq_u32_e32 vcc, s37, v11
	v_cmp_ne_u32_e64 s[0:1], 0, v15
	v_cndmask_b32_e32 v9, v13, v9, vcc
	v_cmp_ne_u32_e32 vcc, 0, v9
	v_cndmask_b32_e64 v9, v19, v17, s[0:1]
	v_cndmask_b32_e64 v15, v20, v18, s[0:1]
	v_cndmask_b32_e32 v3, v3, v9, vcc
	v_xor_b32_e32 v9, s35, v7
	v_xor_b32_e32 v7, s34, v7
	v_cndmask_b32_e32 v5, v5, v15, vcc
	v_xor_b32_e32 v3, v3, v7
	v_xor_b32_e32 v5, v5, v9
	v_sub_co_u32_e32 v18, vcc, v3, v7
	v_subb_co_u32_e32 v19, vcc, v5, v9, vcc
.LBB100_45:                             ;   in Loop: Header=BB100_23 Depth=2
	s_andn2_saveexec_b64 s[0:1], s[30:31]
	s_cbranch_execz .LBB100_47
; %bb.46:                               ;   in Loop: Header=BB100_23 Depth=2
	v_cvt_f32_u32_e32 v3, s59
	s_sub_i32 s16, 0, s59
	v_mov_b32_e32 v19, v2
	v_rcp_iflag_f32_e32 v3, v3
	v_mul_f32_e32 v3, 0x4f7ffffe, v3
	v_cvt_u32_f32_e32 v3, v3
	v_mul_lo_u32 v5, s16, v3
	v_mul_hi_u32 v5, v3, v5
	v_add_u32_e32 v3, v3, v5
	v_mul_hi_u32 v3, v16, v3
	v_mul_lo_u32 v5, v3, s59
	v_sub_u32_e32 v5, v16, v5
	v_add_u32_e32 v7, 1, v3
	v_subrev_u32_e32 v9, s59, v5
	v_cmp_le_u32_e32 vcc, s59, v5
	v_cndmask_b32_e32 v5, v5, v9, vcc
	v_cndmask_b32_e32 v3, v3, v7, vcc
	v_add_u32_e32 v7, 1, v3
	v_cmp_le_u32_e32 vcc, s59, v5
	v_cndmask_b32_e32 v18, v3, v7, vcc
.LBB100_47:                             ;   in Loop: Header=BB100_23 Depth=2
	s_or_b64 exec, exec, s[0:1]
	s_add_u32 s0, s43, s28
	s_addc_u32 s1, s44, s29
	s_add_i32 s16, s26, 1
	s_lshl_b64 s[28:29], s[16:17], 2
	s_add_u32 s30, s39, s28
	s_addc_u32 s31, s40, s29
	s_load_dword s16, s[30:31], 0x0
	s_load_dword s61, s[0:1], 0x0
                                        ; implicit-def: $vgpr20_vgpr21
	s_waitcnt lgkmcnt(0)
	s_ashr_i32 s0, s16, 31
	v_or_b32_e32 v3, s0, v19
	v_cmp_ne_u64_e32 vcc, 0, v[2:3]
	s_and_saveexec_b64 s[30:31], vcc
	s_xor_b64 s[30:31], exec, s[30:31]
	s_cbranch_execz .LBB100_49
; %bb.48:                               ;   in Loop: Header=BB100_23 Depth=2
	s_add_u32 s36, s16, s0
	s_mov_b32 s34, s0
	s_mov_b32 s35, s0
	s_addc_u32 s37, s0, s0
	s_xor_b64 s[36:37], s[36:37], s[34:35]
	v_cvt_f32_u32_e32 v3, s36
	v_cvt_f32_u32_e32 v5, s37
	s_sub_u32 s0, 0, s36
	s_subb_u32 s1, 0, s37
	v_mac_f32_e32 v3, 0x4f800000, v5
	v_rcp_f32_e32 v3, v3
	v_mul_f32_e32 v3, 0x5f7ffffc, v3
	v_mul_f32_e32 v5, 0x2f800000, v3
	v_trunc_f32_e32 v5, v5
	v_mac_f32_e32 v3, 0xcf800000, v5
	v_cvt_u32_f32_e32 v5, v5
	v_cvt_u32_f32_e32 v3, v3
	v_mul_lo_u32 v7, s0, v5
	v_mul_hi_u32 v11, s0, v3
	v_mul_lo_u32 v9, s1, v3
	v_add_u32_e32 v7, v11, v7
	v_mul_lo_u32 v13, s0, v3
	v_add_u32_e32 v7, v7, v9
	v_mul_lo_u32 v11, v3, v7
	v_mul_hi_u32 v15, v3, v13
	v_mul_hi_u32 v9, v3, v7
	v_add_co_u32_e32 v11, vcc, v15, v11
	v_addc_co_u32_e32 v9, vcc, 0, v9, vcc
	v_mul_hi_u32 v17, v5, v13
	v_mul_lo_u32 v13, v5, v13
	v_add_co_u32_e32 v11, vcc, v11, v13
	v_mul_hi_u32 v15, v5, v7
	v_addc_co_u32_e32 v9, vcc, v9, v17, vcc
	v_addc_co_u32_e32 v11, vcc, 0, v15, vcc
	v_mul_lo_u32 v7, v5, v7
	v_add_co_u32_e32 v7, vcc, v9, v7
	v_addc_co_u32_e32 v9, vcc, 0, v11, vcc
	v_add_co_u32_e32 v3, vcc, v3, v7
	v_addc_co_u32_e32 v5, vcc, v5, v9, vcc
	v_mul_lo_u32 v7, s0, v5
	v_mul_hi_u32 v9, s0, v3
	v_add_u32_e32 v7, v9, v7
	v_mul_lo_u32 v9, s1, v3
	v_add_u32_e32 v7, v7, v9
	v_mul_lo_u32 v11, s0, v3
	v_mul_hi_u32 v13, v5, v11
	v_mul_lo_u32 v15, v5, v11
	v_mul_lo_u32 v20, v3, v7
	v_mul_hi_u32 v11, v3, v11
	v_mul_hi_u32 v17, v3, v7
	v_add_co_u32_e32 v11, vcc, v11, v20
	v_addc_co_u32_e32 v17, vcc, 0, v17, vcc
	v_add_co_u32_e32 v11, vcc, v11, v15
	v_mul_hi_u32 v9, v5, v7
	v_addc_co_u32_e32 v11, vcc, v17, v13, vcc
	v_addc_co_u32_e32 v9, vcc, 0, v9, vcc
	v_mul_lo_u32 v7, v5, v7
	v_add_co_u32_e32 v7, vcc, v11, v7
	v_addc_co_u32_e32 v9, vcc, 0, v9, vcc
	v_add_co_u32_e32 v3, vcc, v3, v7
	v_addc_co_u32_e32 v5, vcc, v5, v9, vcc
	v_ashrrev_i32_e32 v7, 31, v19
	v_add_co_u32_e32 v9, vcc, v18, v7
	v_xor_b32_e32 v9, v9, v7
	v_addc_co_u32_e32 v11, vcc, v19, v7, vcc
	v_mad_u64_u32 v[20:21], s[0:1], v9, v5, 0
	v_mul_hi_u32 v13, v9, v3
	v_xor_b32_e32 v11, v11, v7
	v_add_co_u32_e32 v13, vcc, v13, v20
	v_addc_co_u32_e32 v15, vcc, 0, v21, vcc
	v_mad_u64_u32 v[22:23], s[0:1], v11, v3, 0
	v_add_co_u32_e32 v3, vcc, v13, v22
	v_mad_u64_u32 v[20:21], s[0:1], v11, v5, 0
	v_addc_co_u32_e32 v3, vcc, v15, v23, vcc
	v_addc_co_u32_e32 v5, vcc, 0, v21, vcc
	v_add_co_u32_e32 v3, vcc, v3, v20
	v_addc_co_u32_e32 v5, vcc, 0, v5, vcc
	v_mul_lo_u32 v13, s37, v3
	v_mul_lo_u32 v15, s36, v5
	v_mad_u64_u32 v[20:21], s[0:1], s36, v3, 0
	v_add3_u32 v13, v21, v15, v13
	v_sub_u32_e32 v15, v11, v13
	v_mov_b32_e32 v17, s37
	v_sub_co_u32_e32 v9, vcc, v9, v20
	v_subb_co_u32_e64 v15, s[0:1], v15, v17, vcc
	v_subrev_co_u32_e64 v17, s[0:1], s36, v9
	v_subbrev_co_u32_e64 v15, s[0:1], 0, v15, s[0:1]
	v_cmp_le_u32_e64 s[0:1], s37, v15
	v_cndmask_b32_e64 v19, 0, -1, s[0:1]
	v_cmp_le_u32_e64 s[0:1], s36, v17
	v_cndmask_b32_e64 v17, 0, -1, s[0:1]
	v_cmp_eq_u32_e64 s[0:1], s37, v15
	v_cndmask_b32_e64 v15, v19, v17, s[0:1]
	v_add_co_u32_e64 v17, s[0:1], 2, v3
	v_subb_co_u32_e32 v11, vcc, v11, v13, vcc
	v_addc_co_u32_e64 v19, s[0:1], 0, v5, s[0:1]
	v_cmp_le_u32_e32 vcc, s37, v11
	v_add_co_u32_e64 v20, s[0:1], 1, v3
	v_cndmask_b32_e64 v13, 0, -1, vcc
	v_cmp_le_u32_e32 vcc, s36, v9
	v_addc_co_u32_e64 v21, s[0:1], 0, v5, s[0:1]
	v_cndmask_b32_e64 v9, 0, -1, vcc
	v_cmp_eq_u32_e32 vcc, s37, v11
	v_cmp_ne_u32_e64 s[0:1], 0, v15
	v_cndmask_b32_e32 v9, v13, v9, vcc
	v_cmp_ne_u32_e32 vcc, 0, v9
	v_cndmask_b32_e64 v9, v20, v17, s[0:1]
	v_cndmask_b32_e64 v15, v21, v19, s[0:1]
	v_cndmask_b32_e32 v3, v3, v9, vcc
	v_xor_b32_e32 v9, s35, v7
	v_xor_b32_e32 v7, s34, v7
	v_cndmask_b32_e32 v5, v5, v15, vcc
	v_xor_b32_e32 v3, v3, v7
	v_xor_b32_e32 v5, v5, v9
	v_sub_co_u32_e32 v20, vcc, v3, v7
	v_subb_co_u32_e32 v21, vcc, v5, v9, vcc
.LBB100_49:                             ;   in Loop: Header=BB100_23 Depth=2
	s_andn2_saveexec_b64 s[0:1], s[30:31]
	s_cbranch_execz .LBB100_51
; %bb.50:                               ;   in Loop: Header=BB100_23 Depth=2
	v_cvt_f32_u32_e32 v3, s16
	s_sub_i32 s27, 0, s16
	v_mov_b32_e32 v21, v2
	v_rcp_iflag_f32_e32 v3, v3
	v_mul_f32_e32 v3, 0x4f7ffffe, v3
	v_cvt_u32_f32_e32 v3, v3
	v_mul_lo_u32 v5, s27, v3
	v_mul_hi_u32 v5, v3, v5
	v_add_u32_e32 v3, v3, v5
	v_mul_hi_u32 v3, v18, v3
	v_mul_lo_u32 v5, v3, s16
	v_sub_u32_e32 v5, v18, v5
	v_add_u32_e32 v7, 1, v3
	v_subrev_u32_e32 v9, s16, v5
	v_cmp_le_u32_e32 vcc, s16, v5
	v_cndmask_b32_e32 v5, v5, v9, vcc
	v_cndmask_b32_e32 v3, v3, v7, vcc
	v_add_u32_e32 v7, 1, v3
	v_cmp_le_u32_e32 vcc, s16, v5
	v_cndmask_b32_e32 v20, v3, v7, vcc
.LBB100_51:                             ;   in Loop: Header=BB100_23 Depth=2
	s_or_b64 exec, exec, s[0:1]
	s_add_u32 s0, s43, s28
	s_mov_b32 s27, s17
	s_addc_u32 s1, s44, s29
	s_lshl_b64 s[28:29], s[26:27], 2
	s_add_u32 s30, s39, s28
	s_addc_u32 s31, s40, s29
	s_load_dword s27, s[30:31], 0x0
	s_load_dword s62, s[0:1], 0x0
                                        ; implicit-def: $vgpr22_vgpr23
	s_waitcnt lgkmcnt(0)
	s_ashr_i32 s0, s27, 31
	v_or_b32_e32 v3, s0, v21
	v_cmp_ne_u64_e32 vcc, 0, v[2:3]
	s_and_saveexec_b64 s[30:31], vcc
	s_xor_b64 s[30:31], exec, s[30:31]
	s_cbranch_execz .LBB100_53
; %bb.52:                               ;   in Loop: Header=BB100_23 Depth=2
	s_add_u32 s36, s27, s0
	s_mov_b32 s34, s0
	s_mov_b32 s35, s0
	s_addc_u32 s37, s0, s0
	s_xor_b64 s[36:37], s[36:37], s[34:35]
	v_cvt_f32_u32_e32 v3, s36
	v_cvt_f32_u32_e32 v5, s37
	s_sub_u32 s0, 0, s36
	s_subb_u32 s1, 0, s37
	v_mac_f32_e32 v3, 0x4f800000, v5
	v_rcp_f32_e32 v3, v3
	v_mul_f32_e32 v3, 0x5f7ffffc, v3
	v_mul_f32_e32 v5, 0x2f800000, v3
	v_trunc_f32_e32 v5, v5
	v_mac_f32_e32 v3, 0xcf800000, v5
	v_cvt_u32_f32_e32 v5, v5
	v_cvt_u32_f32_e32 v3, v3
	v_mul_lo_u32 v7, s0, v5
	v_mul_hi_u32 v11, s0, v3
	v_mul_lo_u32 v9, s1, v3
	v_add_u32_e32 v7, v11, v7
	v_mul_lo_u32 v13, s0, v3
	v_add_u32_e32 v7, v7, v9
	v_mul_lo_u32 v11, v3, v7
	v_mul_hi_u32 v15, v3, v13
	v_mul_hi_u32 v9, v3, v7
	v_add_co_u32_e32 v11, vcc, v15, v11
	v_addc_co_u32_e32 v9, vcc, 0, v9, vcc
	v_mul_hi_u32 v17, v5, v13
	v_mul_lo_u32 v13, v5, v13
	v_add_co_u32_e32 v11, vcc, v11, v13
	v_mul_hi_u32 v15, v5, v7
	v_addc_co_u32_e32 v9, vcc, v9, v17, vcc
	v_addc_co_u32_e32 v11, vcc, 0, v15, vcc
	v_mul_lo_u32 v7, v5, v7
	v_add_co_u32_e32 v7, vcc, v9, v7
	v_addc_co_u32_e32 v9, vcc, 0, v11, vcc
	v_add_co_u32_e32 v3, vcc, v3, v7
	v_addc_co_u32_e32 v5, vcc, v5, v9, vcc
	v_mul_lo_u32 v7, s0, v5
	v_mul_hi_u32 v9, s0, v3
	v_add_u32_e32 v7, v9, v7
	v_mul_lo_u32 v9, s1, v3
	v_add_u32_e32 v7, v7, v9
	v_mul_lo_u32 v11, s0, v3
	v_mul_hi_u32 v13, v5, v11
	v_mul_lo_u32 v15, v5, v11
	v_mul_lo_u32 v19, v3, v7
	v_mul_hi_u32 v11, v3, v11
	v_mul_hi_u32 v17, v3, v7
	v_add_co_u32_e32 v11, vcc, v11, v19
	v_addc_co_u32_e32 v17, vcc, 0, v17, vcc
	v_add_co_u32_e32 v11, vcc, v11, v15
	v_mul_hi_u32 v9, v5, v7
	v_addc_co_u32_e32 v11, vcc, v17, v13, vcc
	v_addc_co_u32_e32 v9, vcc, 0, v9, vcc
	v_mul_lo_u32 v7, v5, v7
	v_add_co_u32_e32 v7, vcc, v11, v7
	v_addc_co_u32_e32 v9, vcc, 0, v9, vcc
	v_add_co_u32_e32 v3, vcc, v3, v7
	v_addc_co_u32_e32 v5, vcc, v5, v9, vcc
	v_ashrrev_i32_e32 v7, 31, v21
	v_add_co_u32_e32 v9, vcc, v20, v7
	v_xor_b32_e32 v9, v9, v7
	v_addc_co_u32_e32 v11, vcc, v21, v7, vcc
	v_mad_u64_u32 v[22:23], s[0:1], v9, v5, 0
	v_mul_hi_u32 v13, v9, v3
	v_xor_b32_e32 v11, v11, v7
	v_add_co_u32_e32 v13, vcc, v13, v22
	v_addc_co_u32_e32 v15, vcc, 0, v23, vcc
	v_mad_u64_u32 v[28:29], s[0:1], v11, v3, 0
	v_add_co_u32_e32 v3, vcc, v13, v28
	v_mad_u64_u32 v[22:23], s[0:1], v11, v5, 0
	v_addc_co_u32_e32 v3, vcc, v15, v29, vcc
	v_addc_co_u32_e32 v5, vcc, 0, v23, vcc
	v_add_co_u32_e32 v3, vcc, v3, v22
	v_addc_co_u32_e32 v5, vcc, 0, v5, vcc
	v_mul_lo_u32 v13, s37, v3
	v_mul_lo_u32 v15, s36, v5
	v_mad_u64_u32 v[22:23], s[0:1], s36, v3, 0
	v_add3_u32 v13, v23, v15, v13
	v_sub_u32_e32 v15, v11, v13
	v_mov_b32_e32 v17, s37
	v_sub_co_u32_e32 v9, vcc, v9, v22
	v_subb_co_u32_e64 v15, s[0:1], v15, v17, vcc
	v_subrev_co_u32_e64 v17, s[0:1], s36, v9
	v_subbrev_co_u32_e64 v15, s[0:1], 0, v15, s[0:1]
	v_cmp_le_u32_e64 s[0:1], s37, v15
	v_cndmask_b32_e64 v19, 0, -1, s[0:1]
	v_cmp_le_u32_e64 s[0:1], s36, v17
	v_cndmask_b32_e64 v17, 0, -1, s[0:1]
	v_cmp_eq_u32_e64 s[0:1], s37, v15
	v_cndmask_b32_e64 v15, v19, v17, s[0:1]
	v_add_co_u32_e64 v17, s[0:1], 2, v3
	v_subb_co_u32_e32 v11, vcc, v11, v13, vcc
	v_addc_co_u32_e64 v19, s[0:1], 0, v5, s[0:1]
	v_cmp_le_u32_e32 vcc, s37, v11
	v_add_co_u32_e64 v21, s[0:1], 1, v3
	v_cndmask_b32_e64 v13, 0, -1, vcc
	v_cmp_le_u32_e32 vcc, s36, v9
	v_addc_co_u32_e64 v22, s[0:1], 0, v5, s[0:1]
	v_cndmask_b32_e64 v9, 0, -1, vcc
	v_cmp_eq_u32_e32 vcc, s37, v11
	v_cmp_ne_u32_e64 s[0:1], 0, v15
	v_cndmask_b32_e32 v9, v13, v9, vcc
	v_cmp_ne_u32_e32 vcc, 0, v9
	v_cndmask_b32_e64 v9, v21, v17, s[0:1]
	v_cndmask_b32_e64 v15, v22, v19, s[0:1]
	v_cndmask_b32_e32 v3, v3, v9, vcc
	v_xor_b32_e32 v9, s35, v7
	v_xor_b32_e32 v7, s34, v7
	v_cndmask_b32_e32 v5, v5, v15, vcc
	v_xor_b32_e32 v3, v3, v7
	v_xor_b32_e32 v5, v5, v9
	v_sub_co_u32_e32 v22, vcc, v3, v7
	v_subb_co_u32_e32 v23, vcc, v5, v9, vcc
.LBB100_53:                             ;   in Loop: Header=BB100_23 Depth=2
	s_andn2_saveexec_b64 s[0:1], s[30:31]
	s_cbranch_execz .LBB100_55
; %bb.54:                               ;   in Loop: Header=BB100_23 Depth=2
	v_cvt_f32_u32_e32 v3, s27
	s_sub_i32 s30, 0, s27
	v_mov_b32_e32 v23, v2
	v_rcp_iflag_f32_e32 v3, v3
	v_mul_f32_e32 v3, 0x4f7ffffe, v3
	v_cvt_u32_f32_e32 v3, v3
	v_mul_lo_u32 v5, s30, v3
	v_mul_hi_u32 v5, v3, v5
	v_add_u32_e32 v3, v3, v5
	v_mul_hi_u32 v3, v20, v3
	v_mul_lo_u32 v5, v3, s27
	v_sub_u32_e32 v5, v20, v5
	v_add_u32_e32 v7, 1, v3
	v_subrev_u32_e32 v9, s27, v5
	v_cmp_le_u32_e32 vcc, s27, v5
	v_cndmask_b32_e32 v5, v5, v9, vcc
	v_cndmask_b32_e32 v3, v3, v7, vcc
	v_add_u32_e32 v7, 1, v3
	v_cmp_le_u32_e32 vcc, s27, v5
	v_cndmask_b32_e32 v22, v3, v7, vcc
.LBB100_55:                             ;   in Loop: Header=BB100_23 Depth=2
	s_or_b64 exec, exec, s[0:1]
	v_mul_lo_u32 v3, v8, s50
	v_mul_lo_u32 v5, v10, s51
	v_sub_u32_e32 v3, v6, v3
	v_sub_u32_e32 v5, v8, v5
	v_mul_lo_u32 v3, s52, v3
	v_mul_lo_u32 v5, s54, v5
	v_add3_u32 v3, v3, v4, v5
	v_mul_lo_u32 v4, v12, s53
	v_mul_lo_u32 v5, v14, s55
	v_sub_u32_e32 v4, v10, v4
	v_sub_u32_e32 v5, v12, v5
	s_add_u32 s0, s43, s28
	v_mul_lo_u32 v4, s56, v4
	v_mul_lo_u32 v5, s58, v5
	s_addc_u32 s1, s44, s29
	v_add3_u32 v3, v4, v3, v5
	v_mul_lo_u32 v4, v16, s57
	v_mul_lo_u32 v5, v18, s59
	s_load_dword s0, s[0:1], 0x0
	v_sub_u32_e32 v4, v14, v4
	v_sub_u32_e32 v5, v16, v5
	v_mul_lo_u32 v4, s60, v4
	v_mul_lo_u32 v5, s61, v5
	v_add3_u32 v3, v4, v3, v5
	v_mul_lo_u32 v4, v20, s16
	v_mul_lo_u32 v5, v22, s27
	v_sub_u32_e32 v4, v18, v4
	v_sub_u32_e32 v5, v20, v5
	v_mul_lo_u32 v4, s62, v4
	s_waitcnt lgkmcnt(0)
	v_mul_lo_u32 v5, s0, v5
	s_add_i32 s26, s26, -8
	s_cmp_eq_u32 s26, -8
	v_add3_u32 v4, v4, v3, v5
	s_cbranch_scc1 .LBB100_57
; %bb.56:                               ;   in Loop: Header=BB100_23 Depth=2
	v_pk_mov_b32 v[6:7], v[22:23], v[22:23] op_sel:[0,1]
	s_branch .LBB100_23
.LBB100_57:                             ;   in Loop: Header=BB100_3 Depth=1
	s_load_dword s16, s[14:15], 0x0
	s_waitcnt lgkmcnt(0)
	v_cmp_gt_i32_e32 vcc, s16, v26
	s_and_b64 exec, exec, vcc
	s_cbranch_execz .LBB100_2
; %bb.58:                               ;   in Loop: Header=BB100_3 Depth=1
	v_ashrrev_i32_e32 v3, 31, v4
	v_mov_b32_e32 v5, s3
	v_add_co_u32_e32 v6, vcc, s2, v4
	v_addc_co_u32_e32 v7, vcc, v5, v3, vcc
	v_add_u32_e32 v3, 1, v26
	v_cmp_gt_i32_e32 vcc, s16, v3
	global_store_byte v[6:7], v2, off
	s_and_b64 exec, exec, vcc
	s_cbranch_execz .LBB100_2
; %bb.59:                               ;   in Loop: Header=BB100_3 Depth=1
	v_sub_u32_e32 v6, v3, v25
	v_ashrrev_i32_e32 v7, 31, v6
	v_cmp_gt_i64_e32 vcc, s[8:9], v[6:7]
	s_and_saveexec_b64 s[0:1], vcc
	s_cbranch_execz .LBB100_61
; %bb.60:                               ;   in Loop: Header=BB100_3 Depth=1
	v_add_u32_e32 v3, s49, v4
	v_ashrrev_i32_e32 v5, 31, v3
	v_mov_b32_e32 v7, s3
	v_add_co_u32_e32 v6, vcc, s2, v3
	v_addc_co_u32_e32 v7, vcc, v7, v5, vcc
	global_store_byte v[6:7], v2, off
.LBB100_61:                             ;   in Loop: Header=BB100_3 Depth=1
	s_or_b64 exec, exec, s[0:1]
	v_add_u32_e32 v3, 2, v26
	v_cmp_gt_i32_e32 vcc, s16, v3
	s_and_b64 exec, exec, vcc
	s_cbranch_execz .LBB100_2
; %bb.62:                               ;   in Loop: Header=BB100_3 Depth=1
	v_sub_u32_e32 v6, v3, v25
	v_ashrrev_i32_e32 v7, 31, v6
	v_cmp_gt_i64_e32 vcc, s[8:9], v[6:7]
	s_and_saveexec_b64 s[0:1], vcc
	s_cbranch_execz .LBB100_64
; %bb.63:                               ;   in Loop: Header=BB100_3 Depth=1
	v_lshl_add_u32 v3, s49, 1, v4
	v_ashrrev_i32_e32 v5, 31, v3
	v_mov_b32_e32 v7, s3
	v_add_co_u32_e32 v6, vcc, s2, v3
	v_addc_co_u32_e32 v7, vcc, v7, v5, vcc
	global_store_byte v[6:7], v2, off
.LBB100_64:                             ;   in Loop: Header=BB100_3 Depth=1
	s_or_b64 exec, exec, s[0:1]
	v_add_u32_e32 v3, 3, v26
	v_cmp_gt_i32_e32 vcc, s16, v3
	s_and_b64 exec, exec, vcc
	s_cbranch_execz .LBB100_2
; %bb.65:                               ;   in Loop: Header=BB100_3 Depth=1
	v_sub_u32_e32 v6, v3, v25
	v_ashrrev_i32_e32 v7, 31, v6
	v_cmp_gt_i64_e32 vcc, s[8:9], v[6:7]
	s_and_b64 exec, exec, vcc
	s_cbranch_execz .LBB100_2
; %bb.66:                               ;   in Loop: Header=BB100_3 Depth=1
	v_mad_u64_u32 v[4:5], s[0:1], s49, 3, v[4:5]
	v_ashrrev_i32_e32 v3, 31, v4
	v_mov_b32_e32 v5, s3
	v_add_co_u32_e32 v4, vcc, s2, v4
	v_addc_co_u32_e32 v5, vcc, v5, v3, vcc
	global_store_byte v[4:5], v2, off
	s_branch .LBB100_2
.LBB100_67:
	s_endpgm
	.section	.rodata,"a",@progbits
	.p2align	6, 0x0
	.amdhsa_kernel _ZN2at6native16triu_tril_kernelIbiLb1ELi4ELb1EEEvNS_4cuda6detail10TensorInfoIT_T0_EENS4_IKS5_S6_EEllS6_
		.amdhsa_group_segment_fixed_size 0
		.amdhsa_private_segment_fixed_size 0
		.amdhsa_kernarg_size 712
		.amdhsa_user_sgpr_count 6
		.amdhsa_user_sgpr_private_segment_buffer 1
		.amdhsa_user_sgpr_dispatch_ptr 0
		.amdhsa_user_sgpr_queue_ptr 0
		.amdhsa_user_sgpr_kernarg_segment_ptr 1
		.amdhsa_user_sgpr_dispatch_id 0
		.amdhsa_user_sgpr_flat_scratch_init 0
		.amdhsa_user_sgpr_kernarg_preload_length 0
		.amdhsa_user_sgpr_kernarg_preload_offset 0
		.amdhsa_user_sgpr_private_segment_size 0
		.amdhsa_uses_dynamic_stack 0
		.amdhsa_system_sgpr_private_segment_wavefront_offset 0
		.amdhsa_system_sgpr_workgroup_id_x 1
		.amdhsa_system_sgpr_workgroup_id_y 0
		.amdhsa_system_sgpr_workgroup_id_z 0
		.amdhsa_system_sgpr_workgroup_info 0
		.amdhsa_system_vgpr_workitem_id 0
		.amdhsa_next_free_vgpr 30
		.amdhsa_next_free_sgpr 63
		.amdhsa_accum_offset 32
		.amdhsa_reserve_vcc 1
		.amdhsa_reserve_flat_scratch 0
		.amdhsa_float_round_mode_32 0
		.amdhsa_float_round_mode_16_64 0
		.amdhsa_float_denorm_mode_32 3
		.amdhsa_float_denorm_mode_16_64 3
		.amdhsa_dx10_clamp 1
		.amdhsa_ieee_mode 1
		.amdhsa_fp16_overflow 0
		.amdhsa_tg_split 0
		.amdhsa_exception_fp_ieee_invalid_op 0
		.amdhsa_exception_fp_denorm_src 0
		.amdhsa_exception_fp_ieee_div_zero 0
		.amdhsa_exception_fp_ieee_overflow 0
		.amdhsa_exception_fp_ieee_underflow 0
		.amdhsa_exception_fp_ieee_inexact 0
		.amdhsa_exception_int_div_zero 0
	.end_amdhsa_kernel
	.section	.text._ZN2at6native16triu_tril_kernelIbiLb1ELi4ELb1EEEvNS_4cuda6detail10TensorInfoIT_T0_EENS4_IKS5_S6_EEllS6_,"axG",@progbits,_ZN2at6native16triu_tril_kernelIbiLb1ELi4ELb1EEEvNS_4cuda6detail10TensorInfoIT_T0_EENS4_IKS5_S6_EEllS6_,comdat
.Lfunc_end100:
	.size	_ZN2at6native16triu_tril_kernelIbiLb1ELi4ELb1EEEvNS_4cuda6detail10TensorInfoIT_T0_EENS4_IKS5_S6_EEllS6_, .Lfunc_end100-_ZN2at6native16triu_tril_kernelIbiLb1ELi4ELb1EEEvNS_4cuda6detail10TensorInfoIT_T0_EENS4_IKS5_S6_EEllS6_
                                        ; -- End function
	.section	.AMDGPU.csdata,"",@progbits
; Kernel info:
; codeLenInByte = 10240
; NumSgprs: 67
; NumVgprs: 30
; NumAgprs: 0
; TotalNumVgprs: 30
; ScratchSize: 0
; MemoryBound: 0
; FloatMode: 240
; IeeeMode: 1
; LDSByteSize: 0 bytes/workgroup (compile time only)
; SGPRBlocks: 8
; VGPRBlocks: 3
; NumSGPRsForWavesPerEU: 67
; NumVGPRsForWavesPerEU: 30
; AccumOffset: 32
; Occupancy: 8
; WaveLimiterHint : 0
; COMPUTE_PGM_RSRC2:SCRATCH_EN: 0
; COMPUTE_PGM_RSRC2:USER_SGPR: 6
; COMPUTE_PGM_RSRC2:TRAP_HANDLER: 0
; COMPUTE_PGM_RSRC2:TGID_X_EN: 1
; COMPUTE_PGM_RSRC2:TGID_Y_EN: 0
; COMPUTE_PGM_RSRC2:TGID_Z_EN: 0
; COMPUTE_PGM_RSRC2:TIDIG_COMP_CNT: 0
; COMPUTE_PGM_RSRC3_GFX90A:ACCUM_OFFSET: 7
; COMPUTE_PGM_RSRC3_GFX90A:TG_SPLIT: 0
	.section	.text._ZN2at6native16triu_tril_kernelIbiLb1ELi4ELb0EEEvNS_4cuda6detail10TensorInfoIT_T0_EENS4_IKS5_S6_EEllS6_,"axG",@progbits,_ZN2at6native16triu_tril_kernelIbiLb1ELi4ELb0EEEvNS_4cuda6detail10TensorInfoIT_T0_EENS4_IKS5_S6_EEllS6_,comdat
	.protected	_ZN2at6native16triu_tril_kernelIbiLb1ELi4ELb0EEEvNS_4cuda6detail10TensorInfoIT_T0_EENS4_IKS5_S6_EEllS6_ ; -- Begin function _ZN2at6native16triu_tril_kernelIbiLb1ELi4ELb0EEEvNS_4cuda6detail10TensorInfoIT_T0_EENS4_IKS5_S6_EEllS6_
	.globl	_ZN2at6native16triu_tril_kernelIbiLb1ELi4ELb0EEEvNS_4cuda6detail10TensorInfoIT_T0_EENS4_IKS5_S6_EEllS6_
	.p2align	8
	.type	_ZN2at6native16triu_tril_kernelIbiLb1ELi4ELb0EEEvNS_4cuda6detail10TensorInfoIT_T0_EENS4_IKS5_S6_EEllS6_,@function
_ZN2at6native16triu_tril_kernelIbiLb1ELi4ELb0EEEvNS_4cuda6detail10TensorInfoIT_T0_EENS4_IKS5_S6_EEllS6_: ; @_ZN2at6native16triu_tril_kernelIbiLb1ELi4ELb0EEEvNS_4cuda6detail10TensorInfoIT_T0_EENS4_IKS5_S6_EEllS6_
; %bb.0:
	s_load_dword s2, s[4:5], 0x1d4
	s_load_dwordx4 s[8:11], s[4:5], 0x1b0
	s_add_u32 s0, s4, 0x1c8
	v_mov_b32_e32 v2, 0
	s_addc_u32 s1, s5, 0
	s_waitcnt lgkmcnt(0)
	s_and_b32 s2, s2, 0xffff
	v_mov_b32_e32 v1, v2
	v_mov_b32_e32 v3, s6
	v_mad_u64_u32 v[0:1], s[6:7], s2, v3, v[0:1]
	v_lshlrev_b64 v[0:1], 2, v[0:1]
	s_mov_b32 s33, 0xffff
	v_cmp_gt_i64_e32 vcc, s[10:11], v[0:1]
	s_and_saveexec_b64 s[6:7], vcc
	s_cbranch_execz .LBB101_58
; %bb.1:
	s_load_dword s6, s[4:5], 0x1a8
	s_add_u32 s38, s4, 0xd8
	s_addc_u32 s39, s5, 0
	s_load_dword s3, s[0:1], 0x0
	s_load_dwordx2 s[12:13], s[4:5], 0xd8
	s_mov_b32 s25, 0
	s_waitcnt lgkmcnt(0)
	s_ashr_i32 s7, s6, 31
	s_lshl_b64 s[0:1], s[6:7], 2
	s_add_u32 s20, s0, -8
	s_addc_u32 s21, s1, -1
	s_add_u32 s0, s38, s20
	s_addc_u32 s1, s39, s21
	s_load_dwordx2 s[14:15], s[0:1], 0x8
	s_load_dword s40, s[4:5], 0x1c0
	s_load_dwordx2 s[18:19], s[0:1], 0x6c
	s_mul_i32 s3, s3, s2
	v_cmp_gt_i64_e64 s[16:17], s[6:7], 2
	s_waitcnt lgkmcnt(0)
	s_ashr_i32 s41, s14, 31
	v_cvt_f32_u32_e32 v3, s40
	s_ashr_i32 s42, s40, 31
	s_add_u32 s43, s4, 0x6c
	s_addc_u32 s44, s5, 0
	v_rcp_iflag_f32_e32 v3, v3
	s_add_u32 s0, s43, s20
	s_addc_u32 s1, s44, s21
	s_load_dwordx2 s[20:21], s[0:1], 0x0
	s_load_dwordx2 s[22:23], s[4:5], 0x0
	v_mul_f32_e32 v3, 0x4f7ffffe, v3
	s_add_i32 s45, s6, -3
	s_lshl_b32 s46, s3, 2
	s_and_b32 s48, s6, 3
	v_cvt_u32_f32_e32 v22, v3
	s_cmp_lg_u32 s48, 2
	s_cselect_b64 s[26:27], -1, 0
	s_cmp_gt_u32 s45, 2
	s_mov_b32 s47, s25
	s_cselect_b64 s[28:29], -1, 0
	s_ashr_i32 s49, s19, 31
	s_mov_b32 s50, s19
	s_waitcnt lgkmcnt(0)
	s_ashr_i32 s51, s21, 31
	s_mov_b32 s52, s21
	s_mov_b64 s[30:31], 0
	v_mov_b32_e32 v23, 1
	s_branch .LBB101_3
.LBB101_2:                              ;   in Loop: Header=BB101_3 Depth=1
	s_or_b64 exec, exec, s[0:1]
	v_mov_b32_e32 v3, s47
	v_add_co_u32_e32 v0, vcc, s46, v0
	v_addc_co_u32_e32 v1, vcc, v1, v3, vcc
	v_cmp_le_i64_e32 vcc, s[10:11], v[0:1]
	s_or_b64 s[30:31], vcc, s[30:31]
	s_andn2_b64 exec, exec, s[30:31]
	s_cbranch_execz .LBB101_58
.LBB101_3:                              ; =>This Loop Header: Depth=1
                                        ;     Child Loop BB101_37 Depth 2
                                        ;     Child Loop BB101_18 Depth 2
	v_or_b32_e32 v3, s42, v1
	v_cmp_ne_u64_e32 vcc, 0, v[2:3]
                                        ; implicit-def: $vgpr4_vgpr5
                                        ; implicit-def: $vgpr14_vgpr15
	s_and_saveexec_b64 s[0:1], vcc
	s_xor_b64 s[4:5], exec, s[0:1]
	s_cbranch_execz .LBB101_5
; %bb.4:                                ;   in Loop: Header=BB101_3 Depth=1
	s_add_u32 s0, s40, s42
	s_mov_b32 s2, s42
	s_mov_b32 s3, s42
	s_addc_u32 s1, s42, s42
	s_xor_b64 s[6:7], s[0:1], s[2:3]
	v_cvt_f32_u32_e32 v3, s6
	v_cvt_f32_u32_e32 v4, s7
	s_sub_u32 s0, 0, s6
	s_subb_u32 s1, 0, s7
	v_mac_f32_e32 v3, 0x4f800000, v4
	v_rcp_f32_e32 v3, v3
	v_mul_f32_e32 v3, 0x5f7ffffc, v3
	v_mul_f32_e32 v4, 0x2f800000, v3
	v_trunc_f32_e32 v4, v4
	v_mac_f32_e32 v3, 0xcf800000, v4
	v_cvt_u32_f32_e32 v4, v4
	v_cvt_u32_f32_e32 v3, v3
	v_mul_lo_u32 v5, s0, v4
	v_mul_hi_u32 v7, s0, v3
	v_mul_lo_u32 v6, s1, v3
	v_add_u32_e32 v5, v7, v5
	v_mul_lo_u32 v8, s0, v3
	v_add_u32_e32 v5, v5, v6
	v_mul_lo_u32 v7, v3, v5
	v_mul_hi_u32 v9, v3, v8
	v_mul_hi_u32 v6, v3, v5
	v_add_co_u32_e32 v7, vcc, v9, v7
	v_addc_co_u32_e32 v6, vcc, 0, v6, vcc
	v_mul_hi_u32 v10, v4, v8
	v_mul_lo_u32 v8, v4, v8
	v_add_co_u32_e32 v7, vcc, v7, v8
	v_mul_hi_u32 v9, v4, v5
	v_addc_co_u32_e32 v6, vcc, v6, v10, vcc
	v_addc_co_u32_e32 v7, vcc, 0, v9, vcc
	v_mul_lo_u32 v5, v4, v5
	v_add_co_u32_e32 v5, vcc, v6, v5
	v_addc_co_u32_e32 v6, vcc, 0, v7, vcc
	v_add_co_u32_e32 v3, vcc, v3, v5
	v_addc_co_u32_e32 v4, vcc, v4, v6, vcc
	v_mul_lo_u32 v5, s0, v4
	v_mul_hi_u32 v6, s0, v3
	v_add_u32_e32 v5, v6, v5
	v_mul_lo_u32 v6, s1, v3
	v_add_u32_e32 v5, v5, v6
	v_mul_lo_u32 v7, s0, v3
	v_mul_hi_u32 v8, v4, v7
	v_mul_lo_u32 v9, v4, v7
	v_mul_lo_u32 v11, v3, v5
	v_mul_hi_u32 v7, v3, v7
	v_mul_hi_u32 v10, v3, v5
	v_add_co_u32_e32 v7, vcc, v7, v11
	v_addc_co_u32_e32 v10, vcc, 0, v10, vcc
	v_add_co_u32_e32 v7, vcc, v7, v9
	v_mul_hi_u32 v6, v4, v5
	v_addc_co_u32_e32 v7, vcc, v10, v8, vcc
	v_addc_co_u32_e32 v6, vcc, 0, v6, vcc
	v_mul_lo_u32 v5, v4, v5
	v_add_co_u32_e32 v5, vcc, v7, v5
	v_addc_co_u32_e32 v6, vcc, 0, v6, vcc
	v_add_co_u32_e32 v3, vcc, v3, v5
	v_addc_co_u32_e32 v6, vcc, v4, v6, vcc
	v_ashrrev_i32_e32 v8, 31, v1
	v_add_co_u32_e32 v4, vcc, v0, v8
	v_addc_co_u32_e32 v5, vcc, v1, v8, vcc
	v_xor_b32_e32 v10, v4, v8
	v_xor_b32_e32 v9, v5, v8
	v_mad_u64_u32 v[4:5], s[0:1], v10, v6, 0
	v_mul_hi_u32 v7, v10, v3
	v_add_co_u32_e32 v11, vcc, v7, v4
	v_addc_co_u32_e32 v12, vcc, 0, v5, vcc
	v_mad_u64_u32 v[4:5], s[0:1], v9, v6, 0
	v_mad_u64_u32 v[6:7], s[0:1], v9, v3, 0
	v_add_co_u32_e32 v3, vcc, v11, v6
	v_addc_co_u32_e32 v3, vcc, v12, v7, vcc
	v_addc_co_u32_e32 v5, vcc, 0, v5, vcc
	v_add_co_u32_e32 v3, vcc, v3, v4
	v_addc_co_u32_e32 v6, vcc, 0, v5, vcc
	v_mul_lo_u32 v7, s7, v3
	v_mul_lo_u32 v11, s6, v6
	v_mad_u64_u32 v[4:5], s[0:1], s6, v3, 0
	v_add3_u32 v5, v5, v11, v7
	v_sub_u32_e32 v7, v9, v5
	v_mov_b32_e32 v11, s7
	v_sub_co_u32_e32 v4, vcc, v10, v4
	v_subb_co_u32_e64 v7, s[0:1], v7, v11, vcc
	v_subrev_co_u32_e64 v10, s[0:1], s6, v4
	v_subbrev_co_u32_e64 v7, s[0:1], 0, v7, s[0:1]
	v_cmp_le_u32_e64 s[0:1], s7, v7
	v_cndmask_b32_e64 v11, 0, -1, s[0:1]
	v_cmp_le_u32_e64 s[0:1], s6, v10
	v_cndmask_b32_e64 v12, 0, -1, s[0:1]
	v_cmp_eq_u32_e64 s[0:1], s7, v7
	v_cndmask_b32_e64 v7, v11, v12, s[0:1]
	v_add_co_u32_e64 v11, s[0:1], 2, v3
	v_addc_co_u32_e64 v12, s[0:1], 0, v6, s[0:1]
	v_add_co_u32_e64 v13, s[0:1], 1, v3
	v_subb_co_u32_e32 v5, vcc, v9, v5, vcc
	v_addc_co_u32_e64 v14, s[0:1], 0, v6, s[0:1]
	v_cmp_le_u32_e32 vcc, s7, v5
	v_cmp_ne_u32_e64 s[0:1], 0, v7
	v_cndmask_b32_e64 v9, 0, -1, vcc
	v_cmp_le_u32_e32 vcc, s6, v4
	v_cndmask_b32_e64 v7, v14, v12, s[0:1]
	v_cndmask_b32_e64 v12, 0, -1, vcc
	v_cmp_eq_u32_e32 vcc, s7, v5
	v_cndmask_b32_e32 v5, v9, v12, vcc
	v_cmp_ne_u32_e32 vcc, 0, v5
	v_cndmask_b32_e32 v5, v6, v7, vcc
	v_cndmask_b32_e64 v6, v13, v11, s[0:1]
	v_cndmask_b32_e32 v3, v3, v6, vcc
	v_xor_b32_e32 v7, s2, v8
	v_xor_b32_e32 v6, s3, v8
	;; [unrolled: 1-line block ×4, first 2 shown]
	v_sub_co_u32_e64 v14, s[2:3], v3, v7
	v_subb_co_u32_e64 v15, s[2:3], v5, v6, s[2:3]
	v_subrev_co_u32_e64 v3, s[2:3], s6, v10
	v_cndmask_b32_e64 v3, v10, v3, s[0:1]
	v_cndmask_b32_e32 v3, v4, v3, vcc
	v_xor_b32_e32 v3, v3, v8
	v_sub_co_u32_e32 v4, vcc, v3, v8
.LBB101_5:                              ;   in Loop: Header=BB101_3 Depth=1
	s_andn2_saveexec_b64 s[2:3], s[4:5]
	s_cbranch_execz .LBB101_7
; %bb.6:                                ;   in Loop: Header=BB101_3 Depth=1
	s_sub_i32 s0, 0, s40
	v_mul_lo_u32 v3, s0, v22
	v_mul_hi_u32 v3, v22, v3
	v_add_u32_e32 v3, v22, v3
	v_mul_hi_u32 v3, v0, v3
	v_mul_lo_u32 v4, v3, s40
	v_sub_u32_e32 v4, v0, v4
	v_subrev_u32_e32 v5, s40, v4
	v_cmp_le_u32_e32 vcc, s40, v4
	v_cndmask_b32_e32 v4, v4, v5, vcc
	v_subrev_u32_e32 v5, s40, v4
	v_cmp_le_u32_e64 s[0:1], s40, v4
	v_cndmask_b32_e64 v4, v4, v5, s[0:1]
	v_add_u32_e32 v5, 1, v3
	v_cndmask_b32_e32 v3, v3, v5, vcc
	v_add_u32_e32 v5, 1, v3
	v_cndmask_b32_e64 v14, v3, v5, s[0:1]
	v_mov_b32_e32 v15, v2
.LBB101_7:                              ;   in Loop: Header=BB101_3 Depth=1
	s_or_b64 exec, exec, s[2:3]
	v_or_b32_e32 v3, s41, v15
	v_cmp_ne_u64_e32 vcc, 0, v[2:3]
                                        ; implicit-def: $vgpr8_vgpr9
	s_and_saveexec_b64 s[0:1], vcc
	s_xor_b64 s[2:3], exec, s[0:1]
	s_cbranch_execz .LBB101_9
; %bb.8:                                ;   in Loop: Header=BB101_3 Depth=1
	s_add_u32 s4, s14, s41
	s_mov_b32 s0, s41
	s_mov_b32 s1, s41
	s_addc_u32 s5, s41, s41
	s_xor_b64 s[4:5], s[4:5], s[0:1]
	v_cvt_f32_u32_e32 v5, s4
	v_cvt_f32_u32_e32 v6, s5
	s_sub_u32 s0, 0, s4
	s_subb_u32 s1, 0, s5
	v_mac_f32_e32 v5, 0x4f800000, v6
	v_rcp_f32_e32 v5, v5
	v_mul_f32_e32 v5, 0x5f7ffffc, v5
	v_mul_f32_e32 v6, 0x2f800000, v5
	v_trunc_f32_e32 v6, v6
	v_mac_f32_e32 v5, 0xcf800000, v6
	v_cvt_u32_f32_e32 v6, v6
	v_cvt_u32_f32_e32 v5, v5
	v_mul_lo_u32 v7, s0, v6
	v_mul_hi_u32 v9, s0, v5
	v_mul_lo_u32 v8, s1, v5
	v_add_u32_e32 v7, v9, v7
	v_mul_lo_u32 v10, s0, v5
	v_add_u32_e32 v7, v7, v8
	v_mul_lo_u32 v9, v5, v7
	v_mul_hi_u32 v11, v5, v10
	v_mul_hi_u32 v8, v5, v7
	v_add_co_u32_e32 v9, vcc, v11, v9
	v_addc_co_u32_e32 v8, vcc, 0, v8, vcc
	v_mul_hi_u32 v12, v6, v10
	v_mul_lo_u32 v10, v6, v10
	v_add_co_u32_e32 v9, vcc, v9, v10
	v_mul_hi_u32 v11, v6, v7
	v_addc_co_u32_e32 v8, vcc, v8, v12, vcc
	v_addc_co_u32_e32 v9, vcc, 0, v11, vcc
	v_mul_lo_u32 v7, v6, v7
	v_add_co_u32_e32 v7, vcc, v8, v7
	v_addc_co_u32_e32 v8, vcc, 0, v9, vcc
	v_add_co_u32_e32 v5, vcc, v5, v7
	v_addc_co_u32_e32 v6, vcc, v6, v8, vcc
	v_mul_lo_u32 v7, s0, v6
	v_mul_hi_u32 v8, s0, v5
	v_add_u32_e32 v7, v8, v7
	v_mul_lo_u32 v8, s1, v5
	v_add_u32_e32 v7, v7, v8
	v_mul_lo_u32 v9, s0, v5
	v_mul_hi_u32 v10, v6, v9
	v_mul_lo_u32 v11, v6, v9
	v_mul_lo_u32 v13, v5, v7
	v_mul_hi_u32 v9, v5, v9
	v_mul_hi_u32 v12, v5, v7
	v_add_co_u32_e32 v9, vcc, v9, v13
	v_addc_co_u32_e32 v12, vcc, 0, v12, vcc
	v_add_co_u32_e32 v9, vcc, v9, v11
	v_mul_hi_u32 v8, v6, v7
	v_addc_co_u32_e32 v9, vcc, v12, v10, vcc
	v_addc_co_u32_e32 v8, vcc, 0, v8, vcc
	v_mul_lo_u32 v7, v6, v7
	v_add_co_u32_e32 v7, vcc, v9, v7
	v_addc_co_u32_e32 v8, vcc, 0, v8, vcc
	v_add_co_u32_e32 v5, vcc, v5, v7
	v_addc_co_u32_e32 v8, vcc, v6, v8, vcc
	v_ashrrev_i32_e32 v10, 31, v15
	v_add_co_u32_e32 v6, vcc, v14, v10
	v_addc_co_u32_e32 v7, vcc, v15, v10, vcc
	v_xor_b32_e32 v12, v6, v10
	v_xor_b32_e32 v11, v7, v10
	v_mad_u64_u32 v[6:7], s[0:1], v12, v8, 0
	v_mul_hi_u32 v9, v12, v5
	v_add_co_u32_e32 v13, vcc, v9, v6
	v_addc_co_u32_e32 v16, vcc, 0, v7, vcc
	v_mad_u64_u32 v[6:7], s[0:1], v11, v8, 0
	v_mad_u64_u32 v[8:9], s[0:1], v11, v5, 0
	v_add_co_u32_e32 v5, vcc, v13, v8
	v_addc_co_u32_e32 v5, vcc, v16, v9, vcc
	v_addc_co_u32_e32 v7, vcc, 0, v7, vcc
	v_add_co_u32_e32 v5, vcc, v5, v6
	v_addc_co_u32_e32 v6, vcc, 0, v7, vcc
	v_mul_lo_u32 v8, s5, v5
	v_mul_lo_u32 v9, s4, v6
	v_mad_u64_u32 v[6:7], s[0:1], s4, v5, 0
	v_add3_u32 v5, v7, v9, v8
	v_sub_u32_e32 v7, v11, v5
	v_mov_b32_e32 v8, s5
	v_sub_co_u32_e32 v6, vcc, v12, v6
	v_subb_co_u32_e64 v7, s[0:1], v7, v8, vcc
	v_subrev_co_u32_e64 v8, s[0:1], s4, v6
	v_subbrev_co_u32_e64 v7, s[0:1], 0, v7, s[0:1]
	v_cmp_le_u32_e64 s[0:1], s5, v7
	v_subb_co_u32_e32 v5, vcc, v11, v5, vcc
	v_cndmask_b32_e64 v9, 0, -1, s[0:1]
	v_cmp_le_u32_e64 s[0:1], s4, v8
	v_cmp_le_u32_e32 vcc, s5, v5
	v_cndmask_b32_e64 v12, 0, -1, s[0:1]
	v_cmp_eq_u32_e64 s[0:1], s5, v7
	v_cndmask_b32_e64 v11, 0, -1, vcc
	v_cmp_le_u32_e32 vcc, s4, v6
	v_cndmask_b32_e64 v7, v9, v12, s[0:1]
	v_cndmask_b32_e64 v12, 0, -1, vcc
	v_cmp_eq_u32_e32 vcc, s5, v5
	v_subrev_co_u32_e64 v9, s[0:1], s4, v8
	v_cndmask_b32_e32 v5, v11, v12, vcc
	v_cmp_ne_u32_e32 vcc, 0, v7
	v_cndmask_b32_e32 v7, v8, v9, vcc
	v_cmp_ne_u32_e32 vcc, 0, v5
	v_cndmask_b32_e32 v5, v6, v7, vcc
	v_xor_b32_e32 v5, v5, v10
	v_sub_co_u32_e32 v8, vcc, v5, v10
.LBB101_9:                              ;   in Loop: Header=BB101_3 Depth=1
	s_andn2_saveexec_b64 s[0:1], s[2:3]
	s_cbranch_execz .LBB101_11
; %bb.10:                               ;   in Loop: Header=BB101_3 Depth=1
	v_cvt_f32_u32_e32 v5, s14
	s_sub_i32 s2, 0, s14
	v_rcp_iflag_f32_e32 v5, v5
	v_mul_f32_e32 v5, 0x4f7ffffe, v5
	v_cvt_u32_f32_e32 v5, v5
	v_mul_lo_u32 v6, s2, v5
	v_mul_hi_u32 v6, v5, v6
	v_add_u32_e32 v5, v5, v6
	v_mul_hi_u32 v5, v14, v5
	v_mul_lo_u32 v5, v5, s14
	v_sub_u32_e32 v5, v14, v5
	v_subrev_u32_e32 v6, s14, v5
	v_cmp_le_u32_e32 vcc, s14, v5
	v_cndmask_b32_e32 v5, v5, v6, vcc
	v_subrev_u32_e32 v6, s14, v5
	v_cmp_le_u32_e32 vcc, s14, v5
	v_cndmask_b32_e32 v8, v5, v6, vcc
.LBB101_11:                             ;   in Loop: Header=BB101_3 Depth=1
	s_or_b64 exec, exec, s[0:1]
	v_mul_lo_u32 v6, s19, v4
	v_mad_u64_u32 v[10:11], s[0:1], s18, v8, v[6:7]
	v_mul_lo_u32 v6, s21, v4
	s_andn2_b64 vcc, exec, s[16:17]
	v_mad_u64_u32 v[6:7], s[0:1], s20, v8, v[6:7]
	s_cbranch_vccnz .LBB101_41
; %bb.12:                               ;   in Loop: Header=BB101_3 Depth=1
	v_cmp_ne_u64_e32 vcc, 0, v[2:3]
                                        ; implicit-def: $vgpr12_vgpr13
	s_and_saveexec_b64 s[0:1], vcc
	s_xor_b64 s[2:3], exec, s[0:1]
	s_cbranch_execz .LBB101_14
; %bb.13:                               ;   in Loop: Header=BB101_3 Depth=1
	s_add_u32 s0, s14, s41
	s_mov_b32 s4, s41
	s_mov_b32 s5, s41
	s_addc_u32 s1, s41, s41
	s_xor_b64 s[6:7], s[0:1], s[4:5]
	v_cvt_f32_u32_e32 v3, s6
	v_cvt_f32_u32_e32 v5, s7
	s_sub_u32 s0, 0, s6
	s_subb_u32 s1, 0, s7
	v_mac_f32_e32 v3, 0x4f800000, v5
	v_rcp_f32_e32 v3, v3
	v_mul_f32_e32 v3, 0x5f7ffffc, v3
	v_mul_f32_e32 v5, 0x2f800000, v3
	v_trunc_f32_e32 v5, v5
	v_mac_f32_e32 v3, 0xcf800000, v5
	v_cvt_u32_f32_e32 v5, v5
	v_cvt_u32_f32_e32 v3, v3
	v_mul_lo_u32 v7, s0, v5
	v_mul_hi_u32 v11, s0, v3
	v_mul_lo_u32 v9, s1, v3
	v_add_u32_e32 v7, v11, v7
	v_mul_lo_u32 v12, s0, v3
	v_add_u32_e32 v7, v7, v9
	v_mul_lo_u32 v11, v3, v7
	v_mul_hi_u32 v13, v3, v12
	v_mul_hi_u32 v9, v3, v7
	v_add_co_u32_e32 v11, vcc, v13, v11
	v_addc_co_u32_e32 v9, vcc, 0, v9, vcc
	v_mul_hi_u32 v16, v5, v12
	v_mul_lo_u32 v12, v5, v12
	v_add_co_u32_e32 v11, vcc, v11, v12
	v_mul_hi_u32 v13, v5, v7
	v_addc_co_u32_e32 v9, vcc, v9, v16, vcc
	v_addc_co_u32_e32 v11, vcc, 0, v13, vcc
	v_mul_lo_u32 v7, v5, v7
	v_add_co_u32_e32 v7, vcc, v9, v7
	v_addc_co_u32_e32 v9, vcc, 0, v11, vcc
	v_add_co_u32_e32 v3, vcc, v3, v7
	v_addc_co_u32_e32 v5, vcc, v5, v9, vcc
	v_mul_lo_u32 v7, s0, v5
	v_mul_hi_u32 v9, s0, v3
	v_add_u32_e32 v7, v9, v7
	v_mul_lo_u32 v9, s1, v3
	v_add_u32_e32 v7, v7, v9
	v_mul_lo_u32 v11, s0, v3
	v_mul_hi_u32 v12, v5, v11
	v_mul_lo_u32 v13, v5, v11
	v_mul_lo_u32 v17, v3, v7
	v_mul_hi_u32 v11, v3, v11
	v_mul_hi_u32 v16, v3, v7
	v_add_co_u32_e32 v11, vcc, v11, v17
	v_addc_co_u32_e32 v16, vcc, 0, v16, vcc
	v_add_co_u32_e32 v11, vcc, v11, v13
	v_mul_hi_u32 v9, v5, v7
	v_addc_co_u32_e32 v11, vcc, v16, v12, vcc
	v_addc_co_u32_e32 v9, vcc, 0, v9, vcc
	v_mul_lo_u32 v7, v5, v7
	v_add_co_u32_e32 v7, vcc, v11, v7
	v_addc_co_u32_e32 v9, vcc, 0, v9, vcc
	v_add_co_u32_e32 v3, vcc, v3, v7
	v_addc_co_u32_e32 v5, vcc, v5, v9, vcc
	v_ashrrev_i32_e32 v7, 31, v15
	v_add_co_u32_e32 v9, vcc, v14, v7
	v_xor_b32_e32 v9, v9, v7
	v_addc_co_u32_e32 v11, vcc, v15, v7, vcc
	v_mad_u64_u32 v[12:13], s[0:1], v9, v5, 0
	v_mul_hi_u32 v14, v9, v3
	v_xor_b32_e32 v11, v11, v7
	v_add_co_u32_e32 v16, vcc, v14, v12
	v_addc_co_u32_e32 v17, vcc, 0, v13, vcc
	v_mad_u64_u32 v[14:15], s[0:1], v11, v3, 0
	v_add_co_u32_e32 v3, vcc, v16, v14
	v_mad_u64_u32 v[12:13], s[0:1], v11, v5, 0
	v_addc_co_u32_e32 v3, vcc, v17, v15, vcc
	v_addc_co_u32_e32 v5, vcc, 0, v13, vcc
	v_add_co_u32_e32 v3, vcc, v3, v12
	v_addc_co_u32_e32 v5, vcc, 0, v5, vcc
	v_mul_lo_u32 v14, s7, v3
	v_mul_lo_u32 v15, s6, v5
	v_mad_u64_u32 v[12:13], s[0:1], s6, v3, 0
	v_add3_u32 v13, v13, v15, v14
	v_sub_u32_e32 v14, v11, v13
	v_mov_b32_e32 v15, s7
	v_sub_co_u32_e32 v9, vcc, v9, v12
	v_subb_co_u32_e64 v12, s[0:1], v14, v15, vcc
	v_subrev_co_u32_e64 v14, s[0:1], s6, v9
	v_subbrev_co_u32_e64 v12, s[0:1], 0, v12, s[0:1]
	v_cmp_le_u32_e64 s[0:1], s7, v12
	v_cndmask_b32_e64 v15, 0, -1, s[0:1]
	v_cmp_le_u32_e64 s[0:1], s6, v14
	v_cndmask_b32_e64 v14, 0, -1, s[0:1]
	v_cmp_eq_u32_e64 s[0:1], s7, v12
	v_cndmask_b32_e64 v12, v15, v14, s[0:1]
	v_add_co_u32_e64 v14, s[0:1], 2, v3
	v_subb_co_u32_e32 v11, vcc, v11, v13, vcc
	v_addc_co_u32_e64 v15, s[0:1], 0, v5, s[0:1]
	v_cmp_le_u32_e32 vcc, s7, v11
	v_add_co_u32_e64 v16, s[0:1], 1, v3
	v_cndmask_b32_e64 v13, 0, -1, vcc
	v_cmp_le_u32_e32 vcc, s6, v9
	v_addc_co_u32_e64 v17, s[0:1], 0, v5, s[0:1]
	v_cndmask_b32_e64 v9, 0, -1, vcc
	v_cmp_eq_u32_e32 vcc, s7, v11
	v_cmp_ne_u32_e64 s[0:1], 0, v12
	v_cndmask_b32_e32 v9, v13, v9, vcc
	v_cmp_ne_u32_e32 vcc, 0, v9
	v_cndmask_b32_e64 v9, v16, v14, s[0:1]
	v_cndmask_b32_e64 v12, v17, v15, s[0:1]
	v_cndmask_b32_e32 v3, v3, v9, vcc
	v_xor_b32_e32 v9, s5, v7
	v_xor_b32_e32 v7, s4, v7
	v_cndmask_b32_e32 v5, v5, v12, vcc
	v_xor_b32_e32 v3, v3, v7
	v_xor_b32_e32 v5, v5, v9
	v_sub_co_u32_e32 v12, vcc, v3, v7
	v_subb_co_u32_e32 v13, vcc, v5, v9, vcc
                                        ; implicit-def: $vgpr14_vgpr15
.LBB101_14:                             ;   in Loop: Header=BB101_3 Depth=1
	s_andn2_saveexec_b64 s[0:1], s[2:3]
	s_cbranch_execz .LBB101_16
; %bb.15:                               ;   in Loop: Header=BB101_3 Depth=1
	v_cvt_f32_u32_e32 v3, s14
	s_sub_i32 s2, 0, s14
	v_mov_b32_e32 v13, v2
	v_rcp_iflag_f32_e32 v3, v3
	v_mul_f32_e32 v3, 0x4f7ffffe, v3
	v_cvt_u32_f32_e32 v3, v3
	v_mul_lo_u32 v5, s2, v3
	v_mul_hi_u32 v5, v3, v5
	v_add_u32_e32 v3, v3, v5
	v_mul_hi_u32 v3, v14, v3
	v_mul_lo_u32 v5, v3, s14
	v_sub_u32_e32 v5, v14, v5
	v_add_u32_e32 v7, 1, v3
	v_subrev_u32_e32 v9, s14, v5
	v_cmp_le_u32_e32 vcc, s14, v5
	v_cndmask_b32_e32 v5, v5, v9, vcc
	v_cndmask_b32_e32 v3, v3, v7, vcc
	v_add_u32_e32 v7, 1, v3
	v_cmp_le_u32_e32 vcc, s14, v5
	v_cndmask_b32_e32 v12, v3, v7, vcc
.LBB101_16:                             ;   in Loop: Header=BB101_3 Depth=1
	s_or_b64 exec, exec, s[0:1]
	s_andn2_b64 vcc, exec, s[26:27]
	s_mov_b32 s53, 1
	s_mov_b32 s24, s45
	s_cbranch_vccz .LBB101_37
.LBB101_17:                             ;   in Loop: Header=BB101_3 Depth=1
	s_and_b64 vcc, exec, s[28:29]
	s_cbranch_vccz .LBB101_41
.LBB101_18:                             ;   Parent Loop BB101_3 Depth=1
                                        ; =>  This Inner Loop Header: Depth=2
	s_lshl_b64 s[2:3], s[24:25], 2
	s_add_u32 s4, s38, s2
	s_addc_u32 s5, s39, s3
	s_load_dword s53, s[4:5], 0x8
                                        ; implicit-def: $vgpr14_vgpr15
	s_waitcnt lgkmcnt(0)
	s_ashr_i32 s0, s53, 31
	v_or_b32_e32 v3, s0, v13
	v_cmp_ne_u64_e32 vcc, 0, v[2:3]
	s_and_saveexec_b64 s[6:7], vcc
	s_xor_b64 s[6:7], exec, s[6:7]
	s_cbranch_execz .LBB101_20
; %bb.19:                               ;   in Loop: Header=BB101_18 Depth=2
	s_add_u32 s36, s53, s0
	s_mov_b32 s34, s0
	s_mov_b32 s35, s0
	s_addc_u32 s37, s0, s0
	s_xor_b64 s[36:37], s[36:37], s[34:35]
	v_cvt_f32_u32_e32 v3, s36
	v_cvt_f32_u32_e32 v5, s37
	s_sub_u32 s0, 0, s36
	s_subb_u32 s1, 0, s37
	v_mac_f32_e32 v3, 0x4f800000, v5
	v_rcp_f32_e32 v3, v3
	v_mul_f32_e32 v3, 0x5f7ffffc, v3
	v_mul_f32_e32 v5, 0x2f800000, v3
	v_trunc_f32_e32 v5, v5
	v_mac_f32_e32 v3, 0xcf800000, v5
	v_cvt_u32_f32_e32 v5, v5
	v_cvt_u32_f32_e32 v3, v3
	v_mul_lo_u32 v7, s0, v5
	v_mul_hi_u32 v11, s0, v3
	v_mul_lo_u32 v9, s1, v3
	v_add_u32_e32 v7, v11, v7
	v_mul_lo_u32 v14, s0, v3
	v_add_u32_e32 v7, v7, v9
	v_mul_lo_u32 v11, v3, v7
	v_mul_hi_u32 v15, v3, v14
	v_mul_hi_u32 v9, v3, v7
	v_add_co_u32_e32 v11, vcc, v15, v11
	v_addc_co_u32_e32 v9, vcc, 0, v9, vcc
	v_mul_hi_u32 v16, v5, v14
	v_mul_lo_u32 v14, v5, v14
	v_add_co_u32_e32 v11, vcc, v11, v14
	v_mul_hi_u32 v15, v5, v7
	v_addc_co_u32_e32 v9, vcc, v9, v16, vcc
	v_addc_co_u32_e32 v11, vcc, 0, v15, vcc
	v_mul_lo_u32 v7, v5, v7
	v_add_co_u32_e32 v7, vcc, v9, v7
	v_addc_co_u32_e32 v9, vcc, 0, v11, vcc
	v_add_co_u32_e32 v3, vcc, v3, v7
	v_addc_co_u32_e32 v5, vcc, v5, v9, vcc
	v_mul_lo_u32 v7, s0, v5
	v_mul_hi_u32 v9, s0, v3
	v_add_u32_e32 v7, v9, v7
	v_mul_lo_u32 v9, s1, v3
	v_add_u32_e32 v7, v7, v9
	v_mul_lo_u32 v11, s0, v3
	v_mul_hi_u32 v14, v5, v11
	v_mul_lo_u32 v15, v5, v11
	v_mul_lo_u32 v17, v3, v7
	v_mul_hi_u32 v11, v3, v11
	v_mul_hi_u32 v16, v3, v7
	v_add_co_u32_e32 v11, vcc, v11, v17
	v_addc_co_u32_e32 v16, vcc, 0, v16, vcc
	v_add_co_u32_e32 v11, vcc, v11, v15
	v_mul_hi_u32 v9, v5, v7
	v_addc_co_u32_e32 v11, vcc, v16, v14, vcc
	v_addc_co_u32_e32 v9, vcc, 0, v9, vcc
	v_mul_lo_u32 v7, v5, v7
	v_add_co_u32_e32 v7, vcc, v11, v7
	v_addc_co_u32_e32 v9, vcc, 0, v9, vcc
	v_add_co_u32_e32 v3, vcc, v3, v7
	v_addc_co_u32_e32 v5, vcc, v5, v9, vcc
	v_ashrrev_i32_e32 v7, 31, v13
	v_add_co_u32_e32 v9, vcc, v12, v7
	v_xor_b32_e32 v9, v9, v7
	v_addc_co_u32_e32 v11, vcc, v13, v7, vcc
	v_mad_u64_u32 v[14:15], s[0:1], v9, v5, 0
	v_mul_hi_u32 v13, v9, v3
	v_xor_b32_e32 v11, v11, v7
	v_add_co_u32_e32 v13, vcc, v13, v14
	v_addc_co_u32_e32 v18, vcc, 0, v15, vcc
	v_mad_u64_u32 v[16:17], s[0:1], v11, v3, 0
	v_add_co_u32_e32 v3, vcc, v13, v16
	v_mad_u64_u32 v[14:15], s[0:1], v11, v5, 0
	v_addc_co_u32_e32 v3, vcc, v18, v17, vcc
	v_addc_co_u32_e32 v5, vcc, 0, v15, vcc
	v_add_co_u32_e32 v3, vcc, v3, v14
	v_addc_co_u32_e32 v5, vcc, 0, v5, vcc
	v_mul_lo_u32 v13, s37, v3
	v_mul_lo_u32 v16, s36, v5
	v_mad_u64_u32 v[14:15], s[0:1], s36, v3, 0
	v_add3_u32 v13, v15, v16, v13
	v_sub_u32_e32 v15, v11, v13
	v_mov_b32_e32 v16, s37
	v_sub_co_u32_e32 v9, vcc, v9, v14
	v_subb_co_u32_e64 v14, s[0:1], v15, v16, vcc
	v_subrev_co_u32_e64 v15, s[0:1], s36, v9
	v_subbrev_co_u32_e64 v14, s[0:1], 0, v14, s[0:1]
	v_cmp_le_u32_e64 s[0:1], s37, v14
	v_cndmask_b32_e64 v16, 0, -1, s[0:1]
	v_cmp_le_u32_e64 s[0:1], s36, v15
	v_cndmask_b32_e64 v15, 0, -1, s[0:1]
	v_cmp_eq_u32_e64 s[0:1], s37, v14
	v_cndmask_b32_e64 v14, v16, v15, s[0:1]
	v_add_co_u32_e64 v15, s[0:1], 2, v3
	v_subb_co_u32_e32 v11, vcc, v11, v13, vcc
	v_addc_co_u32_e64 v16, s[0:1], 0, v5, s[0:1]
	v_cmp_le_u32_e32 vcc, s37, v11
	v_add_co_u32_e64 v17, s[0:1], 1, v3
	v_cndmask_b32_e64 v13, 0, -1, vcc
	v_cmp_le_u32_e32 vcc, s36, v9
	v_addc_co_u32_e64 v18, s[0:1], 0, v5, s[0:1]
	v_cndmask_b32_e64 v9, 0, -1, vcc
	v_cmp_eq_u32_e32 vcc, s37, v11
	v_cmp_ne_u32_e64 s[0:1], 0, v14
	v_cndmask_b32_e32 v9, v13, v9, vcc
	v_cmp_ne_u32_e32 vcc, 0, v9
	v_cndmask_b32_e64 v9, v17, v15, s[0:1]
	v_cndmask_b32_e64 v14, v18, v16, s[0:1]
	v_cndmask_b32_e32 v3, v3, v9, vcc
	v_xor_b32_e32 v9, s35, v7
	v_xor_b32_e32 v7, s34, v7
	v_cndmask_b32_e32 v5, v5, v14, vcc
	v_xor_b32_e32 v3, v3, v7
	v_xor_b32_e32 v5, v5, v9
	v_sub_co_u32_e32 v14, vcc, v3, v7
	v_subb_co_u32_e32 v15, vcc, v5, v9, vcc
.LBB101_20:                             ;   in Loop: Header=BB101_18 Depth=2
	s_andn2_saveexec_b64 s[0:1], s[6:7]
	s_cbranch_execz .LBB101_22
; %bb.21:                               ;   in Loop: Header=BB101_18 Depth=2
	v_cvt_f32_u32_e32 v3, s53
	s_sub_i32 s6, 0, s53
	v_mov_b32_e32 v15, v2
	v_rcp_iflag_f32_e32 v3, v3
	v_mul_f32_e32 v3, 0x4f7ffffe, v3
	v_cvt_u32_f32_e32 v3, v3
	v_mul_lo_u32 v5, s6, v3
	v_mul_hi_u32 v5, v3, v5
	v_add_u32_e32 v3, v3, v5
	v_mul_hi_u32 v3, v12, v3
	v_mul_lo_u32 v5, v3, s53
	v_sub_u32_e32 v5, v12, v5
	v_add_u32_e32 v7, 1, v3
	v_subrev_u32_e32 v9, s53, v5
	v_cmp_le_u32_e32 vcc, s53, v5
	v_cndmask_b32_e32 v5, v5, v9, vcc
	v_cndmask_b32_e32 v3, v3, v7, vcc
	v_add_u32_e32 v7, 1, v3
	v_cmp_le_u32_e32 vcc, s53, v5
	v_cndmask_b32_e32 v14, v3, v7, vcc
.LBB101_22:                             ;   in Loop: Header=BB101_18 Depth=2
	s_or_b64 exec, exec, s[0:1]
	s_add_u32 s0, s43, s2
	s_addc_u32 s1, s44, s3
	s_add_i32 s2, s24, -1
	s_mov_b32 s3, s25
	s_lshl_b64 s[6:7], s[2:3], 2
	s_add_u32 s2, s38, s6
	s_addc_u32 s3, s39, s7
	s_load_dword s54, s[2:3], 0x8
	s_load_dword s55, s[4:5], 0x6c
	;; [unrolled: 1-line block ×3, first 2 shown]
                                        ; implicit-def: $vgpr16_vgpr17
	s_waitcnt lgkmcnt(0)
	s_ashr_i32 s0, s54, 31
	v_or_b32_e32 v3, s0, v15
	v_cmp_ne_u64_e32 vcc, 0, v[2:3]
	s_and_saveexec_b64 s[4:5], vcc
	s_xor_b64 s[4:5], exec, s[4:5]
	s_cbranch_execz .LBB101_24
; %bb.23:                               ;   in Loop: Header=BB101_18 Depth=2
	s_add_u32 s36, s54, s0
	s_mov_b32 s34, s0
	s_mov_b32 s35, s0
	s_addc_u32 s37, s0, s0
	s_xor_b64 s[36:37], s[36:37], s[34:35]
	v_cvt_f32_u32_e32 v3, s36
	v_cvt_f32_u32_e32 v5, s37
	s_sub_u32 s0, 0, s36
	s_subb_u32 s1, 0, s37
	v_mac_f32_e32 v3, 0x4f800000, v5
	v_rcp_f32_e32 v3, v3
	v_mul_f32_e32 v3, 0x5f7ffffc, v3
	v_mul_f32_e32 v5, 0x2f800000, v3
	v_trunc_f32_e32 v5, v5
	v_mac_f32_e32 v3, 0xcf800000, v5
	v_cvt_u32_f32_e32 v5, v5
	v_cvt_u32_f32_e32 v3, v3
	v_mul_lo_u32 v7, s0, v5
	v_mul_hi_u32 v11, s0, v3
	v_mul_lo_u32 v9, s1, v3
	v_add_u32_e32 v7, v11, v7
	v_mul_lo_u32 v13, s0, v3
	v_add_u32_e32 v7, v7, v9
	v_mul_lo_u32 v11, v3, v7
	v_mul_hi_u32 v16, v3, v13
	v_mul_hi_u32 v9, v3, v7
	v_add_co_u32_e32 v11, vcc, v16, v11
	v_addc_co_u32_e32 v9, vcc, 0, v9, vcc
	v_mul_hi_u32 v17, v5, v13
	v_mul_lo_u32 v13, v5, v13
	v_add_co_u32_e32 v11, vcc, v11, v13
	v_mul_hi_u32 v16, v5, v7
	v_addc_co_u32_e32 v9, vcc, v9, v17, vcc
	v_addc_co_u32_e32 v11, vcc, 0, v16, vcc
	v_mul_lo_u32 v7, v5, v7
	v_add_co_u32_e32 v7, vcc, v9, v7
	v_addc_co_u32_e32 v9, vcc, 0, v11, vcc
	v_add_co_u32_e32 v3, vcc, v3, v7
	v_addc_co_u32_e32 v5, vcc, v5, v9, vcc
	v_mul_lo_u32 v7, s0, v5
	v_mul_hi_u32 v9, s0, v3
	v_add_u32_e32 v7, v9, v7
	v_mul_lo_u32 v9, s1, v3
	v_add_u32_e32 v7, v7, v9
	v_mul_lo_u32 v11, s0, v3
	v_mul_hi_u32 v13, v5, v11
	v_mul_lo_u32 v16, v5, v11
	v_mul_lo_u32 v18, v3, v7
	v_mul_hi_u32 v11, v3, v11
	v_mul_hi_u32 v17, v3, v7
	v_add_co_u32_e32 v11, vcc, v11, v18
	v_addc_co_u32_e32 v17, vcc, 0, v17, vcc
	v_add_co_u32_e32 v11, vcc, v11, v16
	v_mul_hi_u32 v9, v5, v7
	v_addc_co_u32_e32 v11, vcc, v17, v13, vcc
	v_addc_co_u32_e32 v9, vcc, 0, v9, vcc
	v_mul_lo_u32 v7, v5, v7
	v_add_co_u32_e32 v7, vcc, v11, v7
	v_addc_co_u32_e32 v9, vcc, 0, v9, vcc
	v_add_co_u32_e32 v3, vcc, v3, v7
	v_addc_co_u32_e32 v5, vcc, v5, v9, vcc
	v_ashrrev_i32_e32 v7, 31, v15
	v_add_co_u32_e32 v9, vcc, v14, v7
	v_xor_b32_e32 v9, v9, v7
	v_addc_co_u32_e32 v11, vcc, v15, v7, vcc
	v_mad_u64_u32 v[16:17], s[0:1], v9, v5, 0
	v_mul_hi_u32 v13, v9, v3
	v_xor_b32_e32 v11, v11, v7
	v_add_co_u32_e32 v13, vcc, v13, v16
	v_addc_co_u32_e32 v15, vcc, 0, v17, vcc
	v_mad_u64_u32 v[18:19], s[0:1], v11, v3, 0
	v_add_co_u32_e32 v3, vcc, v13, v18
	v_mad_u64_u32 v[16:17], s[0:1], v11, v5, 0
	v_addc_co_u32_e32 v3, vcc, v15, v19, vcc
	v_addc_co_u32_e32 v5, vcc, 0, v17, vcc
	v_add_co_u32_e32 v3, vcc, v3, v16
	v_addc_co_u32_e32 v5, vcc, 0, v5, vcc
	v_mul_lo_u32 v13, s37, v3
	v_mul_lo_u32 v15, s36, v5
	v_mad_u64_u32 v[16:17], s[0:1], s36, v3, 0
	v_add3_u32 v13, v17, v15, v13
	v_sub_u32_e32 v15, v11, v13
	v_mov_b32_e32 v17, s37
	v_sub_co_u32_e32 v9, vcc, v9, v16
	v_subb_co_u32_e64 v15, s[0:1], v15, v17, vcc
	v_subrev_co_u32_e64 v16, s[0:1], s36, v9
	v_subbrev_co_u32_e64 v15, s[0:1], 0, v15, s[0:1]
	v_cmp_le_u32_e64 s[0:1], s37, v15
	v_cndmask_b32_e64 v17, 0, -1, s[0:1]
	v_cmp_le_u32_e64 s[0:1], s36, v16
	v_cndmask_b32_e64 v16, 0, -1, s[0:1]
	v_cmp_eq_u32_e64 s[0:1], s37, v15
	v_cndmask_b32_e64 v15, v17, v16, s[0:1]
	v_add_co_u32_e64 v16, s[0:1], 2, v3
	v_subb_co_u32_e32 v11, vcc, v11, v13, vcc
	v_addc_co_u32_e64 v17, s[0:1], 0, v5, s[0:1]
	v_cmp_le_u32_e32 vcc, s37, v11
	v_add_co_u32_e64 v18, s[0:1], 1, v3
	v_cndmask_b32_e64 v13, 0, -1, vcc
	v_cmp_le_u32_e32 vcc, s36, v9
	v_addc_co_u32_e64 v19, s[0:1], 0, v5, s[0:1]
	v_cndmask_b32_e64 v9, 0, -1, vcc
	v_cmp_eq_u32_e32 vcc, s37, v11
	v_cmp_ne_u32_e64 s[0:1], 0, v15
	v_cndmask_b32_e32 v9, v13, v9, vcc
	v_cmp_ne_u32_e32 vcc, 0, v9
	v_cndmask_b32_e64 v9, v18, v16, s[0:1]
	v_cndmask_b32_e64 v15, v19, v17, s[0:1]
	v_cndmask_b32_e32 v3, v3, v9, vcc
	v_xor_b32_e32 v9, s35, v7
	v_xor_b32_e32 v7, s34, v7
	v_cndmask_b32_e32 v5, v5, v15, vcc
	v_xor_b32_e32 v3, v3, v7
	v_xor_b32_e32 v5, v5, v9
	v_sub_co_u32_e32 v16, vcc, v3, v7
	v_subb_co_u32_e32 v17, vcc, v5, v9, vcc
.LBB101_24:                             ;   in Loop: Header=BB101_18 Depth=2
	s_andn2_saveexec_b64 s[0:1], s[4:5]
	s_cbranch_execz .LBB101_26
; %bb.25:                               ;   in Loop: Header=BB101_18 Depth=2
	v_cvt_f32_u32_e32 v3, s54
	s_sub_i32 s4, 0, s54
	v_mov_b32_e32 v17, v2
	v_rcp_iflag_f32_e32 v3, v3
	v_mul_f32_e32 v3, 0x4f7ffffe, v3
	v_cvt_u32_f32_e32 v3, v3
	v_mul_lo_u32 v5, s4, v3
	v_mul_hi_u32 v5, v3, v5
	v_add_u32_e32 v3, v3, v5
	v_mul_hi_u32 v3, v14, v3
	v_mul_lo_u32 v5, v3, s54
	v_sub_u32_e32 v5, v14, v5
	v_add_u32_e32 v7, 1, v3
	v_subrev_u32_e32 v9, s54, v5
	v_cmp_le_u32_e32 vcc, s54, v5
	v_cndmask_b32_e32 v5, v5, v9, vcc
	v_cndmask_b32_e32 v3, v3, v7, vcc
	v_add_u32_e32 v7, 1, v3
	v_cmp_le_u32_e32 vcc, s54, v5
	v_cndmask_b32_e32 v16, v3, v7, vcc
.LBB101_26:                             ;   in Loop: Header=BB101_18 Depth=2
	s_or_b64 exec, exec, s[0:1]
	s_add_u32 s0, s43, s6
	s_addc_u32 s1, s44, s7
	s_add_i32 s4, s24, -2
	s_mov_b32 s5, s25
	s_lshl_b64 s[4:5], s[4:5], 2
	s_add_u32 s6, s38, s4
	s_addc_u32 s7, s39, s5
	s_load_dword s57, s[6:7], 0x8
	s_load_dword s59, s[2:3], 0x6c
	;; [unrolled: 1-line block ×3, first 2 shown]
                                        ; implicit-def: $vgpr18_vgpr19
	s_waitcnt lgkmcnt(0)
	s_ashr_i32 s0, s57, 31
	v_or_b32_e32 v3, s0, v17
	v_cmp_ne_u64_e32 vcc, 0, v[2:3]
	s_and_saveexec_b64 s[2:3], vcc
	s_xor_b64 s[2:3], exec, s[2:3]
	s_cbranch_execz .LBB101_28
; %bb.27:                               ;   in Loop: Header=BB101_18 Depth=2
	s_add_u32 s36, s57, s0
	s_mov_b32 s34, s0
	s_mov_b32 s35, s0
	s_addc_u32 s37, s0, s0
	s_xor_b64 s[36:37], s[36:37], s[34:35]
	v_cvt_f32_u32_e32 v3, s36
	v_cvt_f32_u32_e32 v5, s37
	s_sub_u32 s0, 0, s36
	s_subb_u32 s1, 0, s37
	v_mac_f32_e32 v3, 0x4f800000, v5
	v_rcp_f32_e32 v3, v3
	v_mul_f32_e32 v3, 0x5f7ffffc, v3
	v_mul_f32_e32 v5, 0x2f800000, v3
	v_trunc_f32_e32 v5, v5
	v_mac_f32_e32 v3, 0xcf800000, v5
	v_cvt_u32_f32_e32 v5, v5
	v_cvt_u32_f32_e32 v3, v3
	v_mul_lo_u32 v7, s0, v5
	v_mul_hi_u32 v11, s0, v3
	v_mul_lo_u32 v9, s1, v3
	v_add_u32_e32 v7, v11, v7
	v_mul_lo_u32 v13, s0, v3
	v_add_u32_e32 v7, v7, v9
	v_mul_lo_u32 v11, v3, v7
	v_mul_hi_u32 v15, v3, v13
	v_mul_hi_u32 v9, v3, v7
	v_add_co_u32_e32 v11, vcc, v15, v11
	v_addc_co_u32_e32 v9, vcc, 0, v9, vcc
	v_mul_hi_u32 v18, v5, v13
	v_mul_lo_u32 v13, v5, v13
	v_add_co_u32_e32 v11, vcc, v11, v13
	v_mul_hi_u32 v15, v5, v7
	v_addc_co_u32_e32 v9, vcc, v9, v18, vcc
	v_addc_co_u32_e32 v11, vcc, 0, v15, vcc
	v_mul_lo_u32 v7, v5, v7
	v_add_co_u32_e32 v7, vcc, v9, v7
	v_addc_co_u32_e32 v9, vcc, 0, v11, vcc
	v_add_co_u32_e32 v3, vcc, v3, v7
	v_addc_co_u32_e32 v5, vcc, v5, v9, vcc
	v_mul_lo_u32 v7, s0, v5
	v_mul_hi_u32 v9, s0, v3
	v_add_u32_e32 v7, v9, v7
	v_mul_lo_u32 v9, s1, v3
	v_add_u32_e32 v7, v7, v9
	v_mul_lo_u32 v11, s0, v3
	v_mul_hi_u32 v13, v5, v11
	v_mul_lo_u32 v15, v5, v11
	v_mul_lo_u32 v19, v3, v7
	v_mul_hi_u32 v11, v3, v11
	v_mul_hi_u32 v18, v3, v7
	v_add_co_u32_e32 v11, vcc, v11, v19
	v_addc_co_u32_e32 v18, vcc, 0, v18, vcc
	v_add_co_u32_e32 v11, vcc, v11, v15
	v_mul_hi_u32 v9, v5, v7
	v_addc_co_u32_e32 v11, vcc, v18, v13, vcc
	v_addc_co_u32_e32 v9, vcc, 0, v9, vcc
	v_mul_lo_u32 v7, v5, v7
	v_add_co_u32_e32 v7, vcc, v11, v7
	v_addc_co_u32_e32 v9, vcc, 0, v9, vcc
	v_add_co_u32_e32 v3, vcc, v3, v7
	v_addc_co_u32_e32 v5, vcc, v5, v9, vcc
	v_ashrrev_i32_e32 v7, 31, v17
	v_add_co_u32_e32 v9, vcc, v16, v7
	v_xor_b32_e32 v9, v9, v7
	v_addc_co_u32_e32 v11, vcc, v17, v7, vcc
	v_mad_u64_u32 v[18:19], s[0:1], v9, v5, 0
	v_mul_hi_u32 v13, v9, v3
	v_xor_b32_e32 v11, v11, v7
	v_add_co_u32_e32 v13, vcc, v13, v18
	v_addc_co_u32_e32 v15, vcc, 0, v19, vcc
	v_mad_u64_u32 v[20:21], s[0:1], v11, v3, 0
	v_add_co_u32_e32 v3, vcc, v13, v20
	v_mad_u64_u32 v[18:19], s[0:1], v11, v5, 0
	v_addc_co_u32_e32 v3, vcc, v15, v21, vcc
	v_addc_co_u32_e32 v5, vcc, 0, v19, vcc
	v_add_co_u32_e32 v3, vcc, v3, v18
	v_addc_co_u32_e32 v5, vcc, 0, v5, vcc
	v_mul_lo_u32 v13, s37, v3
	v_mul_lo_u32 v15, s36, v5
	v_mad_u64_u32 v[18:19], s[0:1], s36, v3, 0
	v_add3_u32 v13, v19, v15, v13
	v_sub_u32_e32 v15, v11, v13
	v_mov_b32_e32 v17, s37
	v_sub_co_u32_e32 v9, vcc, v9, v18
	v_subb_co_u32_e64 v15, s[0:1], v15, v17, vcc
	v_subrev_co_u32_e64 v17, s[0:1], s36, v9
	v_subbrev_co_u32_e64 v15, s[0:1], 0, v15, s[0:1]
	v_cmp_le_u32_e64 s[0:1], s37, v15
	v_cndmask_b32_e64 v18, 0, -1, s[0:1]
	v_cmp_le_u32_e64 s[0:1], s36, v17
	v_cndmask_b32_e64 v17, 0, -1, s[0:1]
	v_cmp_eq_u32_e64 s[0:1], s37, v15
	v_cndmask_b32_e64 v15, v18, v17, s[0:1]
	v_add_co_u32_e64 v17, s[0:1], 2, v3
	v_subb_co_u32_e32 v11, vcc, v11, v13, vcc
	v_addc_co_u32_e64 v18, s[0:1], 0, v5, s[0:1]
	v_cmp_le_u32_e32 vcc, s37, v11
	v_add_co_u32_e64 v19, s[0:1], 1, v3
	v_cndmask_b32_e64 v13, 0, -1, vcc
	v_cmp_le_u32_e32 vcc, s36, v9
	v_addc_co_u32_e64 v20, s[0:1], 0, v5, s[0:1]
	v_cndmask_b32_e64 v9, 0, -1, vcc
	v_cmp_eq_u32_e32 vcc, s37, v11
	v_cmp_ne_u32_e64 s[0:1], 0, v15
	v_cndmask_b32_e32 v9, v13, v9, vcc
	v_cmp_ne_u32_e32 vcc, 0, v9
	v_cndmask_b32_e64 v9, v19, v17, s[0:1]
	v_cndmask_b32_e64 v15, v20, v18, s[0:1]
	v_cndmask_b32_e32 v3, v3, v9, vcc
	v_xor_b32_e32 v9, s35, v7
	v_xor_b32_e32 v7, s34, v7
	v_cndmask_b32_e32 v5, v5, v15, vcc
	v_xor_b32_e32 v3, v3, v7
	v_xor_b32_e32 v5, v5, v9
	v_sub_co_u32_e32 v18, vcc, v3, v7
	v_subb_co_u32_e32 v19, vcc, v5, v9, vcc
.LBB101_28:                             ;   in Loop: Header=BB101_18 Depth=2
	s_andn2_saveexec_b64 s[0:1], s[2:3]
	s_cbranch_execz .LBB101_30
; %bb.29:                               ;   in Loop: Header=BB101_18 Depth=2
	v_cvt_f32_u32_e32 v3, s57
	s_sub_i32 s2, 0, s57
	v_mov_b32_e32 v19, v2
	v_rcp_iflag_f32_e32 v3, v3
	v_mul_f32_e32 v3, 0x4f7ffffe, v3
	v_cvt_u32_f32_e32 v3, v3
	v_mul_lo_u32 v5, s2, v3
	v_mul_hi_u32 v5, v3, v5
	v_add_u32_e32 v3, v3, v5
	v_mul_hi_u32 v3, v16, v3
	v_mul_lo_u32 v5, v3, s57
	v_sub_u32_e32 v5, v16, v5
	v_add_u32_e32 v7, 1, v3
	v_subrev_u32_e32 v9, s57, v5
	v_cmp_le_u32_e32 vcc, s57, v5
	v_cndmask_b32_e32 v5, v5, v9, vcc
	v_cndmask_b32_e32 v3, v3, v7, vcc
	v_add_u32_e32 v7, 1, v3
	v_cmp_le_u32_e32 vcc, s57, v5
	v_cndmask_b32_e32 v18, v3, v7, vcc
.LBB101_30:                             ;   in Loop: Header=BB101_18 Depth=2
	s_or_b64 exec, exec, s[0:1]
	s_add_u32 s0, s43, s4
	s_addc_u32 s1, s44, s5
	s_add_i32 s2, s24, -3
	s_mov_b32 s3, s25
	s_lshl_b64 s[2:3], s[2:3], 2
	s_add_u32 s4, s38, s2
	s_addc_u32 s5, s39, s3
	s_load_dword s60, s[4:5], 0x8
	s_load_dword s61, s[6:7], 0x6c
	s_load_dword s62, s[0:1], 0x0
                                        ; implicit-def: $vgpr20_vgpr21
	s_waitcnt lgkmcnt(0)
	s_ashr_i32 s0, s60, 31
	v_or_b32_e32 v3, s0, v19
	v_cmp_ne_u64_e32 vcc, 0, v[2:3]
	s_and_saveexec_b64 s[6:7], vcc
	s_xor_b64 s[6:7], exec, s[6:7]
	s_cbranch_execz .LBB101_32
; %bb.31:                               ;   in Loop: Header=BB101_18 Depth=2
	s_add_u32 s36, s60, s0
	s_mov_b32 s34, s0
	s_mov_b32 s35, s0
	s_addc_u32 s37, s0, s0
	s_xor_b64 s[36:37], s[36:37], s[34:35]
	v_cvt_f32_u32_e32 v3, s36
	v_cvt_f32_u32_e32 v5, s37
	s_sub_u32 s0, 0, s36
	s_subb_u32 s1, 0, s37
	v_mac_f32_e32 v3, 0x4f800000, v5
	v_rcp_f32_e32 v3, v3
	v_mul_f32_e32 v3, 0x5f7ffffc, v3
	v_mul_f32_e32 v5, 0x2f800000, v3
	v_trunc_f32_e32 v5, v5
	v_mac_f32_e32 v3, 0xcf800000, v5
	v_cvt_u32_f32_e32 v5, v5
	v_cvt_u32_f32_e32 v3, v3
	v_mul_lo_u32 v7, s0, v5
	v_mul_hi_u32 v11, s0, v3
	v_mul_lo_u32 v9, s1, v3
	v_add_u32_e32 v7, v11, v7
	v_mul_lo_u32 v13, s0, v3
	v_add_u32_e32 v7, v7, v9
	v_mul_lo_u32 v11, v3, v7
	v_mul_hi_u32 v15, v3, v13
	v_mul_hi_u32 v9, v3, v7
	v_add_co_u32_e32 v11, vcc, v15, v11
	v_addc_co_u32_e32 v9, vcc, 0, v9, vcc
	v_mul_hi_u32 v17, v5, v13
	v_mul_lo_u32 v13, v5, v13
	v_add_co_u32_e32 v11, vcc, v11, v13
	v_mul_hi_u32 v15, v5, v7
	v_addc_co_u32_e32 v9, vcc, v9, v17, vcc
	v_addc_co_u32_e32 v11, vcc, 0, v15, vcc
	v_mul_lo_u32 v7, v5, v7
	v_add_co_u32_e32 v7, vcc, v9, v7
	v_addc_co_u32_e32 v9, vcc, 0, v11, vcc
	v_add_co_u32_e32 v3, vcc, v3, v7
	v_addc_co_u32_e32 v5, vcc, v5, v9, vcc
	v_mul_lo_u32 v7, s0, v5
	v_mul_hi_u32 v9, s0, v3
	v_add_u32_e32 v7, v9, v7
	v_mul_lo_u32 v9, s1, v3
	v_add_u32_e32 v7, v7, v9
	v_mul_lo_u32 v11, s0, v3
	v_mul_hi_u32 v13, v5, v11
	v_mul_lo_u32 v15, v5, v11
	v_mul_lo_u32 v20, v3, v7
	v_mul_hi_u32 v11, v3, v11
	v_mul_hi_u32 v17, v3, v7
	v_add_co_u32_e32 v11, vcc, v11, v20
	v_addc_co_u32_e32 v17, vcc, 0, v17, vcc
	v_add_co_u32_e32 v11, vcc, v11, v15
	v_mul_hi_u32 v9, v5, v7
	v_addc_co_u32_e32 v11, vcc, v17, v13, vcc
	v_addc_co_u32_e32 v9, vcc, 0, v9, vcc
	v_mul_lo_u32 v7, v5, v7
	v_add_co_u32_e32 v7, vcc, v11, v7
	v_addc_co_u32_e32 v9, vcc, 0, v9, vcc
	v_add_co_u32_e32 v3, vcc, v3, v7
	v_addc_co_u32_e32 v5, vcc, v5, v9, vcc
	v_ashrrev_i32_e32 v7, 31, v19
	v_add_co_u32_e32 v9, vcc, v18, v7
	v_xor_b32_e32 v9, v9, v7
	v_addc_co_u32_e32 v11, vcc, v19, v7, vcc
	v_mad_u64_u32 v[20:21], s[0:1], v9, v5, 0
	v_mul_hi_u32 v13, v9, v3
	v_xor_b32_e32 v11, v11, v7
	v_add_co_u32_e32 v13, vcc, v13, v20
	v_addc_co_u32_e32 v15, vcc, 0, v21, vcc
	v_mad_u64_u32 v[24:25], s[0:1], v11, v3, 0
	v_add_co_u32_e32 v3, vcc, v13, v24
	v_mad_u64_u32 v[20:21], s[0:1], v11, v5, 0
	v_addc_co_u32_e32 v3, vcc, v15, v25, vcc
	v_addc_co_u32_e32 v5, vcc, 0, v21, vcc
	v_add_co_u32_e32 v3, vcc, v3, v20
	v_addc_co_u32_e32 v5, vcc, 0, v5, vcc
	v_mul_lo_u32 v13, s37, v3
	v_mul_lo_u32 v15, s36, v5
	v_mad_u64_u32 v[20:21], s[0:1], s36, v3, 0
	v_add3_u32 v13, v21, v15, v13
	v_sub_u32_e32 v15, v11, v13
	v_mov_b32_e32 v17, s37
	v_sub_co_u32_e32 v9, vcc, v9, v20
	v_subb_co_u32_e64 v15, s[0:1], v15, v17, vcc
	v_subrev_co_u32_e64 v17, s[0:1], s36, v9
	v_subbrev_co_u32_e64 v15, s[0:1], 0, v15, s[0:1]
	v_cmp_le_u32_e64 s[0:1], s37, v15
	v_cndmask_b32_e64 v19, 0, -1, s[0:1]
	v_cmp_le_u32_e64 s[0:1], s36, v17
	v_cndmask_b32_e64 v17, 0, -1, s[0:1]
	v_cmp_eq_u32_e64 s[0:1], s37, v15
	v_cndmask_b32_e64 v15, v19, v17, s[0:1]
	v_add_co_u32_e64 v17, s[0:1], 2, v3
	v_subb_co_u32_e32 v11, vcc, v11, v13, vcc
	v_addc_co_u32_e64 v19, s[0:1], 0, v5, s[0:1]
	v_cmp_le_u32_e32 vcc, s37, v11
	v_add_co_u32_e64 v20, s[0:1], 1, v3
	v_cndmask_b32_e64 v13, 0, -1, vcc
	v_cmp_le_u32_e32 vcc, s36, v9
	v_addc_co_u32_e64 v21, s[0:1], 0, v5, s[0:1]
	v_cndmask_b32_e64 v9, 0, -1, vcc
	v_cmp_eq_u32_e32 vcc, s37, v11
	v_cmp_ne_u32_e64 s[0:1], 0, v15
	v_cndmask_b32_e32 v9, v13, v9, vcc
	v_cmp_ne_u32_e32 vcc, 0, v9
	v_cndmask_b32_e64 v9, v20, v17, s[0:1]
	v_cndmask_b32_e64 v15, v21, v19, s[0:1]
	v_cndmask_b32_e32 v3, v3, v9, vcc
	v_xor_b32_e32 v9, s35, v7
	v_xor_b32_e32 v7, s34, v7
	v_cndmask_b32_e32 v5, v5, v15, vcc
	v_xor_b32_e32 v3, v3, v7
	v_xor_b32_e32 v5, v5, v9
	v_sub_co_u32_e32 v20, vcc, v3, v7
	v_subb_co_u32_e32 v21, vcc, v5, v9, vcc
.LBB101_32:                             ;   in Loop: Header=BB101_18 Depth=2
	s_andn2_saveexec_b64 s[0:1], s[6:7]
	s_cbranch_execz .LBB101_34
; %bb.33:                               ;   in Loop: Header=BB101_18 Depth=2
	v_cvt_f32_u32_e32 v3, s60
	s_sub_i32 s6, 0, s60
	v_mov_b32_e32 v21, v2
	v_rcp_iflag_f32_e32 v3, v3
	v_mul_f32_e32 v3, 0x4f7ffffe, v3
	v_cvt_u32_f32_e32 v3, v3
	v_mul_lo_u32 v5, s6, v3
	v_mul_hi_u32 v5, v3, v5
	v_add_u32_e32 v3, v3, v5
	v_mul_hi_u32 v3, v18, v3
	v_mul_lo_u32 v5, v3, s60
	v_sub_u32_e32 v5, v18, v5
	v_add_u32_e32 v7, 1, v3
	v_subrev_u32_e32 v9, s60, v5
	v_cmp_le_u32_e32 vcc, s60, v5
	v_cndmask_b32_e32 v5, v5, v9, vcc
	v_cndmask_b32_e32 v3, v3, v7, vcc
	v_add_u32_e32 v7, 1, v3
	v_cmp_le_u32_e32 vcc, s60, v5
	v_cndmask_b32_e32 v20, v3, v7, vcc
.LBB101_34:                             ;   in Loop: Header=BB101_18 Depth=2
	s_or_b64 exec, exec, s[0:1]
	s_add_u32 s0, s43, s2
	v_mul_lo_u32 v3, v14, s53
	v_mul_lo_u32 v7, v16, s54
	s_load_dword s2, s[4:5], 0x6c
	s_addc_u32 s1, s44, s3
	s_load_dword s0, s[0:1], 0x0
	v_sub_u32_e32 v3, v12, v3
	v_sub_u32_e32 v7, v14, v7
	v_mul_lo_u32 v5, s55, v3
	v_mul_lo_u32 v3, s56, v3
	;; [unrolled: 1-line block ×4, first 2 shown]
	v_add3_u32 v5, v5, v10, v9
	v_add3_u32 v3, v3, v6, v7
	v_mul_lo_u32 v6, v18, s57
	v_mul_lo_u32 v9, v20, s60
	v_sub_u32_e32 v6, v16, v6
	v_sub_u32_e32 v9, v18, v9
	v_mul_lo_u32 v7, s61, v6
	s_waitcnt lgkmcnt(0)
	v_mul_lo_u32 v10, s2, v9
	v_mul_lo_u32 v6, s62, v6
	v_add3_u32 v10, v7, v5, v10
	v_mul_lo_u32 v5, s0, v9
	s_add_i32 s24, s24, -4
	s_cmp_eq_u32 s24, -1
	v_add3_u32 v6, v6, v3, v5
	s_cbranch_scc1 .LBB101_41
; %bb.35:                               ;   in Loop: Header=BB101_18 Depth=2
	v_pk_mov_b32 v[12:13], v[20:21], v[20:21] op_sel:[0,1]
	s_branch .LBB101_18
.LBB101_36:                             ;   in Loop: Header=BB101_37 Depth=2
	s_or_b64 exec, exec, s[0:1]
	s_load_dword s4, s[4:5], 0x6c
	s_add_u32 s0, s43, s2
	s_addc_u32 s1, s44, s3
	s_load_dword s2, s[0:1], 0x0
	v_mul_lo_u32 v3, v12, s54
	v_sub_u32_e32 v3, v14, v3
	s_waitcnt lgkmcnt(0)
	v_mad_u64_u32 v[10:11], s[0:1], s4, v3, v[10:11]
	s_add_i32 s24, s24, -1
	s_xor_b32 s0, s48, s53
	s_add_i32 s53, s53, 1
	s_cmp_lg_u32 s0, 2
	v_mad_u64_u32 v[6:7], s[0:1], s2, v3, v[6:7]
	s_cbranch_scc0 .LBB101_17
.LBB101_37:                             ;   Parent Loop BB101_3 Depth=1
                                        ; =>  This Inner Loop Header: Depth=2
	s_lshl_b64 s[2:3], s[24:25], 2
	s_add_u32 s4, s38, s2
	s_addc_u32 s5, s39, s3
	s_load_dword s54, s[4:5], 0x8
	v_pk_mov_b32 v[14:15], v[12:13], v[12:13] op_sel:[0,1]
                                        ; implicit-def: $vgpr12_vgpr13
	s_waitcnt lgkmcnt(0)
	s_ashr_i32 s0, s54, 31
	v_or_b32_e32 v3, s0, v15
	v_cmp_ne_u64_e32 vcc, 0, v[2:3]
	s_and_saveexec_b64 s[6:7], vcc
	s_xor_b64 s[6:7], exec, s[6:7]
	s_cbranch_execz .LBB101_39
; %bb.38:                               ;   in Loop: Header=BB101_37 Depth=2
	s_add_u32 s36, s54, s0
	s_mov_b32 s34, s0
	s_mov_b32 s35, s0
	s_addc_u32 s37, s0, s0
	s_xor_b64 s[36:37], s[36:37], s[34:35]
	v_cvt_f32_u32_e32 v3, s36
	v_cvt_f32_u32_e32 v5, s37
	s_sub_u32 s0, 0, s36
	s_subb_u32 s1, 0, s37
	v_mac_f32_e32 v3, 0x4f800000, v5
	v_rcp_f32_e32 v3, v3
	v_mul_f32_e32 v3, 0x5f7ffffc, v3
	v_mul_f32_e32 v5, 0x2f800000, v3
	v_trunc_f32_e32 v5, v5
	v_mac_f32_e32 v3, 0xcf800000, v5
	v_cvt_u32_f32_e32 v5, v5
	v_cvt_u32_f32_e32 v3, v3
	v_mul_lo_u32 v7, s0, v5
	v_mul_hi_u32 v11, s0, v3
	v_mul_lo_u32 v9, s1, v3
	v_add_u32_e32 v7, v11, v7
	v_mul_lo_u32 v12, s0, v3
	v_add_u32_e32 v7, v7, v9
	v_mul_lo_u32 v11, v3, v7
	v_mul_hi_u32 v13, v3, v12
	v_mul_hi_u32 v9, v3, v7
	v_add_co_u32_e32 v11, vcc, v13, v11
	v_addc_co_u32_e32 v9, vcc, 0, v9, vcc
	v_mul_hi_u32 v16, v5, v12
	v_mul_lo_u32 v12, v5, v12
	v_add_co_u32_e32 v11, vcc, v11, v12
	v_mul_hi_u32 v13, v5, v7
	v_addc_co_u32_e32 v9, vcc, v9, v16, vcc
	v_addc_co_u32_e32 v11, vcc, 0, v13, vcc
	v_mul_lo_u32 v7, v5, v7
	v_add_co_u32_e32 v7, vcc, v9, v7
	v_addc_co_u32_e32 v9, vcc, 0, v11, vcc
	v_add_co_u32_e32 v3, vcc, v3, v7
	v_addc_co_u32_e32 v5, vcc, v5, v9, vcc
	v_mul_lo_u32 v7, s0, v5
	v_mul_hi_u32 v9, s0, v3
	v_add_u32_e32 v7, v9, v7
	v_mul_lo_u32 v9, s1, v3
	v_add_u32_e32 v7, v7, v9
	v_mul_lo_u32 v11, s0, v3
	v_mul_hi_u32 v12, v5, v11
	v_mul_lo_u32 v13, v5, v11
	v_mul_lo_u32 v17, v3, v7
	v_mul_hi_u32 v11, v3, v11
	v_mul_hi_u32 v16, v3, v7
	v_add_co_u32_e32 v11, vcc, v11, v17
	v_addc_co_u32_e32 v16, vcc, 0, v16, vcc
	v_add_co_u32_e32 v11, vcc, v11, v13
	v_mul_hi_u32 v9, v5, v7
	v_addc_co_u32_e32 v11, vcc, v16, v12, vcc
	v_addc_co_u32_e32 v9, vcc, 0, v9, vcc
	v_mul_lo_u32 v7, v5, v7
	v_add_co_u32_e32 v7, vcc, v11, v7
	v_addc_co_u32_e32 v9, vcc, 0, v9, vcc
	v_add_co_u32_e32 v3, vcc, v3, v7
	v_addc_co_u32_e32 v5, vcc, v5, v9, vcc
	v_ashrrev_i32_e32 v7, 31, v15
	v_add_co_u32_e32 v9, vcc, v14, v7
	v_xor_b32_e32 v9, v9, v7
	v_addc_co_u32_e32 v11, vcc, v15, v7, vcc
	v_mad_u64_u32 v[12:13], s[0:1], v9, v5, 0
	v_mul_hi_u32 v15, v9, v3
	v_xor_b32_e32 v11, v11, v7
	v_add_co_u32_e32 v15, vcc, v15, v12
	v_addc_co_u32_e32 v18, vcc, 0, v13, vcc
	v_mad_u64_u32 v[16:17], s[0:1], v11, v3, 0
	v_add_co_u32_e32 v3, vcc, v15, v16
	v_mad_u64_u32 v[12:13], s[0:1], v11, v5, 0
	v_addc_co_u32_e32 v3, vcc, v18, v17, vcc
	v_addc_co_u32_e32 v5, vcc, 0, v13, vcc
	v_add_co_u32_e32 v3, vcc, v3, v12
	v_addc_co_u32_e32 v5, vcc, 0, v5, vcc
	v_mul_lo_u32 v15, s37, v3
	v_mul_lo_u32 v16, s36, v5
	v_mad_u64_u32 v[12:13], s[0:1], s36, v3, 0
	v_add3_u32 v13, v13, v16, v15
	v_sub_u32_e32 v15, v11, v13
	v_mov_b32_e32 v16, s37
	v_sub_co_u32_e32 v9, vcc, v9, v12
	v_subb_co_u32_e64 v12, s[0:1], v15, v16, vcc
	v_subrev_co_u32_e64 v15, s[0:1], s36, v9
	v_subbrev_co_u32_e64 v12, s[0:1], 0, v12, s[0:1]
	v_cmp_le_u32_e64 s[0:1], s37, v12
	v_cndmask_b32_e64 v16, 0, -1, s[0:1]
	v_cmp_le_u32_e64 s[0:1], s36, v15
	v_cndmask_b32_e64 v15, 0, -1, s[0:1]
	v_cmp_eq_u32_e64 s[0:1], s37, v12
	v_cndmask_b32_e64 v12, v16, v15, s[0:1]
	v_add_co_u32_e64 v15, s[0:1], 2, v3
	v_subb_co_u32_e32 v11, vcc, v11, v13, vcc
	v_addc_co_u32_e64 v16, s[0:1], 0, v5, s[0:1]
	v_cmp_le_u32_e32 vcc, s37, v11
	v_add_co_u32_e64 v17, s[0:1], 1, v3
	v_cndmask_b32_e64 v13, 0, -1, vcc
	v_cmp_le_u32_e32 vcc, s36, v9
	v_addc_co_u32_e64 v18, s[0:1], 0, v5, s[0:1]
	v_cndmask_b32_e64 v9, 0, -1, vcc
	v_cmp_eq_u32_e32 vcc, s37, v11
	v_cmp_ne_u32_e64 s[0:1], 0, v12
	v_cndmask_b32_e32 v9, v13, v9, vcc
	v_cmp_ne_u32_e32 vcc, 0, v9
	v_cndmask_b32_e64 v9, v17, v15, s[0:1]
	v_cndmask_b32_e64 v12, v18, v16, s[0:1]
	v_cndmask_b32_e32 v3, v3, v9, vcc
	v_xor_b32_e32 v9, s35, v7
	v_xor_b32_e32 v7, s34, v7
	v_cndmask_b32_e32 v5, v5, v12, vcc
	v_xor_b32_e32 v3, v3, v7
	v_xor_b32_e32 v5, v5, v9
	v_sub_co_u32_e32 v12, vcc, v3, v7
	v_subb_co_u32_e32 v13, vcc, v5, v9, vcc
.LBB101_39:                             ;   in Loop: Header=BB101_37 Depth=2
	s_andn2_saveexec_b64 s[0:1], s[6:7]
	s_cbranch_execz .LBB101_36
; %bb.40:                               ;   in Loop: Header=BB101_37 Depth=2
	v_cvt_f32_u32_e32 v3, s54
	s_sub_i32 s6, 0, s54
	v_mov_b32_e32 v13, v2
	v_rcp_iflag_f32_e32 v3, v3
	v_mul_f32_e32 v3, 0x4f7ffffe, v3
	v_cvt_u32_f32_e32 v3, v3
	v_mul_lo_u32 v5, s6, v3
	v_mul_hi_u32 v5, v3, v5
	v_add_u32_e32 v3, v3, v5
	v_mul_hi_u32 v3, v14, v3
	v_mul_lo_u32 v5, v3, s54
	v_sub_u32_e32 v5, v14, v5
	v_add_u32_e32 v7, 1, v3
	v_subrev_u32_e32 v9, s54, v5
	v_cmp_le_u32_e32 vcc, s54, v5
	v_cndmask_b32_e32 v5, v5, v9, vcc
	v_cndmask_b32_e32 v3, v3, v7, vcc
	v_add_u32_e32 v7, 1, v3
	v_cmp_le_u32_e32 vcc, s54, v5
	v_cndmask_b32_e32 v12, v3, v7, vcc
	s_branch .LBB101_36
.LBB101_41:                             ;   in Loop: Header=BB101_3 Depth=1
	v_mov_b32_e32 v3, v4
	v_sub_u32_e32 v4, v4, v8
	v_add_u32_e32 v4, 4, v4
	v_ashrrev_i32_e32 v5, 31, v4
	v_cmp_le_i64_e32 vcc, s[8:9], v[4:5]
                                        ; implicit-def: $vgpr7
	s_and_saveexec_b64 s[0:1], vcc
	s_xor_b64 s[34:35], exec, s[0:1]
	s_cbranch_execnz .LBB101_44
; %bb.42:                               ;   in Loop: Header=BB101_3 Depth=1
	s_andn2_saveexec_b64 s[0:1], s[34:35]
	s_cbranch_execnz .LBB101_53
.LBB101_43:                             ;   in Loop: Header=BB101_3 Depth=1
	s_or_b64 exec, exec, s[0:1]
	v_cmp_gt_i32_e32 vcc, s15, v3
	s_and_saveexec_b64 s[0:1], vcc
	s_cbranch_execz .LBB101_2
	s_branch .LBB101_54
.LBB101_44:                             ;   in Loop: Header=BB101_3 Depth=1
	v_cmp_gt_i32_e32 vcc, s15, v3
	v_mov_b32_e32 v7, 0
	s_and_saveexec_b64 s[0:1], vcc
	s_cbranch_execz .LBB101_52
; %bb.45:                               ;   in Loop: Header=BB101_3 Depth=1
	v_ashrrev_i32_e32 v5, 31, v10
	v_mov_b32_e32 v7, s13
	v_add_co_u32_e32 v4, vcc, s12, v10
	v_addc_co_u32_e32 v5, vcc, v7, v5, vcc
	global_load_ubyte v7, v[4:5], off
	v_add_u32_e32 v9, 1, v3
	v_cmp_gt_i32_e32 vcc, s15, v9
	s_and_saveexec_b64 s[2:3], vcc
	s_xor_b64 s[2:3], exec, s[2:3]
	s_cbranch_execz .LBB101_51
; %bb.46:                               ;   in Loop: Header=BB101_3 Depth=1
	v_mov_b32_e32 v9, s49
	v_add_co_u32_e32 v4, vcc, s50, v4
	v_addc_co_u32_e32 v5, vcc, v5, v9, vcc
	global_load_ubyte v4, v[4:5], off
	v_add_u32_e32 v5, 2, v3
	v_cmp_gt_i32_e32 vcc, s15, v5
	s_waitcnt vmcnt(0)
	v_lshlrev_b16_e32 v4, 8, v4
	v_or_b32_e32 v4, v7, v4
	v_and_b32_e32 v7, 0xffff, v4
	s_and_saveexec_b64 s[4:5], vcc
	s_xor_b64 s[4:5], exec, s[4:5]
	s_cbranch_execz .LBB101_50
; %bb.47:                               ;   in Loop: Header=BB101_3 Depth=1
	s_add_i32 s6, s50, s50
	v_add_u32_e32 v4, s6, v10
	v_ashrrev_i32_e32 v5, 31, v4
	v_mov_b32_e32 v9, s13
	v_add_co_u32_e32 v10, vcc, s12, v4
	v_addc_co_u32_e32 v11, vcc, v9, v5, vcc
	global_load_ubyte v5, v[10:11], off
	v_add_u32_e32 v9, 3, v3
	v_cmp_gt_i32_e32 vcc, s15, v9
	s_waitcnt vmcnt(0)
	v_lshl_or_b32 v7, v5, 16, v7
	s_and_saveexec_b64 s[6:7], vcc
	s_xor_b64 s[6:7], exec, s[6:7]
	s_cbranch_execz .LBB101_49
; %bb.48:                               ;   in Loop: Header=BB101_3 Depth=1
	v_add_u32_e32 v4, s50, v4
	v_ashrrev_i32_e32 v5, 31, v4
	v_mov_b32_e32 v9, s13
	v_add_co_u32_e32 v4, vcc, s12, v4
	v_addc_co_u32_e32 v5, vcc, v9, v5, vcc
	global_load_ubyte v4, v[4:5], off
	s_waitcnt vmcnt(0)
	v_lshlrev_b16_e32 v4, 8, v4
	v_or_b32_sdwa v4, v7, v4 dst_sel:WORD_1 dst_unused:UNUSED_PAD src0_sel:WORD_1 src1_sel:DWORD
	v_and_or_b32 v7, v7, s33, v4
.LBB101_49:                             ;   in Loop: Header=BB101_3 Depth=1
	s_or_b64 exec, exec, s[6:7]
.LBB101_50:                             ;   in Loop: Header=BB101_3 Depth=1
	s_or_b64 exec, exec, s[4:5]
.LBB101_51:                             ;   in Loop: Header=BB101_3 Depth=1
	s_or_b64 exec, exec, s[2:3]
.LBB101_52:                             ;   in Loop: Header=BB101_3 Depth=1
	s_or_b64 exec, exec, s[0:1]
	s_waitcnt vmcnt(0)
	v_and_b32_sdwa v4, v23, v7 dst_sel:DWORD dst_unused:UNUSED_PAD src0_sel:DWORD src1_sel:BYTE_1
	v_cmp_eq_u32_e32 vcc, 1, v4
	v_and_b32_e32 v4, 0x1000000, v7
	v_cmp_ne_u32_e64 s[0:1], 0, v4
	v_and_b32_e32 v4, 0x10000, v7
	v_cmp_ne_u32_e64 s[2:3], 0, v4
	v_and_b32_e32 v4, 1, v7
	v_cmp_eq_u32_e64 s[4:5], 1, v4
	v_sub_u32_e32 v4, v3, v8
	v_ashrrev_i32_e32 v5, 31, v4
	v_cmp_le_i64_e64 s[6:7], s[8:9], v[4:5]
	v_add_u32_e32 v8, 1, v4
	s_and_b64 s[4:5], s[6:7], s[4:5]
	v_ashrrev_i32_e32 v9, 31, v8
	v_cndmask_b32_e64 v7, 0, 1, s[4:5]
	v_cmp_le_i64_e64 s[4:5], s[8:9], v[8:9]
	v_add_u32_e32 v8, 2, v4
	v_ashrrev_i32_e32 v9, 31, v8
	v_add_u32_e32 v4, 3, v4
	s_and_b64 s[4:5], s[4:5], vcc
	v_cmp_le_i64_e32 vcc, s[8:9], v[8:9]
	v_ashrrev_i32_e32 v5, 31, v4
	s_and_b64 s[2:3], vcc, s[2:3]
	v_cmp_le_i64_e32 vcc, s[8:9], v[4:5]
	s_and_b64 s[0:1], vcc, s[0:1]
	v_cndmask_b32_e64 v10, 0, 1, s[4:5]
	v_cndmask_b32_e64 v4, 0, 1, s[0:1]
	;; [unrolled: 1-line block ×3, first 2 shown]
	v_lshlrev_b16_e32 v5, 8, v10
	v_lshlrev_b16_e32 v4, 8, v4
	v_or_b32_e32 v5, v7, v5
	v_or_b32_sdwa v4, v8, v4 dst_sel:WORD_1 dst_unused:UNUSED_PAD src0_sel:DWORD src1_sel:DWORD
	v_or_b32_sdwa v7, v5, v4 dst_sel:DWORD dst_unused:UNUSED_PAD src0_sel:WORD_0 src1_sel:DWORD
	s_andn2_saveexec_b64 s[0:1], s[34:35]
	s_cbranch_execz .LBB101_43
.LBB101_53:                             ;   in Loop: Header=BB101_3 Depth=1
	v_mov_b32_e32 v7, 0
	s_or_b64 exec, exec, s[0:1]
	v_cmp_gt_i32_e32 vcc, s15, v3
	s_and_saveexec_b64 s[0:1], vcc
	s_cbranch_execz .LBB101_2
.LBB101_54:                             ;   in Loop: Header=BB101_3 Depth=1
	v_ashrrev_i32_e32 v5, 31, v6
	v_mov_b32_e32 v8, s23
	v_add_co_u32_e32 v4, vcc, s22, v6
	v_addc_co_u32_e32 v5, vcc, v8, v5, vcc
	v_add_u32_e32 v8, 1, v3
	v_cmp_gt_i32_e32 vcc, s15, v8
	global_store_byte v[4:5], v7, off
	s_and_saveexec_b64 s[2:3], vcc
	s_xor_b64 s[2:3], exec, s[2:3]
	s_cbranch_execz .LBB101_2
; %bb.55:                               ;   in Loop: Header=BB101_3 Depth=1
	v_mov_b32_e32 v9, s51
	v_add_co_u32_e32 v4, vcc, s52, v4
	v_lshrrev_b32_e32 v8, 8, v7
	v_addc_co_u32_e32 v5, vcc, v5, v9, vcc
	global_store_byte v[4:5], v8, off
	v_add_u32_e32 v4, 2, v3
	v_cmp_gt_i32_e32 vcc, s15, v4
	s_and_saveexec_b64 s[2:3], vcc
	s_xor_b64 s[2:3], exec, s[2:3]
	s_cbranch_execz .LBB101_2
; %bb.56:                               ;   in Loop: Header=BB101_3 Depth=1
	s_add_i32 s2, s52, s52
	v_add_u32_e32 v4, s2, v6
	v_ashrrev_i32_e32 v5, 31, v4
	v_mov_b32_e32 v6, s23
	v_add_co_u32_e32 v8, vcc, s22, v4
	v_addc_co_u32_e32 v9, vcc, v6, v5, vcc
	v_add_u32_e32 v3, 3, v3
	v_cmp_gt_i32_e32 vcc, s15, v3
	global_store_byte_d16_hi v[8:9], v7, off
	s_and_saveexec_b64 s[2:3], vcc
	s_xor_b64 s[2:3], exec, s[2:3]
	s_cbranch_execz .LBB101_2
; %bb.57:                               ;   in Loop: Header=BB101_3 Depth=1
	v_add_u32_e32 v4, s52, v4
	v_ashrrev_i32_e32 v5, 31, v4
	v_mov_b32_e32 v6, s23
	v_add_co_u32_e32 v4, vcc, s22, v4
	v_lshrrev_b32_e32 v3, 24, v7
	v_addc_co_u32_e32 v5, vcc, v6, v5, vcc
	global_store_byte v[4:5], v3, off
	s_branch .LBB101_2
.LBB101_58:
	s_endpgm
	.section	.rodata,"a",@progbits
	.p2align	6, 0x0
	.amdhsa_kernel _ZN2at6native16triu_tril_kernelIbiLb1ELi4ELb0EEEvNS_4cuda6detail10TensorInfoIT_T0_EENS4_IKS5_S6_EEllS6_
		.amdhsa_group_segment_fixed_size 0
		.amdhsa_private_segment_fixed_size 0
		.amdhsa_kernarg_size 712
		.amdhsa_user_sgpr_count 6
		.amdhsa_user_sgpr_private_segment_buffer 1
		.amdhsa_user_sgpr_dispatch_ptr 0
		.amdhsa_user_sgpr_queue_ptr 0
		.amdhsa_user_sgpr_kernarg_segment_ptr 1
		.amdhsa_user_sgpr_dispatch_id 0
		.amdhsa_user_sgpr_flat_scratch_init 0
		.amdhsa_user_sgpr_kernarg_preload_length 0
		.amdhsa_user_sgpr_kernarg_preload_offset 0
		.amdhsa_user_sgpr_private_segment_size 0
		.amdhsa_uses_dynamic_stack 0
		.amdhsa_system_sgpr_private_segment_wavefront_offset 0
		.amdhsa_system_sgpr_workgroup_id_x 1
		.amdhsa_system_sgpr_workgroup_id_y 0
		.amdhsa_system_sgpr_workgroup_id_z 0
		.amdhsa_system_sgpr_workgroup_info 0
		.amdhsa_system_vgpr_workitem_id 0
		.amdhsa_next_free_vgpr 26
		.amdhsa_next_free_sgpr 63
		.amdhsa_accum_offset 28
		.amdhsa_reserve_vcc 1
		.amdhsa_reserve_flat_scratch 0
		.amdhsa_float_round_mode_32 0
		.amdhsa_float_round_mode_16_64 0
		.amdhsa_float_denorm_mode_32 3
		.amdhsa_float_denorm_mode_16_64 3
		.amdhsa_dx10_clamp 1
		.amdhsa_ieee_mode 1
		.amdhsa_fp16_overflow 0
		.amdhsa_tg_split 0
		.amdhsa_exception_fp_ieee_invalid_op 0
		.amdhsa_exception_fp_denorm_src 0
		.amdhsa_exception_fp_ieee_div_zero 0
		.amdhsa_exception_fp_ieee_overflow 0
		.amdhsa_exception_fp_ieee_underflow 0
		.amdhsa_exception_fp_ieee_inexact 0
		.amdhsa_exception_int_div_zero 0
	.end_amdhsa_kernel
	.section	.text._ZN2at6native16triu_tril_kernelIbiLb1ELi4ELb0EEEvNS_4cuda6detail10TensorInfoIT_T0_EENS4_IKS5_S6_EEllS6_,"axG",@progbits,_ZN2at6native16triu_tril_kernelIbiLb1ELi4ELb0EEEvNS_4cuda6detail10TensorInfoIT_T0_EENS4_IKS5_S6_EEllS6_,comdat
.Lfunc_end101:
	.size	_ZN2at6native16triu_tril_kernelIbiLb1ELi4ELb0EEEvNS_4cuda6detail10TensorInfoIT_T0_EENS4_IKS5_S6_EEllS6_, .Lfunc_end101-_ZN2at6native16triu_tril_kernelIbiLb1ELi4ELb0EEEvNS_4cuda6detail10TensorInfoIT_T0_EENS4_IKS5_S6_EEllS6_
                                        ; -- End function
	.section	.AMDGPU.csdata,"",@progbits
; Kernel info:
; codeLenInByte = 8044
; NumSgprs: 67
; NumVgprs: 26
; NumAgprs: 0
; TotalNumVgprs: 26
; ScratchSize: 0
; MemoryBound: 0
; FloatMode: 240
; IeeeMode: 1
; LDSByteSize: 0 bytes/workgroup (compile time only)
; SGPRBlocks: 8
; VGPRBlocks: 3
; NumSGPRsForWavesPerEU: 67
; NumVGPRsForWavesPerEU: 26
; AccumOffset: 28
; Occupancy: 8
; WaveLimiterHint : 0
; COMPUTE_PGM_RSRC2:SCRATCH_EN: 0
; COMPUTE_PGM_RSRC2:USER_SGPR: 6
; COMPUTE_PGM_RSRC2:TRAP_HANDLER: 0
; COMPUTE_PGM_RSRC2:TGID_X_EN: 1
; COMPUTE_PGM_RSRC2:TGID_Y_EN: 0
; COMPUTE_PGM_RSRC2:TGID_Z_EN: 0
; COMPUTE_PGM_RSRC2:TIDIG_COMP_CNT: 0
; COMPUTE_PGM_RSRC3_GFX90A:ACCUM_OFFSET: 6
; COMPUTE_PGM_RSRC3_GFX90A:TG_SPLIT: 0
	.section	.text._ZN2at6native16triu_tril_kernelIblLb1ELi4ELb1EEEvNS_4cuda6detail10TensorInfoIT_T0_EENS4_IKS5_S6_EEllS6_,"axG",@progbits,_ZN2at6native16triu_tril_kernelIblLb1ELi4ELb1EEEvNS_4cuda6detail10TensorInfoIT_T0_EENS4_IKS5_S6_EEllS6_,comdat
	.protected	_ZN2at6native16triu_tril_kernelIblLb1ELi4ELb1EEEvNS_4cuda6detail10TensorInfoIT_T0_EENS4_IKS5_S6_EEllS6_ ; -- Begin function _ZN2at6native16triu_tril_kernelIblLb1ELi4ELb1EEEvNS_4cuda6detail10TensorInfoIT_T0_EENS4_IKS5_S6_EEllS6_
	.globl	_ZN2at6native16triu_tril_kernelIblLb1ELi4ELb1EEEvNS_4cuda6detail10TensorInfoIT_T0_EENS4_IKS5_S6_EEllS6_
	.p2align	8
	.type	_ZN2at6native16triu_tril_kernelIblLb1ELi4ELb1EEEvNS_4cuda6detail10TensorInfoIT_T0_EENS4_IKS5_S6_EEllS6_,@function
_ZN2at6native16triu_tril_kernelIblLb1ELi4ELb1EEEvNS_4cuda6detail10TensorInfoIT_T0_EENS4_IKS5_S6_EEllS6_: ; @_ZN2at6native16triu_tril_kernelIblLb1ELi4ELb1EEEvNS_4cuda6detail10TensorInfoIT_T0_EENS4_IKS5_S6_EEllS6_
; %bb.0:
	s_load_dword s2, s[4:5], 0x364
	s_load_dwordx4 s[8:11], s[4:5], 0x340
	s_add_u32 s0, s4, 0x358
	v_mov_b32_e32 v2, 0
	s_addc_u32 s1, s5, 0
	s_waitcnt lgkmcnt(0)
	s_and_b32 s12, s2, 0xffff
	v_mov_b32_e32 v1, v2
	v_mov_b32_e32 v3, s6
	v_mad_u64_u32 v[0:1], s[2:3], s12, v3, v[0:1]
	v_lshlrev_b64 v[0:1], 2, v[0:1]
	v_cmp_gt_i64_e32 vcc, s[10:11], v[0:1]
	s_and_saveexec_b64 s[2:3], vcc
	s_cbranch_execz .LBB102_27
; %bb.1:
	s_load_dword s13, s[0:1], 0x0
	s_load_dword s18, s[4:5], 0x338
	s_load_dwordx2 s[2:3], s[4:5], 0x350
	s_load_dwordx2 s[6:7], s[4:5], 0x0
	s_mov_b32 s48, 0
	s_waitcnt lgkmcnt(0)
	s_mul_i32 s20, s13, s12
	s_ashr_i32 s19, s18, 31
	s_add_u32 s24, s4, 0x1a8
	s_addc_u32 s25, s5, 0
	s_lshl_b64 s[0:1], s[18:19], 3
	s_add_u32 s16, s0, -16
	s_addc_u32 s17, s1, -1
	s_add_u32 s14, s24, s16
	s_addc_u32 s15, s25, s17
	v_cmp_gt_i64_e64 s[12:13], s[18:19], 2
	s_add_u32 s19, s0, -8
	s_addc_u32 s21, s1, -1
	s_add_u32 s26, s4, 0xd0
	s_addc_u32 s27, s5, 0
	s_add_u32 s4, s26, s19
	v_cvt_f32_u32_e32 v3, s2
	s_addc_u32 s5, s27, s21
	s_add_u32 s16, s26, s16
	s_addc_u32 s17, s27, s17
	s_add_i32 s0, s18, -3
	s_ashr_i32 s1, s0, 31
	v_rcp_iflag_f32_e32 v3, v3
	s_add_u32 s18, s24, s19
	s_addc_u32 s19, s25, s21
	s_lshl_b32 s33, s20, 2
	s_lshl_b64 s[22:23], s[0:1], 3
	s_add_u32 s20, s26, s22
	s_load_dwordx2 s[14:15], s[14:15], 0x0
	s_addc_u32 s21, s27, s23
	v_mul_f32_e32 v3, 0x4f7ffffe, v3
	s_add_u32 s22, s24, s22
	v_cvt_u32_f32_e32 v12, v3
	s_addc_u32 s23, s25, s23
	s_add_u32 s24, s0, 1
	s_addc_u32 s25, s1, 0
	s_mov_b64 s[26:27], 0
	s_branch .LBB102_3
.LBB102_2:                              ;   in Loop: Header=BB102_3 Depth=1
	s_or_b64 exec, exec, s[28:29]
	v_mov_b32_e32 v3, s48
	v_add_co_u32_e32 v0, vcc, s33, v0
	v_addc_co_u32_e32 v1, vcc, v1, v3, vcc
	v_cmp_le_i64_e32 vcc, s[10:11], v[0:1]
	s_or_b64 s[26:27], vcc, s[26:27]
	s_andn2_b64 exec, exec, s[26:27]
	s_cbranch_execz .LBB102_27
.LBB102_3:                              ; =>This Loop Header: Depth=1
                                        ;     Child Loop BB102_23 Depth 2
	v_or_b32_e32 v3, s3, v1
	v_cmp_ne_u64_e32 vcc, 0, v[2:3]
                                        ; implicit-def: $vgpr8_vgpr9
	s_and_saveexec_b64 s[0:1], vcc
	s_xor_b64 s[28:29], exec, s[0:1]
	s_cbranch_execz .LBB102_5
; %bb.4:                                ;   in Loop: Header=BB102_3 Depth=1
	s_ashr_i32 s30, s3, 31
	s_add_u32 s0, s2, s30
	s_mov_b32 s31, s30
	s_addc_u32 s1, s3, s30
	s_xor_b64 s[34:35], s[0:1], s[30:31]
	v_cvt_f32_u32_e32 v3, s34
	v_cvt_f32_u32_e32 v4, s35
	s_sub_u32 s0, 0, s34
	s_subb_u32 s1, 0, s35
	v_mac_f32_e32 v3, 0x4f800000, v4
	v_rcp_f32_e32 v3, v3
	v_mul_f32_e32 v3, 0x5f7ffffc, v3
	v_mul_f32_e32 v4, 0x2f800000, v3
	v_trunc_f32_e32 v4, v4
	v_mac_f32_e32 v3, 0xcf800000, v4
	v_cvt_u32_f32_e32 v4, v4
	v_cvt_u32_f32_e32 v3, v3
	v_mul_lo_u32 v5, s0, v4
	v_mul_hi_u32 v7, s0, v3
	v_mul_lo_u32 v6, s1, v3
	v_add_u32_e32 v5, v7, v5
	v_mul_lo_u32 v8, s0, v3
	v_add_u32_e32 v5, v5, v6
	v_mul_lo_u32 v7, v3, v5
	v_mul_hi_u32 v9, v3, v8
	v_mul_hi_u32 v6, v3, v5
	v_add_co_u32_e32 v7, vcc, v9, v7
	v_addc_co_u32_e32 v6, vcc, 0, v6, vcc
	v_mul_hi_u32 v10, v4, v8
	v_mul_lo_u32 v8, v4, v8
	v_add_co_u32_e32 v7, vcc, v7, v8
	v_mul_hi_u32 v9, v4, v5
	v_addc_co_u32_e32 v6, vcc, v6, v10, vcc
	v_addc_co_u32_e32 v7, vcc, 0, v9, vcc
	v_mul_lo_u32 v5, v4, v5
	v_add_co_u32_e32 v5, vcc, v6, v5
	v_addc_co_u32_e32 v6, vcc, 0, v7, vcc
	v_add_co_u32_e32 v3, vcc, v3, v5
	v_addc_co_u32_e32 v4, vcc, v4, v6, vcc
	v_mul_lo_u32 v5, s0, v4
	v_mul_hi_u32 v6, s0, v3
	v_add_u32_e32 v5, v6, v5
	v_mul_lo_u32 v6, s1, v3
	v_add_u32_e32 v5, v5, v6
	v_mul_lo_u32 v7, s0, v3
	v_mul_hi_u32 v8, v4, v7
	v_mul_lo_u32 v9, v4, v7
	v_mul_lo_u32 v11, v3, v5
	v_mul_hi_u32 v7, v3, v7
	v_mul_hi_u32 v10, v3, v5
	v_add_co_u32_e32 v7, vcc, v7, v11
	v_addc_co_u32_e32 v10, vcc, 0, v10, vcc
	v_add_co_u32_e32 v7, vcc, v7, v9
	v_mul_hi_u32 v6, v4, v5
	v_addc_co_u32_e32 v7, vcc, v10, v8, vcc
	v_addc_co_u32_e32 v6, vcc, 0, v6, vcc
	v_mul_lo_u32 v5, v4, v5
	v_add_co_u32_e32 v5, vcc, v7, v5
	v_addc_co_u32_e32 v6, vcc, 0, v6, vcc
	v_add_co_u32_e32 v3, vcc, v3, v5
	v_addc_co_u32_e32 v6, vcc, v4, v6, vcc
	v_ashrrev_i32_e32 v8, 31, v1
	v_add_co_u32_e32 v4, vcc, v0, v8
	v_addc_co_u32_e32 v5, vcc, v1, v8, vcc
	v_xor_b32_e32 v10, v4, v8
	v_xor_b32_e32 v9, v5, v8
	v_mad_u64_u32 v[4:5], s[0:1], v10, v6, 0
	v_mul_hi_u32 v7, v10, v3
	v_add_co_u32_e32 v11, vcc, v7, v4
	v_addc_co_u32_e32 v13, vcc, 0, v5, vcc
	v_mad_u64_u32 v[4:5], s[0:1], v9, v6, 0
	v_mad_u64_u32 v[6:7], s[0:1], v9, v3, 0
	v_add_co_u32_e32 v3, vcc, v11, v6
	v_addc_co_u32_e32 v3, vcc, v13, v7, vcc
	v_addc_co_u32_e32 v5, vcc, 0, v5, vcc
	v_add_co_u32_e32 v3, vcc, v3, v4
	v_addc_co_u32_e32 v6, vcc, 0, v5, vcc
	v_mul_lo_u32 v7, s35, v3
	v_mul_lo_u32 v11, s34, v6
	v_mad_u64_u32 v[4:5], s[0:1], s34, v3, 0
	v_add3_u32 v5, v5, v11, v7
	v_sub_u32_e32 v7, v9, v5
	v_mov_b32_e32 v11, s35
	v_sub_co_u32_e32 v4, vcc, v10, v4
	v_subb_co_u32_e64 v7, s[0:1], v7, v11, vcc
	v_subrev_co_u32_e64 v10, s[0:1], s34, v4
	v_subbrev_co_u32_e64 v7, s[0:1], 0, v7, s[0:1]
	v_cmp_le_u32_e64 s[0:1], s35, v7
	v_cndmask_b32_e64 v11, 0, -1, s[0:1]
	v_cmp_le_u32_e64 s[0:1], s34, v10
	v_cndmask_b32_e64 v10, 0, -1, s[0:1]
	v_cmp_eq_u32_e64 s[0:1], s35, v7
	v_cndmask_b32_e64 v7, v11, v10, s[0:1]
	v_add_co_u32_e64 v10, s[0:1], 2, v3
	v_subb_co_u32_e32 v5, vcc, v9, v5, vcc
	v_addc_co_u32_e64 v11, s[0:1], 0, v6, s[0:1]
	v_cmp_le_u32_e32 vcc, s35, v5
	v_add_co_u32_e64 v13, s[0:1], 1, v3
	v_cndmask_b32_e64 v9, 0, -1, vcc
	v_cmp_le_u32_e32 vcc, s34, v4
	v_addc_co_u32_e64 v14, s[0:1], 0, v6, s[0:1]
	v_cndmask_b32_e64 v4, 0, -1, vcc
	v_cmp_eq_u32_e32 vcc, s35, v5
	v_cmp_ne_u32_e64 s[0:1], 0, v7
	v_cndmask_b32_e32 v4, v9, v4, vcc
	v_cmp_ne_u32_e32 vcc, 0, v4
	v_cndmask_b32_e64 v5, v13, v10, s[0:1]
	v_cndmask_b32_e64 v7, v14, v11, s[0:1]
	v_cndmask_b32_e32 v3, v3, v5, vcc
	v_xor_b32_e32 v5, s30, v8
	v_cndmask_b32_e32 v4, v6, v7, vcc
	v_xor_b32_e32 v3, v3, v5
	v_xor_b32_e32 v4, v4, v5
	v_sub_co_u32_e32 v8, vcc, v3, v5
	v_subb_co_u32_e32 v9, vcc, v4, v5, vcc
.LBB102_5:                              ;   in Loop: Header=BB102_3 Depth=1
	s_andn2_saveexec_b64 s[0:1], s[28:29]
	s_cbranch_execz .LBB102_7
; %bb.6:                                ;   in Loop: Header=BB102_3 Depth=1
	s_sub_i32 s28, 0, s2
	v_mul_lo_u32 v3, s28, v12
	v_mul_hi_u32 v3, v12, v3
	v_add_u32_e32 v3, v12, v3
	v_mul_hi_u32 v3, v0, v3
	v_mul_lo_u32 v4, v3, s2
	v_sub_u32_e32 v4, v0, v4
	v_subrev_u32_e32 v5, s2, v4
	v_cmp_le_u32_e32 vcc, s2, v4
	v_cndmask_b32_e32 v4, v4, v5, vcc
	v_add_u32_e32 v5, 1, v3
	v_cndmask_b32_e32 v3, v3, v5, vcc
	v_add_u32_e32 v5, 1, v3
	v_cmp_le_u32_e32 vcc, s2, v4
	v_cndmask_b32_e32 v8, v3, v5, vcc
	v_mov_b32_e32 v9, v2
.LBB102_7:                              ;   in Loop: Header=BB102_3 Depth=1
	s_or_b64 exec, exec, s[0:1]
	s_waitcnt lgkmcnt(0)
	v_or_b32_e32 v3, s15, v9
	v_cmp_ne_u64_e32 vcc, 0, v[2:3]
                                        ; implicit-def: $vgpr6_vgpr7
	s_and_saveexec_b64 s[0:1], vcc
	s_xor_b64 s[28:29], exec, s[0:1]
	s_cbranch_execz .LBB102_9
; %bb.8:                                ;   in Loop: Header=BB102_3 Depth=1
	s_ashr_i32 s30, s15, 31
	s_add_u32 s0, s14, s30
	s_mov_b32 s31, s30
	s_addc_u32 s1, s15, s30
	s_xor_b64 s[34:35], s[0:1], s[30:31]
	v_cvt_f32_u32_e32 v3, s34
	v_cvt_f32_u32_e32 v4, s35
	s_sub_u32 s0, 0, s34
	s_subb_u32 s1, 0, s35
	v_mac_f32_e32 v3, 0x4f800000, v4
	v_rcp_f32_e32 v3, v3
	v_mul_f32_e32 v3, 0x5f7ffffc, v3
	v_mul_f32_e32 v4, 0x2f800000, v3
	v_trunc_f32_e32 v4, v4
	v_mac_f32_e32 v3, 0xcf800000, v4
	v_cvt_u32_f32_e32 v4, v4
	v_cvt_u32_f32_e32 v3, v3
	v_mul_lo_u32 v5, s0, v4
	v_mul_hi_u32 v7, s0, v3
	v_mul_lo_u32 v6, s1, v3
	v_add_u32_e32 v5, v7, v5
	v_mul_lo_u32 v10, s0, v3
	v_add_u32_e32 v5, v5, v6
	v_mul_lo_u32 v7, v3, v5
	v_mul_hi_u32 v11, v3, v10
	v_mul_hi_u32 v6, v3, v5
	v_add_co_u32_e32 v7, vcc, v11, v7
	v_addc_co_u32_e32 v6, vcc, 0, v6, vcc
	v_mul_hi_u32 v13, v4, v10
	v_mul_lo_u32 v10, v4, v10
	v_add_co_u32_e32 v7, vcc, v7, v10
	v_mul_hi_u32 v11, v4, v5
	v_addc_co_u32_e32 v6, vcc, v6, v13, vcc
	v_addc_co_u32_e32 v7, vcc, 0, v11, vcc
	v_mul_lo_u32 v5, v4, v5
	v_add_co_u32_e32 v5, vcc, v6, v5
	v_addc_co_u32_e32 v6, vcc, 0, v7, vcc
	v_add_co_u32_e32 v3, vcc, v3, v5
	v_addc_co_u32_e32 v4, vcc, v4, v6, vcc
	v_mul_lo_u32 v5, s0, v4
	v_mul_hi_u32 v6, s0, v3
	v_add_u32_e32 v5, v6, v5
	v_mul_lo_u32 v6, s1, v3
	v_add_u32_e32 v5, v5, v6
	v_mul_lo_u32 v7, s0, v3
	v_mul_hi_u32 v10, v4, v7
	v_mul_lo_u32 v11, v4, v7
	v_mul_lo_u32 v14, v3, v5
	v_mul_hi_u32 v7, v3, v7
	v_mul_hi_u32 v13, v3, v5
	v_add_co_u32_e32 v7, vcc, v7, v14
	v_addc_co_u32_e32 v13, vcc, 0, v13, vcc
	v_add_co_u32_e32 v7, vcc, v7, v11
	v_mul_hi_u32 v6, v4, v5
	v_addc_co_u32_e32 v7, vcc, v13, v10, vcc
	v_addc_co_u32_e32 v6, vcc, 0, v6, vcc
	v_mul_lo_u32 v5, v4, v5
	v_add_co_u32_e32 v5, vcc, v7, v5
	v_addc_co_u32_e32 v6, vcc, 0, v6, vcc
	v_add_co_u32_e32 v3, vcc, v3, v5
	v_addc_co_u32_e32 v6, vcc, v4, v6, vcc
	v_ashrrev_i32_e32 v10, 31, v9
	v_add_co_u32_e32 v4, vcc, v8, v10
	v_addc_co_u32_e32 v5, vcc, v9, v10, vcc
	v_xor_b32_e32 v13, v4, v10
	v_xor_b32_e32 v11, v5, v10
	v_mad_u64_u32 v[4:5], s[0:1], v13, v6, 0
	v_mul_hi_u32 v7, v13, v3
	v_add_co_u32_e32 v14, vcc, v7, v4
	v_addc_co_u32_e32 v15, vcc, 0, v5, vcc
	v_mad_u64_u32 v[4:5], s[0:1], v11, v6, 0
	v_mad_u64_u32 v[6:7], s[0:1], v11, v3, 0
	v_add_co_u32_e32 v3, vcc, v14, v6
	v_addc_co_u32_e32 v3, vcc, v15, v7, vcc
	v_addc_co_u32_e32 v5, vcc, 0, v5, vcc
	v_add_co_u32_e32 v3, vcc, v3, v4
	v_addc_co_u32_e32 v6, vcc, 0, v5, vcc
	v_mul_lo_u32 v7, s35, v3
	v_mul_lo_u32 v14, s34, v6
	v_mad_u64_u32 v[4:5], s[0:1], s34, v3, 0
	v_add3_u32 v5, v5, v14, v7
	v_sub_u32_e32 v7, v11, v5
	v_mov_b32_e32 v14, s35
	v_sub_co_u32_e32 v4, vcc, v13, v4
	v_subb_co_u32_e64 v7, s[0:1], v7, v14, vcc
	v_subrev_co_u32_e64 v13, s[0:1], s34, v4
	v_subbrev_co_u32_e64 v7, s[0:1], 0, v7, s[0:1]
	v_cmp_le_u32_e64 s[0:1], s35, v7
	v_cndmask_b32_e64 v14, 0, -1, s[0:1]
	v_cmp_le_u32_e64 s[0:1], s34, v13
	v_cndmask_b32_e64 v13, 0, -1, s[0:1]
	v_cmp_eq_u32_e64 s[0:1], s35, v7
	v_cndmask_b32_e64 v7, v14, v13, s[0:1]
	v_add_co_u32_e64 v13, s[0:1], 2, v3
	v_subb_co_u32_e32 v5, vcc, v11, v5, vcc
	v_addc_co_u32_e64 v14, s[0:1], 0, v6, s[0:1]
	v_cmp_le_u32_e32 vcc, s35, v5
	v_add_co_u32_e64 v15, s[0:1], 1, v3
	v_cndmask_b32_e64 v11, 0, -1, vcc
	v_cmp_le_u32_e32 vcc, s34, v4
	v_addc_co_u32_e64 v16, s[0:1], 0, v6, s[0:1]
	v_cndmask_b32_e64 v4, 0, -1, vcc
	v_cmp_eq_u32_e32 vcc, s35, v5
	v_cmp_ne_u32_e64 s[0:1], 0, v7
	v_cndmask_b32_e32 v4, v11, v4, vcc
	v_cmp_ne_u32_e32 vcc, 0, v4
	v_cndmask_b32_e64 v5, v15, v13, s[0:1]
	v_cndmask_b32_e64 v7, v16, v14, s[0:1]
	v_cndmask_b32_e32 v3, v3, v5, vcc
	v_xor_b32_e32 v5, s30, v10
	v_cndmask_b32_e32 v4, v6, v7, vcc
	v_xor_b32_e32 v3, v3, v5
	v_xor_b32_e32 v4, v4, v5
	v_sub_co_u32_e32 v6, vcc, v3, v5
	v_subb_co_u32_e32 v7, vcc, v4, v5, vcc
.LBB102_9:                              ;   in Loop: Header=BB102_3 Depth=1
	s_andn2_saveexec_b64 s[0:1], s[28:29]
	s_cbranch_execz .LBB102_11
; %bb.10:                               ;   in Loop: Header=BB102_3 Depth=1
	v_cvt_f32_u32_e32 v3, s14
	s_sub_i32 s28, 0, s14
	v_mov_b32_e32 v7, v2
	v_rcp_iflag_f32_e32 v3, v3
	v_mul_f32_e32 v3, 0x4f7ffffe, v3
	v_cvt_u32_f32_e32 v3, v3
	v_mul_lo_u32 v4, s28, v3
	v_mul_hi_u32 v4, v3, v4
	v_add_u32_e32 v3, v3, v4
	v_mul_hi_u32 v3, v8, v3
	v_mul_lo_u32 v4, v3, s14
	v_sub_u32_e32 v4, v8, v4
	v_add_u32_e32 v5, 1, v3
	v_subrev_u32_e32 v6, s14, v4
	v_cmp_le_u32_e32 vcc, s14, v4
	v_cndmask_b32_e32 v4, v4, v6, vcc
	v_cndmask_b32_e32 v3, v3, v5, vcc
	v_add_u32_e32 v5, 1, v3
	v_cmp_le_u32_e32 vcc, s14, v4
	v_cndmask_b32_e32 v6, v3, v5, vcc
.LBB102_11:                             ;   in Loop: Header=BB102_3 Depth=1
	s_or_b64 exec, exec, s[0:1]
	v_mul_lo_u32 v3, v9, s2
	v_mul_lo_u32 v10, v8, s3
	v_mad_u64_u32 v[4:5], s[0:1], v8, s2, 0
	v_add3_u32 v3, v5, v10, v3
	v_sub_co_u32_e32 v4, vcc, v0, v4
	v_subb_co_u32_e32 v5, vcc, v1, v3, vcc
	v_mul_lo_u32 v3, v7, s14
	v_mul_lo_u32 v13, v6, s15
	v_mad_u64_u32 v[10:11], s[0:1], v6, s14, 0
	v_add3_u32 v3, v11, v13, v3
	v_sub_co_u32_e32 v13, vcc, v8, v10
	v_subb_co_u32_e32 v14, vcc, v9, v3, vcc
	v_sub_co_u32_e32 v8, vcc, v4, v13
	v_subb_co_u32_e32 v9, vcc, v5, v14, vcc
	v_cmp_gt_i64_e32 vcc, s[8:9], v[8:9]
	s_and_saveexec_b64 s[28:29], vcc
	s_cbranch_execz .LBB102_2
; %bb.12:                               ;   in Loop: Header=BB102_3 Depth=1
	s_load_dwordx2 s[30:31], s[4:5], 0x0
	s_load_dwordx2 s[0:1], s[16:17], 0x0
	s_and_b64 vcc, exec, s[12:13]
	s_mov_b64 s[36:37], s[22:23]
	s_mov_b64 s[38:39], s[20:21]
	s_waitcnt lgkmcnt(0)
	v_mul_lo_u32 v3, s31, v4
	v_mul_lo_u32 v10, s30, v5
	v_mad_u64_u32 v[8:9], s[34:35], s30, v4, 0
	v_add3_u32 v9, v9, v10, v3
	v_mad_u64_u32 v[8:9], s[34:35], s0, v13, v[8:9]
	v_mul_lo_u32 v3, s0, v14
	v_mul_lo_u32 v10, s1, v13
	v_add3_u32 v9, v10, v9, v3
	s_mov_b64 s[34:35], s[24:25]
	s_cbranch_vccnz .LBB102_23
.LBB102_13:                             ;   in Loop: Header=BB102_3 Depth=1
	s_load_dwordx2 s[0:1], s[18:19], 0x0
	s_waitcnt lgkmcnt(0)
	v_cmp_gt_i64_e32 vcc, s[0:1], v[4:5]
	s_and_b64 exec, exec, vcc
	s_cbranch_execz .LBB102_2
; %bb.14:                               ;   in Loop: Header=BB102_3 Depth=1
	v_mov_b32_e32 v3, s7
	v_add_co_u32_e32 v6, vcc, s6, v8
	v_addc_co_u32_e32 v7, vcc, v3, v9, vcc
	v_add_co_u32_e32 v8, vcc, 1, v4
	v_addc_co_u32_e32 v9, vcc, 0, v5, vcc
	v_cmp_gt_i64_e32 vcc, s[0:1], v[8:9]
	global_store_byte v[6:7], v2, off
	s_and_b64 exec, exec, vcc
	s_cbranch_execz .LBB102_2
; %bb.15:                               ;   in Loop: Header=BB102_3 Depth=1
	v_sub_co_u32_e32 v8, vcc, v8, v13
	v_subb_co_u32_e32 v9, vcc, v9, v14, vcc
	v_cmp_gt_i64_e32 vcc, s[8:9], v[8:9]
	s_and_saveexec_b64 s[34:35], vcc
	s_cbranch_execz .LBB102_17
; %bb.16:                               ;   in Loop: Header=BB102_3 Depth=1
	v_mov_b32_e32 v3, s31
	v_add_co_u32_e32 v8, vcc, s30, v6
	v_addc_co_u32_e32 v9, vcc, v7, v3, vcc
	global_store_byte v[8:9], v2, off
.LBB102_17:                             ;   in Loop: Header=BB102_3 Depth=1
	s_or_b64 exec, exec, s[34:35]
	v_add_co_u32_e32 v8, vcc, 2, v4
	v_addc_co_u32_e32 v9, vcc, 0, v5, vcc
	v_cmp_gt_i64_e32 vcc, s[0:1], v[8:9]
	s_and_b64 exec, exec, vcc
	s_cbranch_execz .LBB102_2
; %bb.18:                               ;   in Loop: Header=BB102_3 Depth=1
	v_sub_co_u32_e32 v8, vcc, v8, v13
	v_subb_co_u32_e32 v9, vcc, v9, v14, vcc
	v_cmp_gt_i64_e32 vcc, s[8:9], v[8:9]
	s_and_saveexec_b64 s[34:35], vcc
	s_cbranch_execz .LBB102_20
; %bb.19:                               ;   in Loop: Header=BB102_3 Depth=1
	s_lshl_b64 s[36:37], s[30:31], 1
	v_mov_b32_e32 v3, s37
	v_add_co_u32_e32 v8, vcc, s36, v6
	v_addc_co_u32_e32 v9, vcc, v7, v3, vcc
	global_store_byte v[8:9], v2, off
.LBB102_20:                             ;   in Loop: Header=BB102_3 Depth=1
	s_or_b64 exec, exec, s[34:35]
	v_add_co_u32_e32 v4, vcc, 3, v4
	v_addc_co_u32_e32 v5, vcc, 0, v5, vcc
	v_cmp_gt_i64_e32 vcc, s[0:1], v[4:5]
	v_sub_co_u32_e64 v4, s[0:1], v4, v13
	v_subb_co_u32_e64 v5, s[0:1], v5, v14, s[0:1]
	v_cmp_gt_i64_e64 s[0:1], s[8:9], v[4:5]
	s_and_b64 s[0:1], vcc, s[0:1]
	s_and_b64 exec, exec, s[0:1]
	s_cbranch_execz .LBB102_2
; %bb.21:                               ;   in Loop: Header=BB102_3 Depth=1
	v_mad_u64_u32 v[4:5], s[0:1], s30, 3, v[6:7]
	v_mov_b32_e32 v6, v5
	v_mad_u64_u32 v[6:7], s[0:1], s31, 3, v[6:7]
	v_mov_b32_e32 v5, v6
	global_store_byte v[4:5], v2, off
	s_branch .LBB102_2
.LBB102_22:                             ;   in Loop: Header=BB102_23 Depth=2
	s_or_b64 exec, exec, s[0:1]
	v_mad_u64_u32 v[16:17], s[0:1], v10, s40, 0
	s_load_dwordx2 s[0:1], s[38:39], 0x0
	s_add_u32 s38, s38, -8
	s_addc_u32 s39, s39, -1
	v_mul_lo_u32 v3, v11, s40
	v_mul_lo_u32 v15, v10, s41
	s_add_u32 s36, s36, -8
	v_add3_u32 v3, v17, v15, v3
	v_sub_co_u32_e32 v6, vcc, v6, v16
	s_addc_u32 s37, s37, -1
	v_subb_co_u32_e32 v3, vcc, v7, v3, vcc
	s_add_u32 s34, s34, -1
	s_waitcnt lgkmcnt(0)
	v_mul_lo_u32 v3, s0, v3
	v_mul_lo_u32 v7, s1, v6
	v_mad_u64_u32 v[8:9], s[0:1], s0, v6, v[8:9]
	s_addc_u32 s35, s35, -1
	v_cmp_lt_i64_e64 s[0:1], s[34:35], 1
	v_add3_u32 v9, v7, v9, v3
	s_and_b64 vcc, exec, s[0:1]
	v_pk_mov_b32 v[6:7], v[10:11], v[10:11] op_sel:[0,1]
	s_cbranch_vccnz .LBB102_13
.LBB102_23:                             ;   Parent Loop BB102_3 Depth=1
                                        ; =>  This Inner Loop Header: Depth=2
	s_load_dwordx2 s[40:41], s[36:37], 0x0
                                        ; implicit-def: $vgpr10_vgpr11
	s_waitcnt lgkmcnt(0)
	v_or_b32_e32 v3, s41, v7
	v_cmp_ne_u64_e32 vcc, 0, v[2:3]
	s_and_saveexec_b64 s[0:1], vcc
	s_xor_b64 s[42:43], exec, s[0:1]
	s_cbranch_execz .LBB102_25
; %bb.24:                               ;   in Loop: Header=BB102_23 Depth=2
	s_ashr_i32 s44, s41, 31
	s_add_u32 s0, s40, s44
	s_mov_b32 s45, s44
	s_addc_u32 s1, s41, s44
	s_xor_b64 s[46:47], s[0:1], s[44:45]
	v_cvt_f32_u32_e32 v3, s46
	v_cvt_f32_u32_e32 v10, s47
	s_sub_u32 s0, 0, s46
	s_subb_u32 s1, 0, s47
	v_mac_f32_e32 v3, 0x4f800000, v10
	v_rcp_f32_e32 v3, v3
	v_mul_f32_e32 v3, 0x5f7ffffc, v3
	v_mul_f32_e32 v10, 0x2f800000, v3
	v_trunc_f32_e32 v10, v10
	v_mac_f32_e32 v3, 0xcf800000, v10
	v_cvt_u32_f32_e32 v10, v10
	v_cvt_u32_f32_e32 v3, v3
	v_mul_lo_u32 v11, s0, v10
	v_mul_hi_u32 v16, s0, v3
	v_mul_lo_u32 v15, s1, v3
	v_add_u32_e32 v11, v16, v11
	v_mul_lo_u32 v17, s0, v3
	v_add_u32_e32 v11, v11, v15
	v_mul_lo_u32 v16, v3, v11
	v_mul_hi_u32 v18, v3, v17
	v_mul_hi_u32 v15, v3, v11
	v_add_co_u32_e32 v16, vcc, v18, v16
	v_addc_co_u32_e32 v15, vcc, 0, v15, vcc
	v_mul_hi_u32 v19, v10, v17
	v_mul_lo_u32 v17, v10, v17
	v_add_co_u32_e32 v16, vcc, v16, v17
	v_mul_hi_u32 v18, v10, v11
	v_addc_co_u32_e32 v15, vcc, v15, v19, vcc
	v_addc_co_u32_e32 v16, vcc, 0, v18, vcc
	v_mul_lo_u32 v11, v10, v11
	v_add_co_u32_e32 v11, vcc, v15, v11
	v_addc_co_u32_e32 v15, vcc, 0, v16, vcc
	v_add_co_u32_e32 v3, vcc, v3, v11
	v_addc_co_u32_e32 v10, vcc, v10, v15, vcc
	v_mul_lo_u32 v11, s0, v10
	v_mul_hi_u32 v15, s0, v3
	v_add_u32_e32 v11, v15, v11
	v_mul_lo_u32 v15, s1, v3
	v_add_u32_e32 v11, v11, v15
	v_mul_lo_u32 v16, s0, v3
	v_mul_hi_u32 v17, v10, v16
	v_mul_lo_u32 v18, v10, v16
	v_mul_lo_u32 v20, v3, v11
	v_mul_hi_u32 v16, v3, v16
	v_mul_hi_u32 v19, v3, v11
	v_add_co_u32_e32 v16, vcc, v16, v20
	v_addc_co_u32_e32 v19, vcc, 0, v19, vcc
	v_add_co_u32_e32 v16, vcc, v16, v18
	v_mul_hi_u32 v15, v10, v11
	v_addc_co_u32_e32 v16, vcc, v19, v17, vcc
	v_addc_co_u32_e32 v15, vcc, 0, v15, vcc
	v_mul_lo_u32 v11, v10, v11
	v_add_co_u32_e32 v11, vcc, v16, v11
	v_addc_co_u32_e32 v15, vcc, 0, v15, vcc
	v_add_co_u32_e32 v3, vcc, v3, v11
	v_addc_co_u32_e32 v15, vcc, v10, v15, vcc
	v_ashrrev_i32_e32 v18, 31, v7
	v_add_co_u32_e32 v10, vcc, v6, v18
	v_addc_co_u32_e32 v11, vcc, v7, v18, vcc
	v_xor_b32_e32 v20, v10, v18
	v_xor_b32_e32 v19, v11, v18
	v_mad_u64_u32 v[10:11], s[0:1], v20, v15, 0
	v_mul_hi_u32 v16, v20, v3
	v_add_co_u32_e32 v21, vcc, v16, v10
	v_addc_co_u32_e32 v22, vcc, 0, v11, vcc
	v_mad_u64_u32 v[16:17], s[0:1], v19, v3, 0
	v_add_co_u32_e32 v3, vcc, v21, v16
	v_mad_u64_u32 v[10:11], s[0:1], v19, v15, 0
	v_addc_co_u32_e32 v3, vcc, v22, v17, vcc
	v_addc_co_u32_e32 v11, vcc, 0, v11, vcc
	v_add_co_u32_e32 v3, vcc, v3, v10
	v_addc_co_u32_e32 v15, vcc, 0, v11, vcc
	v_mul_lo_u32 v16, s47, v3
	v_mul_lo_u32 v17, s46, v15
	v_mad_u64_u32 v[10:11], s[0:1], s46, v3, 0
	v_add3_u32 v11, v11, v17, v16
	v_sub_u32_e32 v16, v19, v11
	v_mov_b32_e32 v17, s47
	v_sub_co_u32_e32 v10, vcc, v20, v10
	v_subb_co_u32_e64 v16, s[0:1], v16, v17, vcc
	v_subrev_co_u32_e64 v17, s[0:1], s46, v10
	v_subbrev_co_u32_e64 v16, s[0:1], 0, v16, s[0:1]
	v_cmp_le_u32_e64 s[0:1], s47, v16
	v_cndmask_b32_e64 v20, 0, -1, s[0:1]
	v_cmp_le_u32_e64 s[0:1], s46, v17
	v_cndmask_b32_e64 v17, 0, -1, s[0:1]
	v_cmp_eq_u32_e64 s[0:1], s47, v16
	v_cndmask_b32_e64 v16, v20, v17, s[0:1]
	v_add_co_u32_e64 v17, s[0:1], 2, v3
	v_subb_co_u32_e32 v11, vcc, v19, v11, vcc
	v_addc_co_u32_e64 v20, s[0:1], 0, v15, s[0:1]
	v_cmp_le_u32_e32 vcc, s47, v11
	v_add_co_u32_e64 v21, s[0:1], 1, v3
	v_cndmask_b32_e64 v19, 0, -1, vcc
	v_cmp_le_u32_e32 vcc, s46, v10
	v_addc_co_u32_e64 v22, s[0:1], 0, v15, s[0:1]
	v_cndmask_b32_e64 v10, 0, -1, vcc
	v_cmp_eq_u32_e32 vcc, s47, v11
	v_cmp_ne_u32_e64 s[0:1], 0, v16
	v_cndmask_b32_e32 v10, v19, v10, vcc
	v_cmp_ne_u32_e32 vcc, 0, v10
	v_cndmask_b32_e64 v11, v21, v17, s[0:1]
	v_cndmask_b32_e64 v16, v22, v20, s[0:1]
	v_cndmask_b32_e32 v3, v3, v11, vcc
	v_xor_b32_e32 v11, s44, v18
	v_cndmask_b32_e32 v10, v15, v16, vcc
	v_xor_b32_e32 v3, v3, v11
	v_xor_b32_e32 v15, v10, v11
	v_sub_co_u32_e32 v10, vcc, v3, v11
	v_subb_co_u32_e32 v11, vcc, v15, v11, vcc
.LBB102_25:                             ;   in Loop: Header=BB102_23 Depth=2
	s_andn2_saveexec_b64 s[0:1], s[42:43]
	s_cbranch_execz .LBB102_22
; %bb.26:                               ;   in Loop: Header=BB102_23 Depth=2
	v_cvt_f32_u32_e32 v3, s40
	s_sub_i32 s42, 0, s40
	v_rcp_iflag_f32_e32 v3, v3
	v_mul_f32_e32 v3, 0x4f7ffffe, v3
	v_cvt_u32_f32_e32 v3, v3
	v_mul_lo_u32 v10, s42, v3
	v_mul_hi_u32 v10, v3, v10
	v_add_u32_e32 v3, v3, v10
	v_mul_hi_u32 v3, v6, v3
	v_mul_lo_u32 v10, v3, s40
	v_sub_u32_e32 v10, v6, v10
	v_add_u32_e32 v11, 1, v3
	v_subrev_u32_e32 v15, s40, v10
	v_cmp_le_u32_e32 vcc, s40, v10
	v_cndmask_b32_e32 v10, v10, v15, vcc
	v_cndmask_b32_e32 v3, v3, v11, vcc
	v_add_u32_e32 v11, 1, v3
	v_cmp_le_u32_e32 vcc, s40, v10
	v_cndmask_b32_e32 v10, v3, v11, vcc
	v_mov_b32_e32 v11, v2
	s_branch .LBB102_22
.LBB102_27:
	s_endpgm
	.section	.rodata,"a",@progbits
	.p2align	6, 0x0
	.amdhsa_kernel _ZN2at6native16triu_tril_kernelIblLb1ELi4ELb1EEEvNS_4cuda6detail10TensorInfoIT_T0_EENS4_IKS5_S6_EEllS6_
		.amdhsa_group_segment_fixed_size 0
		.amdhsa_private_segment_fixed_size 0
		.amdhsa_kernarg_size 1112
		.amdhsa_user_sgpr_count 6
		.amdhsa_user_sgpr_private_segment_buffer 1
		.amdhsa_user_sgpr_dispatch_ptr 0
		.amdhsa_user_sgpr_queue_ptr 0
		.amdhsa_user_sgpr_kernarg_segment_ptr 1
		.amdhsa_user_sgpr_dispatch_id 0
		.amdhsa_user_sgpr_flat_scratch_init 0
		.amdhsa_user_sgpr_kernarg_preload_length 0
		.amdhsa_user_sgpr_kernarg_preload_offset 0
		.amdhsa_user_sgpr_private_segment_size 0
		.amdhsa_uses_dynamic_stack 0
		.amdhsa_system_sgpr_private_segment_wavefront_offset 0
		.amdhsa_system_sgpr_workgroup_id_x 1
		.amdhsa_system_sgpr_workgroup_id_y 0
		.amdhsa_system_sgpr_workgroup_id_z 0
		.amdhsa_system_sgpr_workgroup_info 0
		.amdhsa_system_vgpr_workitem_id 0
		.amdhsa_next_free_vgpr 23
		.amdhsa_next_free_sgpr 49
		.amdhsa_accum_offset 24
		.amdhsa_reserve_vcc 1
		.amdhsa_reserve_flat_scratch 0
		.amdhsa_float_round_mode_32 0
		.amdhsa_float_round_mode_16_64 0
		.amdhsa_float_denorm_mode_32 3
		.amdhsa_float_denorm_mode_16_64 3
		.amdhsa_dx10_clamp 1
		.amdhsa_ieee_mode 1
		.amdhsa_fp16_overflow 0
		.amdhsa_tg_split 0
		.amdhsa_exception_fp_ieee_invalid_op 0
		.amdhsa_exception_fp_denorm_src 0
		.amdhsa_exception_fp_ieee_div_zero 0
		.amdhsa_exception_fp_ieee_overflow 0
		.amdhsa_exception_fp_ieee_underflow 0
		.amdhsa_exception_fp_ieee_inexact 0
		.amdhsa_exception_int_div_zero 0
	.end_amdhsa_kernel
	.section	.text._ZN2at6native16triu_tril_kernelIblLb1ELi4ELb1EEEvNS_4cuda6detail10TensorInfoIT_T0_EENS4_IKS5_S6_EEllS6_,"axG",@progbits,_ZN2at6native16triu_tril_kernelIblLb1ELi4ELb1EEEvNS_4cuda6detail10TensorInfoIT_T0_EENS4_IKS5_S6_EEllS6_,comdat
.Lfunc_end102:
	.size	_ZN2at6native16triu_tril_kernelIblLb1ELi4ELb1EEEvNS_4cuda6detail10TensorInfoIT_T0_EENS4_IKS5_S6_EEllS6_, .Lfunc_end102-_ZN2at6native16triu_tril_kernelIblLb1ELi4ELb1EEEvNS_4cuda6detail10TensorInfoIT_T0_EENS4_IKS5_S6_EEllS6_
                                        ; -- End function
	.section	.AMDGPU.csdata,"",@progbits
; Kernel info:
; codeLenInByte = 3320
; NumSgprs: 53
; NumVgprs: 23
; NumAgprs: 0
; TotalNumVgprs: 23
; ScratchSize: 0
; MemoryBound: 0
; FloatMode: 240
; IeeeMode: 1
; LDSByteSize: 0 bytes/workgroup (compile time only)
; SGPRBlocks: 6
; VGPRBlocks: 2
; NumSGPRsForWavesPerEU: 53
; NumVGPRsForWavesPerEU: 23
; AccumOffset: 24
; Occupancy: 8
; WaveLimiterHint : 0
; COMPUTE_PGM_RSRC2:SCRATCH_EN: 0
; COMPUTE_PGM_RSRC2:USER_SGPR: 6
; COMPUTE_PGM_RSRC2:TRAP_HANDLER: 0
; COMPUTE_PGM_RSRC2:TGID_X_EN: 1
; COMPUTE_PGM_RSRC2:TGID_Y_EN: 0
; COMPUTE_PGM_RSRC2:TGID_Z_EN: 0
; COMPUTE_PGM_RSRC2:TIDIG_COMP_CNT: 0
; COMPUTE_PGM_RSRC3_GFX90A:ACCUM_OFFSET: 5
; COMPUTE_PGM_RSRC3_GFX90A:TG_SPLIT: 0
	.section	.text._ZN2at6native16triu_tril_kernelIblLb1ELi4ELb0EEEvNS_4cuda6detail10TensorInfoIT_T0_EENS4_IKS5_S6_EEllS6_,"axG",@progbits,_ZN2at6native16triu_tril_kernelIblLb1ELi4ELb0EEEvNS_4cuda6detail10TensorInfoIT_T0_EENS4_IKS5_S6_EEllS6_,comdat
	.protected	_ZN2at6native16triu_tril_kernelIblLb1ELi4ELb0EEEvNS_4cuda6detail10TensorInfoIT_T0_EENS4_IKS5_S6_EEllS6_ ; -- Begin function _ZN2at6native16triu_tril_kernelIblLb1ELi4ELb0EEEvNS_4cuda6detail10TensorInfoIT_T0_EENS4_IKS5_S6_EEllS6_
	.globl	_ZN2at6native16triu_tril_kernelIblLb1ELi4ELb0EEEvNS_4cuda6detail10TensorInfoIT_T0_EENS4_IKS5_S6_EEllS6_
	.p2align	8
	.type	_ZN2at6native16triu_tril_kernelIblLb1ELi4ELb0EEEvNS_4cuda6detail10TensorInfoIT_T0_EENS4_IKS5_S6_EEllS6_,@function
_ZN2at6native16triu_tril_kernelIblLb1ELi4ELb0EEEvNS_4cuda6detail10TensorInfoIT_T0_EENS4_IKS5_S6_EEllS6_: ; @_ZN2at6native16triu_tril_kernelIblLb1ELi4ELb0EEEvNS_4cuda6detail10TensorInfoIT_T0_EENS4_IKS5_S6_EEllS6_
; %bb.0:
	s_load_dword s2, s[4:5], 0x364
	s_load_dwordx4 s[8:11], s[4:5], 0x340
	s_add_u32 s0, s4, 0x358
	v_mov_b32_e32 v2, 0
	s_addc_u32 s1, s5, 0
	s_waitcnt lgkmcnt(0)
	s_and_b32 s2, s2, 0xffff
	v_mov_b32_e32 v1, v2
	v_mov_b32_e32 v3, s6
	v_mad_u64_u32 v[0:1], s[6:7], s2, v3, v[0:1]
	v_lshlrev_b64 v[0:1], 2, v[0:1]
	s_mov_b32 s33, 0xffff
	v_cmp_gt_i64_e32 vcc, s[10:11], v[0:1]
	s_and_saveexec_b64 s[6:7], vcc
	s_cbranch_execz .LBB103_32
; %bb.1:
	s_load_dword s3, s[0:1], 0x0
	s_load_dwordx2 s[24:25], s[4:5], 0x350
	s_load_dword s6, s[4:5], 0x338
	s_add_u32 s12, s4, 0x1a0
	s_addc_u32 s13, s5, 0
	s_waitcnt lgkmcnt(0)
	s_mul_i32 s34, s3, s2
	v_cvt_f32_u32_e32 v3, s24
	s_ashr_i32 s7, s6, 31
	s_add_u32 s36, s4, 0x1a8
	s_addc_u32 s37, s5, 0
	s_lshl_b64 s[0:1], s[6:7], 3
	v_cmp_gt_i64_e64 s[28:29], s[6:7], 2
	s_add_u32 s7, s0, -16
	s_addc_u32 s20, s1, -1
	s_add_u32 s0, s36, s7
	s_addc_u32 s1, s37, s20
	s_add_u32 s2, s12, s7
	s_addc_u32 s3, s13, s20
	;; [unrolled: 2-line block ×3, first 2 shown]
	s_load_dwordx4 s[12:15], s[0:1], 0x0
	s_load_dwordx4 s[16:19], s[2:3], 0xd0
	s_add_u32 s0, s35, s7
	s_addc_u32 s1, s38, s20
	s_load_dwordx4 s[20:23], s[0:1], 0x0
	s_load_dwordx2 s[30:31], s[4:5], 0x0
	s_add_i32 s0, s6, -3
	v_rcp_iflag_f32_e32 v3, v3
	s_ashr_i32 s1, s0, 31
	s_lshl_b32 s50, s34, 2
	s_lshl_b64 s[2:3], s[0:1], 3
	s_add_u32 s34, s35, s2
	s_load_dwordx2 s[26:27], s[4:5], 0x1a0
	s_addc_u32 s35, s38, s3
	v_mul_f32_e32 v3, 0x4f7ffffe, v3
	s_add_u32 s36, s36, s2
	v_cvt_u32_f32_e32 v14, v3
	s_addc_u32 s37, s37, s3
	s_add_u32 s38, s0, 1
	s_mov_b32 s51, 0
	s_addc_u32 s39, s1, 0
	s_mov_b64 s[40:41], 0
	v_mov_b32_e32 v15, 1
	s_branch .LBB103_3
.LBB103_2:                              ;   in Loop: Header=BB103_3 Depth=1
	s_or_b64 exec, exec, s[0:1]
	v_mov_b32_e32 v3, s51
	v_add_co_u32_e32 v0, vcc, s50, v0
	v_addc_co_u32_e32 v1, vcc, v1, v3, vcc
	v_cmp_le_i64_e32 vcc, s[10:11], v[0:1]
	s_or_b64 s[40:41], vcc, s[40:41]
	s_andn2_b64 exec, exec, s[40:41]
	s_cbranch_execz .LBB103_32
.LBB103_3:                              ; =>This Loop Header: Depth=1
                                        ;     Child Loop BB103_28 Depth 2
	v_or_b32_e32 v3, s25, v1
	v_cmp_ne_u64_e32 vcc, 0, v[2:3]
                                        ; implicit-def: $vgpr6_vgpr7
	s_and_saveexec_b64 s[0:1], vcc
	s_xor_b64 s[2:3], exec, s[0:1]
	s_cbranch_execz .LBB103_5
; %bb.4:                                ;   in Loop: Header=BB103_3 Depth=1
	s_ashr_i32 s4, s25, 31
	s_add_u32 s0, s24, s4
	s_mov_b32 s5, s4
	s_addc_u32 s1, s25, s4
	s_xor_b64 s[6:7], s[0:1], s[4:5]
	v_cvt_f32_u32_e32 v3, s6
	v_cvt_f32_u32_e32 v4, s7
	s_sub_u32 s0, 0, s6
	s_subb_u32 s1, 0, s7
	v_mac_f32_e32 v3, 0x4f800000, v4
	v_rcp_f32_e32 v3, v3
	v_mul_f32_e32 v3, 0x5f7ffffc, v3
	v_mul_f32_e32 v4, 0x2f800000, v3
	v_trunc_f32_e32 v4, v4
	v_mac_f32_e32 v3, 0xcf800000, v4
	v_cvt_u32_f32_e32 v4, v4
	v_cvt_u32_f32_e32 v3, v3
	v_mul_lo_u32 v5, s0, v4
	v_mul_hi_u32 v7, s0, v3
	v_mul_lo_u32 v6, s1, v3
	v_add_u32_e32 v5, v7, v5
	v_mul_lo_u32 v8, s0, v3
	v_add_u32_e32 v5, v5, v6
	v_mul_lo_u32 v7, v3, v5
	v_mul_hi_u32 v9, v3, v8
	v_mul_hi_u32 v6, v3, v5
	v_add_co_u32_e32 v7, vcc, v9, v7
	v_addc_co_u32_e32 v6, vcc, 0, v6, vcc
	v_mul_hi_u32 v10, v4, v8
	v_mul_lo_u32 v8, v4, v8
	v_add_co_u32_e32 v7, vcc, v7, v8
	v_mul_hi_u32 v9, v4, v5
	v_addc_co_u32_e32 v6, vcc, v6, v10, vcc
	v_addc_co_u32_e32 v7, vcc, 0, v9, vcc
	v_mul_lo_u32 v5, v4, v5
	v_add_co_u32_e32 v5, vcc, v6, v5
	v_addc_co_u32_e32 v6, vcc, 0, v7, vcc
	v_add_co_u32_e32 v3, vcc, v3, v5
	v_addc_co_u32_e32 v4, vcc, v4, v6, vcc
	v_mul_lo_u32 v5, s0, v4
	v_mul_hi_u32 v6, s0, v3
	v_add_u32_e32 v5, v6, v5
	v_mul_lo_u32 v6, s1, v3
	v_add_u32_e32 v5, v5, v6
	v_mul_lo_u32 v7, s0, v3
	v_mul_hi_u32 v8, v4, v7
	v_mul_lo_u32 v9, v4, v7
	v_mul_lo_u32 v11, v3, v5
	v_mul_hi_u32 v7, v3, v7
	v_mul_hi_u32 v10, v3, v5
	v_add_co_u32_e32 v7, vcc, v7, v11
	v_addc_co_u32_e32 v10, vcc, 0, v10, vcc
	v_add_co_u32_e32 v7, vcc, v7, v9
	v_mul_hi_u32 v6, v4, v5
	v_addc_co_u32_e32 v7, vcc, v10, v8, vcc
	v_addc_co_u32_e32 v6, vcc, 0, v6, vcc
	v_mul_lo_u32 v5, v4, v5
	v_add_co_u32_e32 v5, vcc, v7, v5
	v_addc_co_u32_e32 v6, vcc, 0, v6, vcc
	v_add_co_u32_e32 v3, vcc, v3, v5
	v_addc_co_u32_e32 v6, vcc, v4, v6, vcc
	v_ashrrev_i32_e32 v8, 31, v1
	v_add_co_u32_e32 v4, vcc, v0, v8
	v_addc_co_u32_e32 v5, vcc, v1, v8, vcc
	v_xor_b32_e32 v10, v4, v8
	v_xor_b32_e32 v9, v5, v8
	v_mad_u64_u32 v[4:5], s[0:1], v10, v6, 0
	v_mul_hi_u32 v7, v10, v3
	v_add_co_u32_e32 v11, vcc, v7, v4
	v_addc_co_u32_e32 v12, vcc, 0, v5, vcc
	v_mad_u64_u32 v[4:5], s[0:1], v9, v6, 0
	v_mad_u64_u32 v[6:7], s[0:1], v9, v3, 0
	v_add_co_u32_e32 v3, vcc, v11, v6
	v_addc_co_u32_e32 v3, vcc, v12, v7, vcc
	v_addc_co_u32_e32 v5, vcc, 0, v5, vcc
	v_add_co_u32_e32 v3, vcc, v3, v4
	v_addc_co_u32_e32 v6, vcc, 0, v5, vcc
	v_mul_lo_u32 v7, s7, v3
	v_mul_lo_u32 v11, s6, v6
	v_mad_u64_u32 v[4:5], s[0:1], s6, v3, 0
	v_add3_u32 v5, v5, v11, v7
	v_sub_u32_e32 v7, v9, v5
	v_mov_b32_e32 v11, s7
	v_sub_co_u32_e32 v4, vcc, v10, v4
	v_subb_co_u32_e64 v7, s[0:1], v7, v11, vcc
	v_subrev_co_u32_e64 v10, s[0:1], s6, v4
	v_subbrev_co_u32_e64 v7, s[0:1], 0, v7, s[0:1]
	v_cmp_le_u32_e64 s[0:1], s7, v7
	v_cndmask_b32_e64 v11, 0, -1, s[0:1]
	v_cmp_le_u32_e64 s[0:1], s6, v10
	v_cndmask_b32_e64 v10, 0, -1, s[0:1]
	v_cmp_eq_u32_e64 s[0:1], s7, v7
	v_cndmask_b32_e64 v7, v11, v10, s[0:1]
	v_add_co_u32_e64 v10, s[0:1], 2, v3
	v_subb_co_u32_e32 v5, vcc, v9, v5, vcc
	v_addc_co_u32_e64 v11, s[0:1], 0, v6, s[0:1]
	v_cmp_le_u32_e32 vcc, s7, v5
	v_add_co_u32_e64 v12, s[0:1], 1, v3
	v_cndmask_b32_e64 v9, 0, -1, vcc
	v_cmp_le_u32_e32 vcc, s6, v4
	v_addc_co_u32_e64 v13, s[0:1], 0, v6, s[0:1]
	v_cndmask_b32_e64 v4, 0, -1, vcc
	v_cmp_eq_u32_e32 vcc, s7, v5
	v_cmp_ne_u32_e64 s[0:1], 0, v7
	v_cndmask_b32_e32 v4, v9, v4, vcc
	v_cmp_ne_u32_e32 vcc, 0, v4
	v_cndmask_b32_e64 v5, v12, v10, s[0:1]
	v_cndmask_b32_e64 v7, v13, v11, s[0:1]
	v_cndmask_b32_e32 v3, v3, v5, vcc
	v_xor_b32_e32 v5, s4, v8
	v_cndmask_b32_e32 v4, v6, v7, vcc
	v_xor_b32_e32 v3, v3, v5
	v_xor_b32_e32 v4, v4, v5
	v_sub_co_u32_e32 v6, vcc, v3, v5
	v_subb_co_u32_e32 v7, vcc, v4, v5, vcc
.LBB103_5:                              ;   in Loop: Header=BB103_3 Depth=1
	s_andn2_saveexec_b64 s[0:1], s[2:3]
	s_cbranch_execz .LBB103_7
; %bb.6:                                ;   in Loop: Header=BB103_3 Depth=1
	s_sub_i32 s2, 0, s24
	v_mul_lo_u32 v3, s2, v14
	v_mul_hi_u32 v3, v14, v3
	v_add_u32_e32 v3, v14, v3
	v_mul_hi_u32 v3, v0, v3
	v_mul_lo_u32 v4, v3, s24
	v_sub_u32_e32 v4, v0, v4
	v_subrev_u32_e32 v5, s24, v4
	v_cmp_le_u32_e32 vcc, s24, v4
	v_cndmask_b32_e32 v4, v4, v5, vcc
	v_add_u32_e32 v5, 1, v3
	v_cndmask_b32_e32 v3, v3, v5, vcc
	v_add_u32_e32 v5, 1, v3
	v_cmp_le_u32_e32 vcc, s24, v4
	v_cndmask_b32_e32 v6, v3, v5, vcc
	v_mov_b32_e32 v7, v2
.LBB103_7:                              ;   in Loop: Header=BB103_3 Depth=1
	s_or_b64 exec, exec, s[0:1]
	s_waitcnt lgkmcnt(0)
	v_or_b32_e32 v3, s13, v7
	v_cmp_ne_u64_e32 vcc, 0, v[2:3]
                                        ; implicit-def: $vgpr10_vgpr11
	s_and_saveexec_b64 s[0:1], vcc
	s_xor_b64 s[2:3], exec, s[0:1]
	s_cbranch_execz .LBB103_9
; %bb.8:                                ;   in Loop: Header=BB103_3 Depth=1
	s_ashr_i32 s4, s13, 31
	s_add_u32 s0, s12, s4
	s_mov_b32 s5, s4
	s_addc_u32 s1, s13, s4
	s_xor_b64 s[6:7], s[0:1], s[4:5]
	v_cvt_f32_u32_e32 v3, s6
	v_cvt_f32_u32_e32 v4, s7
	s_sub_u32 s0, 0, s6
	s_subb_u32 s1, 0, s7
	v_mac_f32_e32 v3, 0x4f800000, v4
	v_rcp_f32_e32 v3, v3
	v_mul_f32_e32 v3, 0x5f7ffffc, v3
	v_mul_f32_e32 v4, 0x2f800000, v3
	v_trunc_f32_e32 v4, v4
	v_mac_f32_e32 v3, 0xcf800000, v4
	v_cvt_u32_f32_e32 v4, v4
	v_cvt_u32_f32_e32 v3, v3
	v_mul_lo_u32 v5, s0, v4
	v_mul_hi_u32 v9, s0, v3
	v_mul_lo_u32 v8, s1, v3
	v_add_u32_e32 v5, v9, v5
	v_mul_lo_u32 v10, s0, v3
	v_add_u32_e32 v5, v5, v8
	v_mul_lo_u32 v9, v3, v5
	v_mul_hi_u32 v11, v3, v10
	v_mul_hi_u32 v8, v3, v5
	v_add_co_u32_e32 v9, vcc, v11, v9
	v_addc_co_u32_e32 v8, vcc, 0, v8, vcc
	v_mul_hi_u32 v12, v4, v10
	v_mul_lo_u32 v10, v4, v10
	v_add_co_u32_e32 v9, vcc, v9, v10
	v_mul_hi_u32 v11, v4, v5
	v_addc_co_u32_e32 v8, vcc, v8, v12, vcc
	v_addc_co_u32_e32 v9, vcc, 0, v11, vcc
	v_mul_lo_u32 v5, v4, v5
	v_add_co_u32_e32 v5, vcc, v8, v5
	v_addc_co_u32_e32 v8, vcc, 0, v9, vcc
	v_add_co_u32_e32 v3, vcc, v3, v5
	v_addc_co_u32_e32 v4, vcc, v4, v8, vcc
	v_mul_lo_u32 v5, s0, v4
	v_mul_hi_u32 v8, s0, v3
	v_add_u32_e32 v5, v8, v5
	v_mul_lo_u32 v8, s1, v3
	v_add_u32_e32 v5, v5, v8
	v_mul_lo_u32 v9, s0, v3
	v_mul_hi_u32 v10, v4, v9
	v_mul_lo_u32 v11, v4, v9
	v_mul_lo_u32 v13, v3, v5
	v_mul_hi_u32 v9, v3, v9
	v_mul_hi_u32 v12, v3, v5
	v_add_co_u32_e32 v9, vcc, v9, v13
	v_addc_co_u32_e32 v12, vcc, 0, v12, vcc
	v_add_co_u32_e32 v9, vcc, v9, v11
	v_mul_hi_u32 v8, v4, v5
	v_addc_co_u32_e32 v9, vcc, v12, v10, vcc
	v_addc_co_u32_e32 v8, vcc, 0, v8, vcc
	v_mul_lo_u32 v5, v4, v5
	v_add_co_u32_e32 v5, vcc, v9, v5
	v_addc_co_u32_e32 v8, vcc, 0, v8, vcc
	v_add_co_u32_e32 v3, vcc, v3, v5
	v_addc_co_u32_e32 v8, vcc, v4, v8, vcc
	v_ashrrev_i32_e32 v10, 31, v7
	v_add_co_u32_e32 v4, vcc, v6, v10
	v_addc_co_u32_e32 v5, vcc, v7, v10, vcc
	v_xor_b32_e32 v12, v4, v10
	v_xor_b32_e32 v11, v5, v10
	v_mad_u64_u32 v[4:5], s[0:1], v12, v8, 0
	v_mul_hi_u32 v9, v12, v3
	v_add_co_u32_e32 v13, vcc, v9, v4
	v_addc_co_u32_e32 v16, vcc, 0, v5, vcc
	v_mad_u64_u32 v[4:5], s[0:1], v11, v8, 0
	v_mad_u64_u32 v[8:9], s[0:1], v11, v3, 0
	v_add_co_u32_e32 v3, vcc, v13, v8
	v_addc_co_u32_e32 v3, vcc, v16, v9, vcc
	v_addc_co_u32_e32 v5, vcc, 0, v5, vcc
	v_add_co_u32_e32 v3, vcc, v3, v4
	v_addc_co_u32_e32 v8, vcc, 0, v5, vcc
	v_mul_lo_u32 v9, s7, v3
	v_mul_lo_u32 v13, s6, v8
	v_mad_u64_u32 v[4:5], s[0:1], s6, v3, 0
	v_add3_u32 v5, v5, v13, v9
	v_sub_u32_e32 v9, v11, v5
	v_mov_b32_e32 v13, s7
	v_sub_co_u32_e32 v4, vcc, v12, v4
	v_subb_co_u32_e64 v9, s[0:1], v9, v13, vcc
	v_subrev_co_u32_e64 v12, s[0:1], s6, v4
	v_subbrev_co_u32_e64 v9, s[0:1], 0, v9, s[0:1]
	v_cmp_le_u32_e64 s[0:1], s7, v9
	v_cndmask_b32_e64 v13, 0, -1, s[0:1]
	v_cmp_le_u32_e64 s[0:1], s6, v12
	v_cndmask_b32_e64 v12, 0, -1, s[0:1]
	v_cmp_eq_u32_e64 s[0:1], s7, v9
	v_cndmask_b32_e64 v9, v13, v12, s[0:1]
	v_add_co_u32_e64 v12, s[0:1], 2, v3
	v_subb_co_u32_e32 v5, vcc, v11, v5, vcc
	v_addc_co_u32_e64 v13, s[0:1], 0, v8, s[0:1]
	v_cmp_le_u32_e32 vcc, s7, v5
	v_add_co_u32_e64 v16, s[0:1], 1, v3
	v_cndmask_b32_e64 v11, 0, -1, vcc
	v_cmp_le_u32_e32 vcc, s6, v4
	v_addc_co_u32_e64 v17, s[0:1], 0, v8, s[0:1]
	v_cndmask_b32_e64 v4, 0, -1, vcc
	v_cmp_eq_u32_e32 vcc, s7, v5
	v_cmp_ne_u32_e64 s[0:1], 0, v9
	v_cndmask_b32_e32 v4, v11, v4, vcc
	v_cmp_ne_u32_e32 vcc, 0, v4
	v_cndmask_b32_e64 v5, v16, v12, s[0:1]
	v_cndmask_b32_e64 v9, v17, v13, s[0:1]
	v_cndmask_b32_e32 v3, v3, v5, vcc
	v_xor_b32_e32 v5, s4, v10
	v_cndmask_b32_e32 v4, v8, v9, vcc
	v_xor_b32_e32 v3, v3, v5
	v_xor_b32_e32 v4, v4, v5
	v_sub_co_u32_e32 v10, vcc, v3, v5
	v_subb_co_u32_e32 v11, vcc, v4, v5, vcc
.LBB103_9:                              ;   in Loop: Header=BB103_3 Depth=1
	s_andn2_saveexec_b64 s[0:1], s[2:3]
	s_cbranch_execz .LBB103_11
; %bb.10:                               ;   in Loop: Header=BB103_3 Depth=1
	v_cvt_f32_u32_e32 v3, s12
	s_sub_i32 s2, 0, s12
	v_mov_b32_e32 v11, v2
	v_rcp_iflag_f32_e32 v3, v3
	v_mul_f32_e32 v3, 0x4f7ffffe, v3
	v_cvt_u32_f32_e32 v3, v3
	v_mul_lo_u32 v4, s2, v3
	v_mul_hi_u32 v4, v3, v4
	v_add_u32_e32 v3, v3, v4
	v_mul_hi_u32 v3, v6, v3
	v_mul_lo_u32 v4, v3, s12
	v_sub_u32_e32 v4, v6, v4
	v_add_u32_e32 v5, 1, v3
	v_subrev_u32_e32 v8, s12, v4
	v_cmp_le_u32_e32 vcc, s12, v4
	v_cndmask_b32_e32 v4, v4, v8, vcc
	v_cndmask_b32_e32 v3, v3, v5, vcc
	v_add_u32_e32 v5, 1, v3
	v_cmp_le_u32_e32 vcc, s12, v4
	v_cndmask_b32_e32 v10, v3, v5, vcc
.LBB103_11:                             ;   in Loop: Header=BB103_3 Depth=1
	s_or_b64 exec, exec, s[0:1]
	v_mul_lo_u32 v3, v7, s24
	v_mul_lo_u32 v8, v6, s25
	v_mad_u64_u32 v[4:5], s[0:1], v6, s24, 0
	v_add3_u32 v3, v5, v8, v3
	v_sub_co_u32_e32 v4, vcc, v0, v4
	v_subb_co_u32_e32 v5, vcc, v1, v3, vcc
	v_mul_lo_u32 v3, v11, s12
	v_mul_lo_u32 v12, v10, s13
	v_mad_u64_u32 v[8:9], s[0:1], v10, s12, 0
	v_add3_u32 v3, v9, v12, v3
	v_sub_co_u32_e32 v16, vcc, v6, v8
	v_subb_co_u32_e32 v17, vcc, v7, v3, vcc
	v_mul_lo_u32 v3, s19, v4
	v_mul_lo_u32 v8, s18, v5
	v_mad_u64_u32 v[6:7], s[0:1], s18, v4, 0
	v_add3_u32 v7, v7, v8, v3
	v_mul_lo_u32 v3, s23, v4
	v_mul_lo_u32 v8, s22, v5
	v_mad_u64_u32 v[12:13], s[0:1], s22, v4, 0
	v_add3_u32 v13, v13, v8, v3
	v_mad_u64_u32 v[8:9], s[0:1], s16, v16, v[6:7]
	v_mul_lo_u32 v3, s16, v17
	v_mul_lo_u32 v6, s17, v16
	v_add3_u32 v9, v6, v9, v3
	v_mad_u64_u32 v[6:7], s[0:1], s20, v16, v[12:13]
	v_mul_lo_u32 v3, s20, v17
	v_mul_lo_u32 v12, s21, v16
	v_add3_u32 v7, v12, v7, v3
	s_and_b64 vcc, exec, s[28:29]
	s_mov_b64 s[2:3], s[38:39]
	s_mov_b64 s[4:5], s[36:37]
	;; [unrolled: 1-line block ×3, first 2 shown]
	s_cbranch_vccnz .LBB103_28
.LBB103_12:                             ;   in Loop: Header=BB103_3 Depth=1
	v_sub_co_u32_e32 v10, vcc, v4, v16
	v_subb_co_u32_e32 v11, vcc, v5, v17, vcc
	v_add_co_u32_e32 v12, vcc, 4, v10
	v_addc_co_u32_e32 v13, vcc, 0, v11, vcc
	v_cmp_le_i64_e32 vcc, s[8:9], v[12:13]
	v_mov_b32_e32 v3, 0
	s_and_saveexec_b64 s[42:43], vcc
	s_cbranch_execz .LBB103_22
; %bb.13:                               ;   in Loop: Header=BB103_3 Depth=1
	v_cmp_gt_i64_e32 vcc, s[14:15], v[4:5]
	v_mov_b32_e32 v3, 0
	s_and_saveexec_b64 s[0:1], vcc
	s_cbranch_execz .LBB103_21
; %bb.14:                               ;   in Loop: Header=BB103_3 Depth=1
	v_mov_b32_e32 v3, s27
	v_add_co_u32_e32 v8, vcc, s26, v8
	v_addc_co_u32_e32 v9, vcc, v3, v9, vcc
	global_load_ubyte v3, v[8:9], off
	v_add_co_u32_e32 v12, vcc, 1, v4
	v_addc_co_u32_e32 v13, vcc, 0, v5, vcc
	v_cmp_gt_i64_e32 vcc, s[14:15], v[12:13]
	s_and_saveexec_b64 s[2:3], vcc
	s_xor_b64 s[2:3], exec, s[2:3]
	s_cbranch_execz .LBB103_20
; %bb.15:                               ;   in Loop: Header=BB103_3 Depth=1
	v_mov_b32_e32 v12, s19
	v_add_co_u32_e32 v8, vcc, s18, v8
	v_addc_co_u32_e32 v9, vcc, v9, v12, vcc
	global_load_ubyte v16, v[8:9], off
	v_add_co_u32_e32 v12, vcc, 2, v4
	v_addc_co_u32_e32 v13, vcc, 0, v5, vcc
	v_cmp_gt_i64_e32 vcc, s[14:15], v[12:13]
	s_waitcnt vmcnt(0)
	v_lshlrev_b16_e32 v16, 8, v16
	v_or_b32_e32 v3, v3, v16
	v_and_b32_e32 v3, 0xffff, v3
	s_and_saveexec_b64 s[4:5], vcc
	s_xor_b64 s[4:5], exec, s[4:5]
	s_cbranch_execz .LBB103_19
; %bb.16:                               ;   in Loop: Header=BB103_3 Depth=1
	v_mov_b32_e32 v12, s19
	v_add_co_u32_e32 v8, vcc, s18, v8
	v_addc_co_u32_e32 v9, vcc, v9, v12, vcc
	global_load_ubyte v16, v[8:9], off
	v_add_co_u32_e32 v12, vcc, 3, v4
	v_addc_co_u32_e32 v13, vcc, 0, v5, vcc
	v_cmp_gt_i64_e32 vcc, s[14:15], v[12:13]
	s_waitcnt vmcnt(0)
	v_lshl_or_b32 v3, v16, 16, v3
	s_and_saveexec_b64 s[6:7], vcc
	s_xor_b64 s[6:7], exec, s[6:7]
	s_cbranch_execz .LBB103_18
; %bb.17:                               ;   in Loop: Header=BB103_3 Depth=1
	v_mov_b32_e32 v12, s19
	v_add_co_u32_e32 v8, vcc, s18, v8
	v_addc_co_u32_e32 v9, vcc, v9, v12, vcc
	global_load_ubyte v8, v[8:9], off
	s_waitcnt vmcnt(0)
	v_lshlrev_b16_e32 v8, 8, v8
	v_or_b32_sdwa v8, v3, v8 dst_sel:WORD_1 dst_unused:UNUSED_PAD src0_sel:WORD_1 src1_sel:DWORD
	v_and_or_b32 v3, v3, s33, v8
.LBB103_18:                             ;   in Loop: Header=BB103_3 Depth=1
	s_or_b64 exec, exec, s[6:7]
.LBB103_19:                             ;   in Loop: Header=BB103_3 Depth=1
	s_or_b64 exec, exec, s[4:5]
.LBB103_20:                             ;   in Loop: Header=BB103_3 Depth=1
	s_or_b64 exec, exec, s[2:3]
.LBB103_21:                             ;   in Loop: Header=BB103_3 Depth=1
	s_or_b64 exec, exec, s[0:1]
	s_waitcnt vmcnt(0)
	v_and_b32_sdwa v8, v15, v3 dst_sel:DWORD dst_unused:UNUSED_PAD src0_sel:DWORD src1_sel:BYTE_1
	v_cmp_eq_u32_e32 vcc, 1, v8
	v_and_b32_e32 v8, 0x1000000, v3
	v_cmp_ne_u32_e64 s[0:1], 0, v8
	v_and_b32_e32 v8, 0x10000, v3
	v_and_b32_e32 v3, 1, v3
	v_cmp_eq_u32_e64 s[4:5], 1, v3
	v_cmp_le_i64_e64 s[6:7], s[8:9], v[10:11]
	s_and_b64 s[4:5], s[6:7], s[4:5]
	v_cmp_ne_u32_e64 s[2:3], 0, v8
	v_cndmask_b32_e64 v3, 0, 1, s[4:5]
	v_add_co_u32_e64 v8, s[4:5], 1, v10
	v_addc_co_u32_e64 v9, s[4:5], 0, v11, s[4:5]
	v_cmp_le_i64_e64 s[4:5], s[8:9], v[8:9]
	s_and_b64 s[4:5], s[4:5], vcc
	v_add_co_u32_e32 v8, vcc, 2, v10
	v_addc_co_u32_e32 v9, vcc, 0, v11, vcc
	v_cmp_le_i64_e32 vcc, s[8:9], v[8:9]
	s_and_b64 s[2:3], vcc, s[2:3]
	v_add_co_u32_e32 v8, vcc, 3, v10
	v_addc_co_u32_e32 v9, vcc, 0, v11, vcc
	v_cmp_le_i64_e32 vcc, s[8:9], v[8:9]
	s_and_b64 s[0:1], vcc, s[0:1]
	v_cndmask_b32_e64 v12, 0, 1, s[4:5]
	v_cndmask_b32_e64 v8, 0, 1, s[0:1]
	;; [unrolled: 1-line block ×3, first 2 shown]
	v_lshlrev_b16_e32 v9, 8, v12
	v_lshlrev_b16_e32 v8, 8, v8
	v_or_b32_e32 v3, v3, v9
	v_or_b32_sdwa v8, v13, v8 dst_sel:WORD_1 dst_unused:UNUSED_PAD src0_sel:DWORD src1_sel:DWORD
	v_or_b32_sdwa v3, v3, v8 dst_sel:DWORD dst_unused:UNUSED_PAD src0_sel:WORD_0 src1_sel:DWORD
.LBB103_22:                             ;   in Loop: Header=BB103_3 Depth=1
	s_or_b64 exec, exec, s[42:43]
	v_cmp_gt_i64_e32 vcc, s[14:15], v[4:5]
	s_and_saveexec_b64 s[0:1], vcc
	s_cbranch_execz .LBB103_2
; %bb.23:                               ;   in Loop: Header=BB103_3 Depth=1
	v_mov_b32_e32 v8, s31
	v_add_co_u32_e32 v6, vcc, s30, v6
	v_addc_co_u32_e32 v7, vcc, v8, v7, vcc
	v_add_co_u32_e32 v8, vcc, 1, v4
	v_addc_co_u32_e32 v9, vcc, 0, v5, vcc
	v_cmp_gt_i64_e32 vcc, s[14:15], v[8:9]
	global_store_byte v[6:7], v3, off
	s_and_saveexec_b64 s[2:3], vcc
	s_xor_b64 s[2:3], exec, s[2:3]
	s_cbranch_execz .LBB103_2
; %bb.24:                               ;   in Loop: Header=BB103_3 Depth=1
	v_mov_b32_e32 v9, s23
	v_add_co_u32_e32 v6, vcc, s22, v6
	v_lshrrev_b32_e32 v8, 8, v3
	v_addc_co_u32_e32 v7, vcc, v7, v9, vcc
	global_store_byte v[6:7], v8, off
	v_add_co_u32_e32 v8, vcc, 2, v4
	v_addc_co_u32_e32 v9, vcc, 0, v5, vcc
	v_cmp_gt_i64_e32 vcc, s[14:15], v[8:9]
	s_and_saveexec_b64 s[2:3], vcc
	s_xor_b64 s[2:3], exec, s[2:3]
	s_cbranch_execz .LBB103_2
; %bb.25:                               ;   in Loop: Header=BB103_3 Depth=1
	v_mov_b32_e32 v8, s23
	v_add_co_u32_e32 v6, vcc, s22, v6
	v_addc_co_u32_e32 v7, vcc, v7, v8, vcc
	v_add_co_u32_e32 v4, vcc, 3, v4
	v_addc_co_u32_e32 v5, vcc, 0, v5, vcc
	v_cmp_gt_i64_e32 vcc, s[14:15], v[4:5]
	global_store_byte_d16_hi v[6:7], v3, off
	s_and_saveexec_b64 s[2:3], vcc
	s_xor_b64 s[2:3], exec, s[2:3]
	s_cbranch_execz .LBB103_2
; %bb.26:                               ;   in Loop: Header=BB103_3 Depth=1
	v_mov_b32_e32 v5, s23
	v_add_co_u32_e32 v4, vcc, s22, v6
	v_lshrrev_b32_e32 v3, 24, v3
	v_addc_co_u32_e32 v5, vcc, v7, v5, vcc
	global_store_byte v[4:5], v3, off
	s_branch .LBB103_2
.LBB103_27:                             ;   in Loop: Header=BB103_28 Depth=2
	s_or_b64 exec, exec, s[0:1]
	v_mad_u64_u32 v[18:19], s[0:1], v12, s42, 0
	v_mul_lo_u32 v3, v13, s42
	v_mul_lo_u32 v20, v12, s43
	s_load_dwordx2 s[0:1], s[4:5], 0xc8
	s_load_dwordx2 s[42:43], s[6:7], 0x0
	s_add_u32 s6, s6, -8
	s_addc_u32 s7, s7, -1
	s_add_u32 s4, s4, -8
	v_add3_u32 v3, v19, v20, v3
	v_sub_co_u32_e32 v10, vcc, v10, v18
	s_addc_u32 s5, s5, -1
	v_subb_co_u32_e32 v3, vcc, v11, v3, vcc
	s_add_u32 s2, s2, -1
	s_waitcnt lgkmcnt(0)
	v_mul_lo_u32 v11, s0, v3
	v_mul_lo_u32 v18, s1, v10
	v_mad_u64_u32 v[8:9], s[0:1], s0, v10, v[8:9]
	v_mad_u64_u32 v[6:7], s[0:1], s42, v10, v[6:7]
	s_addc_u32 s3, s3, -1
	v_add3_u32 v9, v18, v9, v11
	v_mul_lo_u32 v3, s42, v3
	v_mul_lo_u32 v11, s43, v10
	v_cmp_lt_i64_e64 s[0:1], s[2:3], 1
	v_add3_u32 v7, v11, v7, v3
	s_and_b64 vcc, exec, s[0:1]
	v_pk_mov_b32 v[10:11], v[12:13], v[12:13] op_sel:[0,1]
	s_cbranch_vccnz .LBB103_12
.LBB103_28:                             ;   Parent Loop BB103_3 Depth=1
                                        ; =>  This Inner Loop Header: Depth=2
	s_load_dwordx2 s[42:43], s[4:5], 0x0
                                        ; implicit-def: $vgpr12_vgpr13
	s_waitcnt lgkmcnt(0)
	v_or_b32_e32 v3, s43, v11
	v_cmp_ne_u64_e32 vcc, 0, v[2:3]
	s_and_saveexec_b64 s[0:1], vcc
	s_xor_b64 s[44:45], exec, s[0:1]
	s_cbranch_execz .LBB103_30
; %bb.29:                               ;   in Loop: Header=BB103_28 Depth=2
	s_ashr_i32 s46, s43, 31
	s_add_u32 s0, s42, s46
	s_mov_b32 s47, s46
	s_addc_u32 s1, s43, s46
	s_xor_b64 s[48:49], s[0:1], s[46:47]
	v_cvt_f32_u32_e32 v3, s48
	v_cvt_f32_u32_e32 v12, s49
	s_sub_u32 s0, 0, s48
	s_subb_u32 s1, 0, s49
	v_mac_f32_e32 v3, 0x4f800000, v12
	v_rcp_f32_e32 v3, v3
	v_mul_f32_e32 v3, 0x5f7ffffc, v3
	v_mul_f32_e32 v12, 0x2f800000, v3
	v_trunc_f32_e32 v12, v12
	v_mac_f32_e32 v3, 0xcf800000, v12
	v_cvt_u32_f32_e32 v12, v12
	v_cvt_u32_f32_e32 v3, v3
	v_mul_lo_u32 v13, s0, v12
	v_mul_hi_u32 v19, s0, v3
	v_mul_lo_u32 v18, s1, v3
	v_add_u32_e32 v13, v19, v13
	v_mul_lo_u32 v20, s0, v3
	v_add_u32_e32 v13, v13, v18
	v_mul_lo_u32 v19, v3, v13
	v_mul_hi_u32 v21, v3, v20
	v_mul_hi_u32 v18, v3, v13
	v_add_co_u32_e32 v19, vcc, v21, v19
	v_addc_co_u32_e32 v18, vcc, 0, v18, vcc
	v_mul_hi_u32 v22, v12, v20
	v_mul_lo_u32 v20, v12, v20
	v_add_co_u32_e32 v19, vcc, v19, v20
	v_mul_hi_u32 v21, v12, v13
	v_addc_co_u32_e32 v18, vcc, v18, v22, vcc
	v_addc_co_u32_e32 v19, vcc, 0, v21, vcc
	v_mul_lo_u32 v13, v12, v13
	v_add_co_u32_e32 v13, vcc, v18, v13
	v_addc_co_u32_e32 v18, vcc, 0, v19, vcc
	v_add_co_u32_e32 v3, vcc, v3, v13
	v_addc_co_u32_e32 v12, vcc, v12, v18, vcc
	v_mul_lo_u32 v13, s0, v12
	v_mul_hi_u32 v18, s0, v3
	v_add_u32_e32 v13, v18, v13
	v_mul_lo_u32 v18, s1, v3
	v_add_u32_e32 v13, v13, v18
	v_mul_lo_u32 v19, s0, v3
	v_mul_hi_u32 v20, v12, v19
	v_mul_lo_u32 v21, v12, v19
	v_mul_lo_u32 v23, v3, v13
	v_mul_hi_u32 v19, v3, v19
	v_mul_hi_u32 v22, v3, v13
	v_add_co_u32_e32 v19, vcc, v19, v23
	v_addc_co_u32_e32 v22, vcc, 0, v22, vcc
	v_add_co_u32_e32 v19, vcc, v19, v21
	v_mul_hi_u32 v18, v12, v13
	v_addc_co_u32_e32 v19, vcc, v22, v20, vcc
	v_addc_co_u32_e32 v18, vcc, 0, v18, vcc
	v_mul_lo_u32 v13, v12, v13
	v_add_co_u32_e32 v13, vcc, v19, v13
	v_addc_co_u32_e32 v18, vcc, 0, v18, vcc
	v_add_co_u32_e32 v3, vcc, v3, v13
	v_addc_co_u32_e32 v18, vcc, v12, v18, vcc
	v_ashrrev_i32_e32 v20, 31, v11
	v_add_co_u32_e32 v12, vcc, v10, v20
	v_addc_co_u32_e32 v13, vcc, v11, v20, vcc
	v_xor_b32_e32 v22, v12, v20
	v_xor_b32_e32 v21, v13, v20
	v_mad_u64_u32 v[12:13], s[0:1], v22, v18, 0
	v_mul_hi_u32 v19, v22, v3
	v_add_co_u32_e32 v23, vcc, v19, v12
	v_addc_co_u32_e32 v24, vcc, 0, v13, vcc
	v_mad_u64_u32 v[12:13], s[0:1], v21, v18, 0
	v_mad_u64_u32 v[18:19], s[0:1], v21, v3, 0
	v_add_co_u32_e32 v3, vcc, v23, v18
	v_addc_co_u32_e32 v3, vcc, v24, v19, vcc
	v_addc_co_u32_e32 v13, vcc, 0, v13, vcc
	v_add_co_u32_e32 v3, vcc, v3, v12
	v_addc_co_u32_e32 v18, vcc, 0, v13, vcc
	v_mul_lo_u32 v19, s49, v3
	v_mul_lo_u32 v23, s48, v18
	v_mad_u64_u32 v[12:13], s[0:1], s48, v3, 0
	v_add3_u32 v13, v13, v23, v19
	v_sub_u32_e32 v19, v21, v13
	v_mov_b32_e32 v23, s49
	v_sub_co_u32_e32 v12, vcc, v22, v12
	v_subb_co_u32_e64 v19, s[0:1], v19, v23, vcc
	v_subrev_co_u32_e64 v22, s[0:1], s48, v12
	v_subbrev_co_u32_e64 v19, s[0:1], 0, v19, s[0:1]
	v_cmp_le_u32_e64 s[0:1], s49, v19
	v_cndmask_b32_e64 v23, 0, -1, s[0:1]
	v_cmp_le_u32_e64 s[0:1], s48, v22
	v_cndmask_b32_e64 v22, 0, -1, s[0:1]
	v_cmp_eq_u32_e64 s[0:1], s49, v19
	v_cndmask_b32_e64 v19, v23, v22, s[0:1]
	v_add_co_u32_e64 v22, s[0:1], 2, v3
	v_subb_co_u32_e32 v13, vcc, v21, v13, vcc
	v_addc_co_u32_e64 v23, s[0:1], 0, v18, s[0:1]
	v_cmp_le_u32_e32 vcc, s49, v13
	v_add_co_u32_e64 v24, s[0:1], 1, v3
	v_cndmask_b32_e64 v21, 0, -1, vcc
	v_cmp_le_u32_e32 vcc, s48, v12
	v_addc_co_u32_e64 v25, s[0:1], 0, v18, s[0:1]
	v_cndmask_b32_e64 v12, 0, -1, vcc
	v_cmp_eq_u32_e32 vcc, s49, v13
	v_cmp_ne_u32_e64 s[0:1], 0, v19
	v_cndmask_b32_e32 v12, v21, v12, vcc
	v_cmp_ne_u32_e32 vcc, 0, v12
	v_cndmask_b32_e64 v13, v24, v22, s[0:1]
	v_cndmask_b32_e64 v19, v25, v23, s[0:1]
	v_cndmask_b32_e32 v3, v3, v13, vcc
	v_xor_b32_e32 v13, s46, v20
	v_cndmask_b32_e32 v12, v18, v19, vcc
	v_xor_b32_e32 v3, v3, v13
	v_xor_b32_e32 v18, v12, v13
	v_sub_co_u32_e32 v12, vcc, v3, v13
	v_subb_co_u32_e32 v13, vcc, v18, v13, vcc
.LBB103_30:                             ;   in Loop: Header=BB103_28 Depth=2
	s_andn2_saveexec_b64 s[0:1], s[44:45]
	s_cbranch_execz .LBB103_27
; %bb.31:                               ;   in Loop: Header=BB103_28 Depth=2
	v_cvt_f32_u32_e32 v3, s42
	s_sub_i32 s44, 0, s42
	v_rcp_iflag_f32_e32 v3, v3
	v_mul_f32_e32 v3, 0x4f7ffffe, v3
	v_cvt_u32_f32_e32 v3, v3
	v_mul_lo_u32 v12, s44, v3
	v_mul_hi_u32 v12, v3, v12
	v_add_u32_e32 v3, v3, v12
	v_mul_hi_u32 v3, v10, v3
	v_mul_lo_u32 v12, v3, s42
	v_sub_u32_e32 v12, v10, v12
	v_add_u32_e32 v13, 1, v3
	v_subrev_u32_e32 v18, s42, v12
	v_cmp_le_u32_e32 vcc, s42, v12
	v_cndmask_b32_e32 v12, v12, v18, vcc
	v_cndmask_b32_e32 v3, v3, v13, vcc
	v_add_u32_e32 v13, 1, v3
	v_cmp_le_u32_e32 vcc, s42, v12
	v_cndmask_b32_e32 v12, v3, v13, vcc
	v_mov_b32_e32 v13, v2
	s_branch .LBB103_27
.LBB103_32:
	s_endpgm
	.section	.rodata,"a",@progbits
	.p2align	6, 0x0
	.amdhsa_kernel _ZN2at6native16triu_tril_kernelIblLb1ELi4ELb0EEEvNS_4cuda6detail10TensorInfoIT_T0_EENS4_IKS5_S6_EEllS6_
		.amdhsa_group_segment_fixed_size 0
		.amdhsa_private_segment_fixed_size 0
		.amdhsa_kernarg_size 1112
		.amdhsa_user_sgpr_count 6
		.amdhsa_user_sgpr_private_segment_buffer 1
		.amdhsa_user_sgpr_dispatch_ptr 0
		.amdhsa_user_sgpr_queue_ptr 0
		.amdhsa_user_sgpr_kernarg_segment_ptr 1
		.amdhsa_user_sgpr_dispatch_id 0
		.amdhsa_user_sgpr_flat_scratch_init 0
		.amdhsa_user_sgpr_kernarg_preload_length 0
		.amdhsa_user_sgpr_kernarg_preload_offset 0
		.amdhsa_user_sgpr_private_segment_size 0
		.amdhsa_uses_dynamic_stack 0
		.amdhsa_system_sgpr_private_segment_wavefront_offset 0
		.amdhsa_system_sgpr_workgroup_id_x 1
		.amdhsa_system_sgpr_workgroup_id_y 0
		.amdhsa_system_sgpr_workgroup_id_z 0
		.amdhsa_system_sgpr_workgroup_info 0
		.amdhsa_system_vgpr_workitem_id 0
		.amdhsa_next_free_vgpr 26
		.amdhsa_next_free_sgpr 52
		.amdhsa_accum_offset 28
		.amdhsa_reserve_vcc 1
		.amdhsa_reserve_flat_scratch 0
		.amdhsa_float_round_mode_32 0
		.amdhsa_float_round_mode_16_64 0
		.amdhsa_float_denorm_mode_32 3
		.amdhsa_float_denorm_mode_16_64 3
		.amdhsa_dx10_clamp 1
		.amdhsa_ieee_mode 1
		.amdhsa_fp16_overflow 0
		.amdhsa_tg_split 0
		.amdhsa_exception_fp_ieee_invalid_op 0
		.amdhsa_exception_fp_denorm_src 0
		.amdhsa_exception_fp_ieee_div_zero 0
		.amdhsa_exception_fp_ieee_overflow 0
		.amdhsa_exception_fp_ieee_underflow 0
		.amdhsa_exception_fp_ieee_inexact 0
		.amdhsa_exception_int_div_zero 0
	.end_amdhsa_kernel
	.section	.text._ZN2at6native16triu_tril_kernelIblLb1ELi4ELb0EEEvNS_4cuda6detail10TensorInfoIT_T0_EENS4_IKS5_S6_EEllS6_,"axG",@progbits,_ZN2at6native16triu_tril_kernelIblLb1ELi4ELb0EEEvNS_4cuda6detail10TensorInfoIT_T0_EENS4_IKS5_S6_EEllS6_,comdat
.Lfunc_end103:
	.size	_ZN2at6native16triu_tril_kernelIblLb1ELi4ELb0EEEvNS_4cuda6detail10TensorInfoIT_T0_EENS4_IKS5_S6_EEllS6_, .Lfunc_end103-_ZN2at6native16triu_tril_kernelIblLb1ELi4ELb0EEEvNS_4cuda6detail10TensorInfoIT_T0_EENS4_IKS5_S6_EEllS6_
                                        ; -- End function
	.section	.AMDGPU.csdata,"",@progbits
; Kernel info:
; codeLenInByte = 3800
; NumSgprs: 56
; NumVgprs: 26
; NumAgprs: 0
; TotalNumVgprs: 26
; ScratchSize: 0
; MemoryBound: 0
; FloatMode: 240
; IeeeMode: 1
; LDSByteSize: 0 bytes/workgroup (compile time only)
; SGPRBlocks: 6
; VGPRBlocks: 3
; NumSGPRsForWavesPerEU: 56
; NumVGPRsForWavesPerEU: 26
; AccumOffset: 28
; Occupancy: 8
; WaveLimiterHint : 0
; COMPUTE_PGM_RSRC2:SCRATCH_EN: 0
; COMPUTE_PGM_RSRC2:USER_SGPR: 6
; COMPUTE_PGM_RSRC2:TRAP_HANDLER: 0
; COMPUTE_PGM_RSRC2:TGID_X_EN: 1
; COMPUTE_PGM_RSRC2:TGID_Y_EN: 0
; COMPUTE_PGM_RSRC2:TGID_Z_EN: 0
; COMPUTE_PGM_RSRC2:TIDIG_COMP_CNT: 0
; COMPUTE_PGM_RSRC3_GFX90A:ACCUM_OFFSET: 6
; COMPUTE_PGM_RSRC3_GFX90A:TG_SPLIT: 0
	.text
	.p2alignl 6, 3212836864
	.fill 256, 4, 3212836864
	.type	__hip_cuid_5adab86373e0908f,@object ; @__hip_cuid_5adab86373e0908f
	.section	.bss,"aw",@nobits
	.globl	__hip_cuid_5adab86373e0908f
__hip_cuid_5adab86373e0908f:
	.byte	0                               ; 0x0
	.size	__hip_cuid_5adab86373e0908f, 1

	.ident	"AMD clang version 19.0.0git (https://github.com/RadeonOpenCompute/llvm-project roc-6.4.0 25133 c7fe45cf4b819c5991fe208aaa96edf142730f1d)"
	.section	".note.GNU-stack","",@progbits
	.addrsig
	.addrsig_sym __hip_cuid_5adab86373e0908f
	.amdgpu_metadata
---
amdhsa.kernels:
  - .agpr_count:     0
    .args:
      - .offset:         0
        .size:           216
        .value_kind:     by_value
      - .offset:         216
        .size:           216
        .value_kind:     by_value
      - .offset:         432
        .size:           8
        .value_kind:     by_value
      - .offset:         440
        .size:           8
        .value_kind:     by_value
      - .offset:         448
        .size:           4
        .value_kind:     by_value
      - .offset:         456
        .size:           4
        .value_kind:     hidden_block_count_x
      - .offset:         460
        .size:           4
        .value_kind:     hidden_block_count_y
      - .offset:         464
        .size:           4
        .value_kind:     hidden_block_count_z
      - .offset:         468
        .size:           2
        .value_kind:     hidden_group_size_x
      - .offset:         470
        .size:           2
        .value_kind:     hidden_group_size_y
      - .offset:         472
        .size:           2
        .value_kind:     hidden_group_size_z
      - .offset:         474
        .size:           2
        .value_kind:     hidden_remainder_x
      - .offset:         476
        .size:           2
        .value_kind:     hidden_remainder_y
      - .offset:         478
        .size:           2
        .value_kind:     hidden_remainder_z
      - .offset:         496
        .size:           8
        .value_kind:     hidden_global_offset_x
      - .offset:         504
        .size:           8
        .value_kind:     hidden_global_offset_y
      - .offset:         512
        .size:           8
        .value_kind:     hidden_global_offset_z
      - .offset:         520
        .size:           2
        .value_kind:     hidden_grid_dims
    .group_segment_fixed_size: 0
    .kernarg_segment_align: 8
    .kernarg_segment_size: 712
    .language:       OpenCL C
    .language_version:
      - 2
      - 0
    .max_flat_workgroup_size: 128
    .name:           _ZN2at6native16triu_tril_kernelIhiLb0ELi4ELb1EEEvNS_4cuda6detail10TensorInfoIT_T0_EENS4_IKS5_S6_EEllS6_
    .private_segment_fixed_size: 0
    .sgpr_count:     67
    .sgpr_spill_count: 0
    .symbol:         _ZN2at6native16triu_tril_kernelIhiLb0ELi4ELb1EEEvNS_4cuda6detail10TensorInfoIT_T0_EENS4_IKS5_S6_EEllS6_.kd
    .uniform_work_group_size: 1
    .uses_dynamic_stack: false
    .vgpr_count:     32
    .vgpr_spill_count: 0
    .wavefront_size: 64
  - .agpr_count:     0
    .args:
      - .offset:         0
        .size:           216
        .value_kind:     by_value
      - .offset:         216
        .size:           216
        .value_kind:     by_value
      - .offset:         432
        .size:           8
        .value_kind:     by_value
      - .offset:         440
        .size:           8
        .value_kind:     by_value
      - .offset:         448
        .size:           4
        .value_kind:     by_value
      - .offset:         456
        .size:           4
        .value_kind:     hidden_block_count_x
      - .offset:         460
        .size:           4
        .value_kind:     hidden_block_count_y
      - .offset:         464
        .size:           4
        .value_kind:     hidden_block_count_z
      - .offset:         468
        .size:           2
        .value_kind:     hidden_group_size_x
      - .offset:         470
        .size:           2
        .value_kind:     hidden_group_size_y
      - .offset:         472
        .size:           2
        .value_kind:     hidden_group_size_z
      - .offset:         474
        .size:           2
        .value_kind:     hidden_remainder_x
      - .offset:         476
        .size:           2
        .value_kind:     hidden_remainder_y
      - .offset:         478
        .size:           2
        .value_kind:     hidden_remainder_z
      - .offset:         496
        .size:           8
        .value_kind:     hidden_global_offset_x
      - .offset:         504
        .size:           8
        .value_kind:     hidden_global_offset_y
      - .offset:         512
        .size:           8
        .value_kind:     hidden_global_offset_z
      - .offset:         520
        .size:           2
        .value_kind:     hidden_grid_dims
    .group_segment_fixed_size: 0
    .kernarg_segment_align: 8
    .kernarg_segment_size: 712
    .language:       OpenCL C
    .language_version:
      - 2
      - 0
    .max_flat_workgroup_size: 128
    .name:           _ZN2at6native16triu_tril_kernelIhiLb0ELi4ELb0EEEvNS_4cuda6detail10TensorInfoIT_T0_EENS4_IKS5_S6_EEllS6_
    .private_segment_fixed_size: 0
    .sgpr_count:     67
    .sgpr_spill_count: 0
    .symbol:         _ZN2at6native16triu_tril_kernelIhiLb0ELi4ELb0EEEvNS_4cuda6detail10TensorInfoIT_T0_EENS4_IKS5_S6_EEllS6_.kd
    .uniform_work_group_size: 1
    .uses_dynamic_stack: false
    .vgpr_count:     26
    .vgpr_spill_count: 0
    .wavefront_size: 64
  - .agpr_count:     0
    .args:
      - .offset:         0
        .size:           416
        .value_kind:     by_value
      - .offset:         416
        .size:           416
        .value_kind:     by_value
      - .offset:         832
        .size:           8
        .value_kind:     by_value
      - .offset:         840
        .size:           8
        .value_kind:     by_value
      - .offset:         848
        .size:           8
        .value_kind:     by_value
      - .offset:         856
        .size:           4
        .value_kind:     hidden_block_count_x
      - .offset:         860
        .size:           4
        .value_kind:     hidden_block_count_y
      - .offset:         864
        .size:           4
        .value_kind:     hidden_block_count_z
      - .offset:         868
        .size:           2
        .value_kind:     hidden_group_size_x
      - .offset:         870
        .size:           2
        .value_kind:     hidden_group_size_y
      - .offset:         872
        .size:           2
        .value_kind:     hidden_group_size_z
      - .offset:         874
        .size:           2
        .value_kind:     hidden_remainder_x
      - .offset:         876
        .size:           2
        .value_kind:     hidden_remainder_y
      - .offset:         878
        .size:           2
        .value_kind:     hidden_remainder_z
      - .offset:         896
        .size:           8
        .value_kind:     hidden_global_offset_x
      - .offset:         904
        .size:           8
        .value_kind:     hidden_global_offset_y
      - .offset:         912
        .size:           8
        .value_kind:     hidden_global_offset_z
      - .offset:         920
        .size:           2
        .value_kind:     hidden_grid_dims
    .group_segment_fixed_size: 0
    .kernarg_segment_align: 8
    .kernarg_segment_size: 1112
    .language:       OpenCL C
    .language_version:
      - 2
      - 0
    .max_flat_workgroup_size: 128
    .name:           _ZN2at6native16triu_tril_kernelIhlLb0ELi4ELb1EEEvNS_4cuda6detail10TensorInfoIT_T0_EENS4_IKS5_S6_EEllS6_
    .private_segment_fixed_size: 0
    .sgpr_count:     53
    .sgpr_spill_count: 0
    .symbol:         _ZN2at6native16triu_tril_kernelIhlLb0ELi4ELb1EEEvNS_4cuda6detail10TensorInfoIT_T0_EENS4_IKS5_S6_EEllS6_.kd
    .uniform_work_group_size: 1
    .uses_dynamic_stack: false
    .vgpr_count:     25
    .vgpr_spill_count: 0
    .wavefront_size: 64
  - .agpr_count:     0
    .args:
      - .offset:         0
        .size:           416
        .value_kind:     by_value
      - .offset:         416
        .size:           416
        .value_kind:     by_value
      - .offset:         832
        .size:           8
        .value_kind:     by_value
      - .offset:         840
        .size:           8
        .value_kind:     by_value
      - .offset:         848
        .size:           8
        .value_kind:     by_value
      - .offset:         856
        .size:           4
        .value_kind:     hidden_block_count_x
      - .offset:         860
        .size:           4
        .value_kind:     hidden_block_count_y
      - .offset:         864
        .size:           4
        .value_kind:     hidden_block_count_z
      - .offset:         868
        .size:           2
        .value_kind:     hidden_group_size_x
      - .offset:         870
        .size:           2
        .value_kind:     hidden_group_size_y
      - .offset:         872
        .size:           2
        .value_kind:     hidden_group_size_z
      - .offset:         874
        .size:           2
        .value_kind:     hidden_remainder_x
      - .offset:         876
        .size:           2
        .value_kind:     hidden_remainder_y
      - .offset:         878
        .size:           2
        .value_kind:     hidden_remainder_z
      - .offset:         896
        .size:           8
        .value_kind:     hidden_global_offset_x
      - .offset:         904
        .size:           8
        .value_kind:     hidden_global_offset_y
      - .offset:         912
        .size:           8
        .value_kind:     hidden_global_offset_z
      - .offset:         920
        .size:           2
        .value_kind:     hidden_grid_dims
    .group_segment_fixed_size: 0
    .kernarg_segment_align: 8
    .kernarg_segment_size: 1112
    .language:       OpenCL C
    .language_version:
      - 2
      - 0
    .max_flat_workgroup_size: 128
    .name:           _ZN2at6native16triu_tril_kernelIhlLb0ELi4ELb0EEEvNS_4cuda6detail10TensorInfoIT_T0_EENS4_IKS5_S6_EEllS6_
    .private_segment_fixed_size: 0
    .sgpr_count:     56
    .sgpr_spill_count: 0
    .symbol:         _ZN2at6native16triu_tril_kernelIhlLb0ELi4ELb0EEEvNS_4cuda6detail10TensorInfoIT_T0_EENS4_IKS5_S6_EEllS6_.kd
    .uniform_work_group_size: 1
    .uses_dynamic_stack: false
    .vgpr_count:     25
    .vgpr_spill_count: 0
    .wavefront_size: 64
  - .agpr_count:     0
    .args:
      - .offset:         0
        .size:           216
        .value_kind:     by_value
      - .offset:         216
        .size:           216
        .value_kind:     by_value
      - .offset:         432
        .size:           8
        .value_kind:     by_value
      - .offset:         440
        .size:           8
        .value_kind:     by_value
      - .offset:         448
        .size:           4
        .value_kind:     by_value
      - .offset:         456
        .size:           4
        .value_kind:     hidden_block_count_x
      - .offset:         460
        .size:           4
        .value_kind:     hidden_block_count_y
      - .offset:         464
        .size:           4
        .value_kind:     hidden_block_count_z
      - .offset:         468
        .size:           2
        .value_kind:     hidden_group_size_x
      - .offset:         470
        .size:           2
        .value_kind:     hidden_group_size_y
      - .offset:         472
        .size:           2
        .value_kind:     hidden_group_size_z
      - .offset:         474
        .size:           2
        .value_kind:     hidden_remainder_x
      - .offset:         476
        .size:           2
        .value_kind:     hidden_remainder_y
      - .offset:         478
        .size:           2
        .value_kind:     hidden_remainder_z
      - .offset:         496
        .size:           8
        .value_kind:     hidden_global_offset_x
      - .offset:         504
        .size:           8
        .value_kind:     hidden_global_offset_y
      - .offset:         512
        .size:           8
        .value_kind:     hidden_global_offset_z
      - .offset:         520
        .size:           2
        .value_kind:     hidden_grid_dims
    .group_segment_fixed_size: 0
    .kernarg_segment_align: 8
    .kernarg_segment_size: 712
    .language:       OpenCL C
    .language_version:
      - 2
      - 0
    .max_flat_workgroup_size: 128
    .name:           _ZN2at6native16triu_tril_kernelIaiLb0ELi4ELb1EEEvNS_4cuda6detail10TensorInfoIT_T0_EENS4_IKS5_S6_EEllS6_
    .private_segment_fixed_size: 0
    .sgpr_count:     67
    .sgpr_spill_count: 0
    .symbol:         _ZN2at6native16triu_tril_kernelIaiLb0ELi4ELb1EEEvNS_4cuda6detail10TensorInfoIT_T0_EENS4_IKS5_S6_EEllS6_.kd
    .uniform_work_group_size: 1
    .uses_dynamic_stack: false
    .vgpr_count:     32
    .vgpr_spill_count: 0
    .wavefront_size: 64
  - .agpr_count:     0
    .args:
      - .offset:         0
        .size:           216
        .value_kind:     by_value
      - .offset:         216
        .size:           216
        .value_kind:     by_value
      - .offset:         432
        .size:           8
        .value_kind:     by_value
      - .offset:         440
        .size:           8
        .value_kind:     by_value
      - .offset:         448
        .size:           4
        .value_kind:     by_value
      - .offset:         456
        .size:           4
        .value_kind:     hidden_block_count_x
      - .offset:         460
        .size:           4
        .value_kind:     hidden_block_count_y
      - .offset:         464
        .size:           4
        .value_kind:     hidden_block_count_z
      - .offset:         468
        .size:           2
        .value_kind:     hidden_group_size_x
      - .offset:         470
        .size:           2
        .value_kind:     hidden_group_size_y
      - .offset:         472
        .size:           2
        .value_kind:     hidden_group_size_z
      - .offset:         474
        .size:           2
        .value_kind:     hidden_remainder_x
      - .offset:         476
        .size:           2
        .value_kind:     hidden_remainder_y
      - .offset:         478
        .size:           2
        .value_kind:     hidden_remainder_z
      - .offset:         496
        .size:           8
        .value_kind:     hidden_global_offset_x
      - .offset:         504
        .size:           8
        .value_kind:     hidden_global_offset_y
      - .offset:         512
        .size:           8
        .value_kind:     hidden_global_offset_z
      - .offset:         520
        .size:           2
        .value_kind:     hidden_grid_dims
    .group_segment_fixed_size: 0
    .kernarg_segment_align: 8
    .kernarg_segment_size: 712
    .language:       OpenCL C
    .language_version:
      - 2
      - 0
    .max_flat_workgroup_size: 128
    .name:           _ZN2at6native16triu_tril_kernelIaiLb0ELi4ELb0EEEvNS_4cuda6detail10TensorInfoIT_T0_EENS4_IKS5_S6_EEllS6_
    .private_segment_fixed_size: 0
    .sgpr_count:     67
    .sgpr_spill_count: 0
    .symbol:         _ZN2at6native16triu_tril_kernelIaiLb0ELi4ELb0EEEvNS_4cuda6detail10TensorInfoIT_T0_EENS4_IKS5_S6_EEllS6_.kd
    .uniform_work_group_size: 1
    .uses_dynamic_stack: false
    .vgpr_count:     26
    .vgpr_spill_count: 0
    .wavefront_size: 64
  - .agpr_count:     0
    .args:
      - .offset:         0
        .size:           416
        .value_kind:     by_value
      - .offset:         416
        .size:           416
        .value_kind:     by_value
      - .offset:         832
        .size:           8
        .value_kind:     by_value
      - .offset:         840
        .size:           8
        .value_kind:     by_value
      - .offset:         848
        .size:           8
        .value_kind:     by_value
      - .offset:         856
        .size:           4
        .value_kind:     hidden_block_count_x
      - .offset:         860
        .size:           4
        .value_kind:     hidden_block_count_y
      - .offset:         864
        .size:           4
        .value_kind:     hidden_block_count_z
      - .offset:         868
        .size:           2
        .value_kind:     hidden_group_size_x
      - .offset:         870
        .size:           2
        .value_kind:     hidden_group_size_y
      - .offset:         872
        .size:           2
        .value_kind:     hidden_group_size_z
      - .offset:         874
        .size:           2
        .value_kind:     hidden_remainder_x
      - .offset:         876
        .size:           2
        .value_kind:     hidden_remainder_y
      - .offset:         878
        .size:           2
        .value_kind:     hidden_remainder_z
      - .offset:         896
        .size:           8
        .value_kind:     hidden_global_offset_x
      - .offset:         904
        .size:           8
        .value_kind:     hidden_global_offset_y
      - .offset:         912
        .size:           8
        .value_kind:     hidden_global_offset_z
      - .offset:         920
        .size:           2
        .value_kind:     hidden_grid_dims
    .group_segment_fixed_size: 0
    .kernarg_segment_align: 8
    .kernarg_segment_size: 1112
    .language:       OpenCL C
    .language_version:
      - 2
      - 0
    .max_flat_workgroup_size: 128
    .name:           _ZN2at6native16triu_tril_kernelIalLb0ELi4ELb1EEEvNS_4cuda6detail10TensorInfoIT_T0_EENS4_IKS5_S6_EEllS6_
    .private_segment_fixed_size: 0
    .sgpr_count:     53
    .sgpr_spill_count: 0
    .symbol:         _ZN2at6native16triu_tril_kernelIalLb0ELi4ELb1EEEvNS_4cuda6detail10TensorInfoIT_T0_EENS4_IKS5_S6_EEllS6_.kd
    .uniform_work_group_size: 1
    .uses_dynamic_stack: false
    .vgpr_count:     25
    .vgpr_spill_count: 0
    .wavefront_size: 64
  - .agpr_count:     0
    .args:
      - .offset:         0
        .size:           416
        .value_kind:     by_value
      - .offset:         416
        .size:           416
        .value_kind:     by_value
      - .offset:         832
        .size:           8
        .value_kind:     by_value
      - .offset:         840
        .size:           8
        .value_kind:     by_value
      - .offset:         848
        .size:           8
        .value_kind:     by_value
      - .offset:         856
        .size:           4
        .value_kind:     hidden_block_count_x
      - .offset:         860
        .size:           4
        .value_kind:     hidden_block_count_y
      - .offset:         864
        .size:           4
        .value_kind:     hidden_block_count_z
      - .offset:         868
        .size:           2
        .value_kind:     hidden_group_size_x
      - .offset:         870
        .size:           2
        .value_kind:     hidden_group_size_y
      - .offset:         872
        .size:           2
        .value_kind:     hidden_group_size_z
      - .offset:         874
        .size:           2
        .value_kind:     hidden_remainder_x
      - .offset:         876
        .size:           2
        .value_kind:     hidden_remainder_y
      - .offset:         878
        .size:           2
        .value_kind:     hidden_remainder_z
      - .offset:         896
        .size:           8
        .value_kind:     hidden_global_offset_x
      - .offset:         904
        .size:           8
        .value_kind:     hidden_global_offset_y
      - .offset:         912
        .size:           8
        .value_kind:     hidden_global_offset_z
      - .offset:         920
        .size:           2
        .value_kind:     hidden_grid_dims
    .group_segment_fixed_size: 0
    .kernarg_segment_align: 8
    .kernarg_segment_size: 1112
    .language:       OpenCL C
    .language_version:
      - 2
      - 0
    .max_flat_workgroup_size: 128
    .name:           _ZN2at6native16triu_tril_kernelIalLb0ELi4ELb0EEEvNS_4cuda6detail10TensorInfoIT_T0_EENS4_IKS5_S6_EEllS6_
    .private_segment_fixed_size: 0
    .sgpr_count:     56
    .sgpr_spill_count: 0
    .symbol:         _ZN2at6native16triu_tril_kernelIalLb0ELi4ELb0EEEvNS_4cuda6detail10TensorInfoIT_T0_EENS4_IKS5_S6_EEllS6_.kd
    .uniform_work_group_size: 1
    .uses_dynamic_stack: false
    .vgpr_count:     25
    .vgpr_spill_count: 0
    .wavefront_size: 64
  - .agpr_count:     0
    .args:
      - .offset:         0
        .size:           216
        .value_kind:     by_value
      - .offset:         216
        .size:           216
        .value_kind:     by_value
      - .offset:         432
        .size:           8
        .value_kind:     by_value
      - .offset:         440
        .size:           8
        .value_kind:     by_value
      - .offset:         448
        .size:           4
        .value_kind:     by_value
      - .offset:         456
        .size:           4
        .value_kind:     hidden_block_count_x
      - .offset:         460
        .size:           4
        .value_kind:     hidden_block_count_y
      - .offset:         464
        .size:           4
        .value_kind:     hidden_block_count_z
      - .offset:         468
        .size:           2
        .value_kind:     hidden_group_size_x
      - .offset:         470
        .size:           2
        .value_kind:     hidden_group_size_y
      - .offset:         472
        .size:           2
        .value_kind:     hidden_group_size_z
      - .offset:         474
        .size:           2
        .value_kind:     hidden_remainder_x
      - .offset:         476
        .size:           2
        .value_kind:     hidden_remainder_y
      - .offset:         478
        .size:           2
        .value_kind:     hidden_remainder_z
      - .offset:         496
        .size:           8
        .value_kind:     hidden_global_offset_x
      - .offset:         504
        .size:           8
        .value_kind:     hidden_global_offset_y
      - .offset:         512
        .size:           8
        .value_kind:     hidden_global_offset_z
      - .offset:         520
        .size:           2
        .value_kind:     hidden_grid_dims
    .group_segment_fixed_size: 0
    .kernarg_segment_align: 8
    .kernarg_segment_size: 712
    .language:       OpenCL C
    .language_version:
      - 2
      - 0
    .max_flat_workgroup_size: 128
    .name:           _ZN2at6native16triu_tril_kernelIiiLb0ELi2ELb1EEEvNS_4cuda6detail10TensorInfoIT_T0_EENS4_IKS5_S6_EEllS6_
    .private_segment_fixed_size: 0
    .sgpr_count:     67
    .sgpr_spill_count: 0
    .symbol:         _ZN2at6native16triu_tril_kernelIiiLb0ELi2ELb1EEEvNS_4cuda6detail10TensorInfoIT_T0_EENS4_IKS5_S6_EEllS6_.kd
    .uniform_work_group_size: 1
    .uses_dynamic_stack: false
    .vgpr_count:     32
    .vgpr_spill_count: 0
    .wavefront_size: 64
  - .agpr_count:     0
    .args:
      - .offset:         0
        .size:           216
        .value_kind:     by_value
      - .offset:         216
        .size:           216
        .value_kind:     by_value
      - .offset:         432
        .size:           8
        .value_kind:     by_value
      - .offset:         440
        .size:           8
        .value_kind:     by_value
      - .offset:         448
        .size:           4
        .value_kind:     by_value
      - .offset:         456
        .size:           4
        .value_kind:     hidden_block_count_x
      - .offset:         460
        .size:           4
        .value_kind:     hidden_block_count_y
      - .offset:         464
        .size:           4
        .value_kind:     hidden_block_count_z
      - .offset:         468
        .size:           2
        .value_kind:     hidden_group_size_x
      - .offset:         470
        .size:           2
        .value_kind:     hidden_group_size_y
      - .offset:         472
        .size:           2
        .value_kind:     hidden_group_size_z
      - .offset:         474
        .size:           2
        .value_kind:     hidden_remainder_x
      - .offset:         476
        .size:           2
        .value_kind:     hidden_remainder_y
      - .offset:         478
        .size:           2
        .value_kind:     hidden_remainder_z
      - .offset:         496
        .size:           8
        .value_kind:     hidden_global_offset_x
      - .offset:         504
        .size:           8
        .value_kind:     hidden_global_offset_y
      - .offset:         512
        .size:           8
        .value_kind:     hidden_global_offset_z
      - .offset:         520
        .size:           2
        .value_kind:     hidden_grid_dims
    .group_segment_fixed_size: 0
    .kernarg_segment_align: 8
    .kernarg_segment_size: 712
    .language:       OpenCL C
    .language_version:
      - 2
      - 0
    .max_flat_workgroup_size: 128
    .name:           _ZN2at6native16triu_tril_kernelIiiLb0ELi2ELb0EEEvNS_4cuda6detail10TensorInfoIT_T0_EENS4_IKS5_S6_EEllS6_
    .private_segment_fixed_size: 0
    .sgpr_count:     70
    .sgpr_spill_count: 0
    .symbol:         _ZN2at6native16triu_tril_kernelIiiLb0ELi2ELb0EEEvNS_4cuda6detail10TensorInfoIT_T0_EENS4_IKS5_S6_EEllS6_.kd
    .uniform_work_group_size: 1
    .uses_dynamic_stack: false
    .vgpr_count:     26
    .vgpr_spill_count: 0
    .wavefront_size: 64
  - .agpr_count:     0
    .args:
      - .offset:         0
        .size:           416
        .value_kind:     by_value
      - .offset:         416
        .size:           416
        .value_kind:     by_value
      - .offset:         832
        .size:           8
        .value_kind:     by_value
      - .offset:         840
        .size:           8
        .value_kind:     by_value
      - .offset:         848
        .size:           8
        .value_kind:     by_value
      - .offset:         856
        .size:           4
        .value_kind:     hidden_block_count_x
      - .offset:         860
        .size:           4
        .value_kind:     hidden_block_count_y
      - .offset:         864
        .size:           4
        .value_kind:     hidden_block_count_z
      - .offset:         868
        .size:           2
        .value_kind:     hidden_group_size_x
      - .offset:         870
        .size:           2
        .value_kind:     hidden_group_size_y
      - .offset:         872
        .size:           2
        .value_kind:     hidden_group_size_z
      - .offset:         874
        .size:           2
        .value_kind:     hidden_remainder_x
      - .offset:         876
        .size:           2
        .value_kind:     hidden_remainder_y
      - .offset:         878
        .size:           2
        .value_kind:     hidden_remainder_z
      - .offset:         896
        .size:           8
        .value_kind:     hidden_global_offset_x
      - .offset:         904
        .size:           8
        .value_kind:     hidden_global_offset_y
      - .offset:         912
        .size:           8
        .value_kind:     hidden_global_offset_z
      - .offset:         920
        .size:           2
        .value_kind:     hidden_grid_dims
    .group_segment_fixed_size: 0
    .kernarg_segment_align: 8
    .kernarg_segment_size: 1112
    .language:       OpenCL C
    .language_version:
      - 2
      - 0
    .max_flat_workgroup_size: 128
    .name:           _ZN2at6native16triu_tril_kernelIilLb0ELi2ELb1EEEvNS_4cuda6detail10TensorInfoIT_T0_EENS4_IKS5_S6_EEllS6_
    .private_segment_fixed_size: 0
    .sgpr_count:     53
    .sgpr_spill_count: 0
    .symbol:         _ZN2at6native16triu_tril_kernelIilLb0ELi2ELb1EEEvNS_4cuda6detail10TensorInfoIT_T0_EENS4_IKS5_S6_EEllS6_.kd
    .uniform_work_group_size: 1
    .uses_dynamic_stack: false
    .vgpr_count:     25
    .vgpr_spill_count: 0
    .wavefront_size: 64
  - .agpr_count:     0
    .args:
      - .offset:         0
        .size:           416
        .value_kind:     by_value
      - .offset:         416
        .size:           416
        .value_kind:     by_value
      - .offset:         832
        .size:           8
        .value_kind:     by_value
      - .offset:         840
        .size:           8
        .value_kind:     by_value
      - .offset:         848
        .size:           8
        .value_kind:     by_value
      - .offset:         856
        .size:           4
        .value_kind:     hidden_block_count_x
      - .offset:         860
        .size:           4
        .value_kind:     hidden_block_count_y
      - .offset:         864
        .size:           4
        .value_kind:     hidden_block_count_z
      - .offset:         868
        .size:           2
        .value_kind:     hidden_group_size_x
      - .offset:         870
        .size:           2
        .value_kind:     hidden_group_size_y
      - .offset:         872
        .size:           2
        .value_kind:     hidden_group_size_z
      - .offset:         874
        .size:           2
        .value_kind:     hidden_remainder_x
      - .offset:         876
        .size:           2
        .value_kind:     hidden_remainder_y
      - .offset:         878
        .size:           2
        .value_kind:     hidden_remainder_z
      - .offset:         896
        .size:           8
        .value_kind:     hidden_global_offset_x
      - .offset:         904
        .size:           8
        .value_kind:     hidden_global_offset_y
      - .offset:         912
        .size:           8
        .value_kind:     hidden_global_offset_z
      - .offset:         920
        .size:           2
        .value_kind:     hidden_grid_dims
    .group_segment_fixed_size: 0
    .kernarg_segment_align: 8
    .kernarg_segment_size: 1112
    .language:       OpenCL C
    .language_version:
      - 2
      - 0
    .max_flat_workgroup_size: 128
    .name:           _ZN2at6native16triu_tril_kernelIilLb0ELi2ELb0EEEvNS_4cuda6detail10TensorInfoIT_T0_EENS4_IKS5_S6_EEllS6_
    .private_segment_fixed_size: 0
    .sgpr_count:     55
    .sgpr_spill_count: 0
    .symbol:         _ZN2at6native16triu_tril_kernelIilLb0ELi2ELb0EEEvNS_4cuda6detail10TensorInfoIT_T0_EENS4_IKS5_S6_EEllS6_.kd
    .uniform_work_group_size: 1
    .uses_dynamic_stack: false
    .vgpr_count:     25
    .vgpr_spill_count: 0
    .wavefront_size: 64
  - .agpr_count:     0
    .args:
      - .offset:         0
        .size:           216
        .value_kind:     by_value
      - .offset:         216
        .size:           216
        .value_kind:     by_value
      - .offset:         432
        .size:           8
        .value_kind:     by_value
      - .offset:         440
        .size:           8
        .value_kind:     by_value
      - .offset:         448
        .size:           4
        .value_kind:     by_value
      - .offset:         456
        .size:           4
        .value_kind:     hidden_block_count_x
      - .offset:         460
        .size:           4
        .value_kind:     hidden_block_count_y
      - .offset:         464
        .size:           4
        .value_kind:     hidden_block_count_z
      - .offset:         468
        .size:           2
        .value_kind:     hidden_group_size_x
      - .offset:         470
        .size:           2
        .value_kind:     hidden_group_size_y
      - .offset:         472
        .size:           2
        .value_kind:     hidden_group_size_z
      - .offset:         474
        .size:           2
        .value_kind:     hidden_remainder_x
      - .offset:         476
        .size:           2
        .value_kind:     hidden_remainder_y
      - .offset:         478
        .size:           2
        .value_kind:     hidden_remainder_z
      - .offset:         496
        .size:           8
        .value_kind:     hidden_global_offset_x
      - .offset:         504
        .size:           8
        .value_kind:     hidden_global_offset_y
      - .offset:         512
        .size:           8
        .value_kind:     hidden_global_offset_z
      - .offset:         520
        .size:           2
        .value_kind:     hidden_grid_dims
    .group_segment_fixed_size: 0
    .kernarg_segment_align: 8
    .kernarg_segment_size: 712
    .language:       OpenCL C
    .language_version:
      - 2
      - 0
    .max_flat_workgroup_size: 128
    .name:           _ZN2at6native16triu_tril_kernelIliLb0ELi2ELb1EEEvNS_4cuda6detail10TensorInfoIT_T0_EENS4_IKS5_S6_EEllS6_
    .private_segment_fixed_size: 0
    .sgpr_count:     67
    .sgpr_spill_count: 0
    .symbol:         _ZN2at6native16triu_tril_kernelIliLb0ELi2ELb1EEEvNS_4cuda6detail10TensorInfoIT_T0_EENS4_IKS5_S6_EEllS6_.kd
    .uniform_work_group_size: 1
    .uses_dynamic_stack: false
    .vgpr_count:     32
    .vgpr_spill_count: 0
    .wavefront_size: 64
  - .agpr_count:     0
    .args:
      - .offset:         0
        .size:           216
        .value_kind:     by_value
      - .offset:         216
        .size:           216
        .value_kind:     by_value
      - .offset:         432
        .size:           8
        .value_kind:     by_value
      - .offset:         440
        .size:           8
        .value_kind:     by_value
      - .offset:         448
        .size:           4
        .value_kind:     by_value
      - .offset:         456
        .size:           4
        .value_kind:     hidden_block_count_x
      - .offset:         460
        .size:           4
        .value_kind:     hidden_block_count_y
      - .offset:         464
        .size:           4
        .value_kind:     hidden_block_count_z
      - .offset:         468
        .size:           2
        .value_kind:     hidden_group_size_x
      - .offset:         470
        .size:           2
        .value_kind:     hidden_group_size_y
      - .offset:         472
        .size:           2
        .value_kind:     hidden_group_size_z
      - .offset:         474
        .size:           2
        .value_kind:     hidden_remainder_x
      - .offset:         476
        .size:           2
        .value_kind:     hidden_remainder_y
      - .offset:         478
        .size:           2
        .value_kind:     hidden_remainder_z
      - .offset:         496
        .size:           8
        .value_kind:     hidden_global_offset_x
      - .offset:         504
        .size:           8
        .value_kind:     hidden_global_offset_y
      - .offset:         512
        .size:           8
        .value_kind:     hidden_global_offset_z
      - .offset:         520
        .size:           2
        .value_kind:     hidden_grid_dims
    .group_segment_fixed_size: 0
    .kernarg_segment_align: 8
    .kernarg_segment_size: 712
    .language:       OpenCL C
    .language_version:
      - 2
      - 0
    .max_flat_workgroup_size: 128
    .name:           _ZN2at6native16triu_tril_kernelIliLb0ELi2ELb0EEEvNS_4cuda6detail10TensorInfoIT_T0_EENS4_IKS5_S6_EEllS6_
    .private_segment_fixed_size: 0
    .sgpr_count:     66
    .sgpr_spill_count: 0
    .symbol:         _ZN2at6native16triu_tril_kernelIliLb0ELi2ELb0EEEvNS_4cuda6detail10TensorInfoIT_T0_EENS4_IKS5_S6_EEllS6_.kd
    .uniform_work_group_size: 1
    .uses_dynamic_stack: false
    .vgpr_count:     26
    .vgpr_spill_count: 0
    .wavefront_size: 64
  - .agpr_count:     0
    .args:
      - .offset:         0
        .size:           416
        .value_kind:     by_value
      - .offset:         416
        .size:           416
        .value_kind:     by_value
      - .offset:         832
        .size:           8
        .value_kind:     by_value
      - .offset:         840
        .size:           8
        .value_kind:     by_value
      - .offset:         848
        .size:           8
        .value_kind:     by_value
      - .offset:         856
        .size:           4
        .value_kind:     hidden_block_count_x
      - .offset:         860
        .size:           4
        .value_kind:     hidden_block_count_y
      - .offset:         864
        .size:           4
        .value_kind:     hidden_block_count_z
      - .offset:         868
        .size:           2
        .value_kind:     hidden_group_size_x
      - .offset:         870
        .size:           2
        .value_kind:     hidden_group_size_y
      - .offset:         872
        .size:           2
        .value_kind:     hidden_group_size_z
      - .offset:         874
        .size:           2
        .value_kind:     hidden_remainder_x
      - .offset:         876
        .size:           2
        .value_kind:     hidden_remainder_y
      - .offset:         878
        .size:           2
        .value_kind:     hidden_remainder_z
      - .offset:         896
        .size:           8
        .value_kind:     hidden_global_offset_x
      - .offset:         904
        .size:           8
        .value_kind:     hidden_global_offset_y
      - .offset:         912
        .size:           8
        .value_kind:     hidden_global_offset_z
      - .offset:         920
        .size:           2
        .value_kind:     hidden_grid_dims
    .group_segment_fixed_size: 0
    .kernarg_segment_align: 8
    .kernarg_segment_size: 1112
    .language:       OpenCL C
    .language_version:
      - 2
      - 0
    .max_flat_workgroup_size: 128
    .name:           _ZN2at6native16triu_tril_kernelIllLb0ELi2ELb1EEEvNS_4cuda6detail10TensorInfoIT_T0_EENS4_IKS5_S6_EEllS6_
    .private_segment_fixed_size: 0
    .sgpr_count:     53
    .sgpr_spill_count: 0
    .symbol:         _ZN2at6native16triu_tril_kernelIllLb0ELi2ELb1EEEvNS_4cuda6detail10TensorInfoIT_T0_EENS4_IKS5_S6_EEllS6_.kd
    .uniform_work_group_size: 1
    .uses_dynamic_stack: false
    .vgpr_count:     25
    .vgpr_spill_count: 0
    .wavefront_size: 64
  - .agpr_count:     0
    .args:
      - .offset:         0
        .size:           416
        .value_kind:     by_value
      - .offset:         416
        .size:           416
        .value_kind:     by_value
      - .offset:         832
        .size:           8
        .value_kind:     by_value
      - .offset:         840
        .size:           8
        .value_kind:     by_value
      - .offset:         848
        .size:           8
        .value_kind:     by_value
      - .offset:         856
        .size:           4
        .value_kind:     hidden_block_count_x
      - .offset:         860
        .size:           4
        .value_kind:     hidden_block_count_y
      - .offset:         864
        .size:           4
        .value_kind:     hidden_block_count_z
      - .offset:         868
        .size:           2
        .value_kind:     hidden_group_size_x
      - .offset:         870
        .size:           2
        .value_kind:     hidden_group_size_y
      - .offset:         872
        .size:           2
        .value_kind:     hidden_group_size_z
      - .offset:         874
        .size:           2
        .value_kind:     hidden_remainder_x
      - .offset:         876
        .size:           2
        .value_kind:     hidden_remainder_y
      - .offset:         878
        .size:           2
        .value_kind:     hidden_remainder_z
      - .offset:         896
        .size:           8
        .value_kind:     hidden_global_offset_x
      - .offset:         904
        .size:           8
        .value_kind:     hidden_global_offset_y
      - .offset:         912
        .size:           8
        .value_kind:     hidden_global_offset_z
      - .offset:         920
        .size:           2
        .value_kind:     hidden_grid_dims
    .group_segment_fixed_size: 0
    .kernarg_segment_align: 8
    .kernarg_segment_size: 1112
    .language:       OpenCL C
    .language_version:
      - 2
      - 0
    .max_flat_workgroup_size: 128
    .name:           _ZN2at6native16triu_tril_kernelIllLb0ELi2ELb0EEEvNS_4cuda6detail10TensorInfoIT_T0_EENS4_IKS5_S6_EEllS6_
    .private_segment_fixed_size: 0
    .sgpr_count:     55
    .sgpr_spill_count: 0
    .symbol:         _ZN2at6native16triu_tril_kernelIllLb0ELi2ELb0EEEvNS_4cuda6detail10TensorInfoIT_T0_EENS4_IKS5_S6_EEllS6_.kd
    .uniform_work_group_size: 1
    .uses_dynamic_stack: false
    .vgpr_count:     25
    .vgpr_spill_count: 0
    .wavefront_size: 64
  - .agpr_count:     0
    .args:
      - .offset:         0
        .size:           216
        .value_kind:     by_value
      - .offset:         216
        .size:           216
        .value_kind:     by_value
      - .offset:         432
        .size:           8
        .value_kind:     by_value
      - .offset:         440
        .size:           8
        .value_kind:     by_value
      - .offset:         448
        .size:           4
        .value_kind:     by_value
      - .offset:         456
        .size:           4
        .value_kind:     hidden_block_count_x
      - .offset:         460
        .size:           4
        .value_kind:     hidden_block_count_y
      - .offset:         464
        .size:           4
        .value_kind:     hidden_block_count_z
      - .offset:         468
        .size:           2
        .value_kind:     hidden_group_size_x
      - .offset:         470
        .size:           2
        .value_kind:     hidden_group_size_y
      - .offset:         472
        .size:           2
        .value_kind:     hidden_group_size_z
      - .offset:         474
        .size:           2
        .value_kind:     hidden_remainder_x
      - .offset:         476
        .size:           2
        .value_kind:     hidden_remainder_y
      - .offset:         478
        .size:           2
        .value_kind:     hidden_remainder_z
      - .offset:         496
        .size:           8
        .value_kind:     hidden_global_offset_x
      - .offset:         504
        .size:           8
        .value_kind:     hidden_global_offset_y
      - .offset:         512
        .size:           8
        .value_kind:     hidden_global_offset_z
      - .offset:         520
        .size:           2
        .value_kind:     hidden_grid_dims
    .group_segment_fixed_size: 0
    .kernarg_segment_align: 8
    .kernarg_segment_size: 712
    .language:       OpenCL C
    .language_version:
      - 2
      - 0
    .max_flat_workgroup_size: 128
    .name:           _ZN2at6native16triu_tril_kernelIsiLb0ELi4ELb1EEEvNS_4cuda6detail10TensorInfoIT_T0_EENS4_IKS5_S6_EEllS6_
    .private_segment_fixed_size: 0
    .sgpr_count:     67
    .sgpr_spill_count: 0
    .symbol:         _ZN2at6native16triu_tril_kernelIsiLb0ELi4ELb1EEEvNS_4cuda6detail10TensorInfoIT_T0_EENS4_IKS5_S6_EEllS6_.kd
    .uniform_work_group_size: 1
    .uses_dynamic_stack: false
    .vgpr_count:     32
    .vgpr_spill_count: 0
    .wavefront_size: 64
  - .agpr_count:     0
    .args:
      - .offset:         0
        .size:           216
        .value_kind:     by_value
      - .offset:         216
        .size:           216
        .value_kind:     by_value
      - .offset:         432
        .size:           8
        .value_kind:     by_value
      - .offset:         440
        .size:           8
        .value_kind:     by_value
      - .offset:         448
        .size:           4
        .value_kind:     by_value
      - .offset:         456
        .size:           4
        .value_kind:     hidden_block_count_x
      - .offset:         460
        .size:           4
        .value_kind:     hidden_block_count_y
      - .offset:         464
        .size:           4
        .value_kind:     hidden_block_count_z
      - .offset:         468
        .size:           2
        .value_kind:     hidden_group_size_x
      - .offset:         470
        .size:           2
        .value_kind:     hidden_group_size_y
      - .offset:         472
        .size:           2
        .value_kind:     hidden_group_size_z
      - .offset:         474
        .size:           2
        .value_kind:     hidden_remainder_x
      - .offset:         476
        .size:           2
        .value_kind:     hidden_remainder_y
      - .offset:         478
        .size:           2
        .value_kind:     hidden_remainder_z
      - .offset:         496
        .size:           8
        .value_kind:     hidden_global_offset_x
      - .offset:         504
        .size:           8
        .value_kind:     hidden_global_offset_y
      - .offset:         512
        .size:           8
        .value_kind:     hidden_global_offset_z
      - .offset:         520
        .size:           2
        .value_kind:     hidden_grid_dims
    .group_segment_fixed_size: 0
    .kernarg_segment_align: 8
    .kernarg_segment_size: 712
    .language:       OpenCL C
    .language_version:
      - 2
      - 0
    .max_flat_workgroup_size: 128
    .name:           _ZN2at6native16triu_tril_kernelIsiLb0ELi4ELb0EEEvNS_4cuda6detail10TensorInfoIT_T0_EENS4_IKS5_S6_EEllS6_
    .private_segment_fixed_size: 0
    .sgpr_count:     76
    .sgpr_spill_count: 0
    .symbol:         _ZN2at6native16triu_tril_kernelIsiLb0ELi4ELb0EEEvNS_4cuda6detail10TensorInfoIT_T0_EENS4_IKS5_S6_EEllS6_.kd
    .uniform_work_group_size: 1
    .uses_dynamic_stack: false
    .vgpr_count:     26
    .vgpr_spill_count: 0
    .wavefront_size: 64
  - .agpr_count:     0
    .args:
      - .offset:         0
        .size:           416
        .value_kind:     by_value
      - .offset:         416
        .size:           416
        .value_kind:     by_value
      - .offset:         832
        .size:           8
        .value_kind:     by_value
      - .offset:         840
        .size:           8
        .value_kind:     by_value
      - .offset:         848
        .size:           8
        .value_kind:     by_value
      - .offset:         856
        .size:           4
        .value_kind:     hidden_block_count_x
      - .offset:         860
        .size:           4
        .value_kind:     hidden_block_count_y
      - .offset:         864
        .size:           4
        .value_kind:     hidden_block_count_z
      - .offset:         868
        .size:           2
        .value_kind:     hidden_group_size_x
      - .offset:         870
        .size:           2
        .value_kind:     hidden_group_size_y
      - .offset:         872
        .size:           2
        .value_kind:     hidden_group_size_z
      - .offset:         874
        .size:           2
        .value_kind:     hidden_remainder_x
      - .offset:         876
        .size:           2
        .value_kind:     hidden_remainder_y
      - .offset:         878
        .size:           2
        .value_kind:     hidden_remainder_z
      - .offset:         896
        .size:           8
        .value_kind:     hidden_global_offset_x
      - .offset:         904
        .size:           8
        .value_kind:     hidden_global_offset_y
      - .offset:         912
        .size:           8
        .value_kind:     hidden_global_offset_z
      - .offset:         920
        .size:           2
        .value_kind:     hidden_grid_dims
    .group_segment_fixed_size: 0
    .kernarg_segment_align: 8
    .kernarg_segment_size: 1112
    .language:       OpenCL C
    .language_version:
      - 2
      - 0
    .max_flat_workgroup_size: 128
    .name:           _ZN2at6native16triu_tril_kernelIslLb0ELi4ELb1EEEvNS_4cuda6detail10TensorInfoIT_T0_EENS4_IKS5_S6_EEllS6_
    .private_segment_fixed_size: 0
    .sgpr_count:     53
    .sgpr_spill_count: 0
    .symbol:         _ZN2at6native16triu_tril_kernelIslLb0ELi4ELb1EEEvNS_4cuda6detail10TensorInfoIT_T0_EENS4_IKS5_S6_EEllS6_.kd
    .uniform_work_group_size: 1
    .uses_dynamic_stack: false
    .vgpr_count:     25
    .vgpr_spill_count: 0
    .wavefront_size: 64
  - .agpr_count:     0
    .args:
      - .offset:         0
        .size:           416
        .value_kind:     by_value
      - .offset:         416
        .size:           416
        .value_kind:     by_value
      - .offset:         832
        .size:           8
        .value_kind:     by_value
      - .offset:         840
        .size:           8
        .value_kind:     by_value
      - .offset:         848
        .size:           8
        .value_kind:     by_value
      - .offset:         856
        .size:           4
        .value_kind:     hidden_block_count_x
      - .offset:         860
        .size:           4
        .value_kind:     hidden_block_count_y
      - .offset:         864
        .size:           4
        .value_kind:     hidden_block_count_z
      - .offset:         868
        .size:           2
        .value_kind:     hidden_group_size_x
      - .offset:         870
        .size:           2
        .value_kind:     hidden_group_size_y
      - .offset:         872
        .size:           2
        .value_kind:     hidden_group_size_z
      - .offset:         874
        .size:           2
        .value_kind:     hidden_remainder_x
      - .offset:         876
        .size:           2
        .value_kind:     hidden_remainder_y
      - .offset:         878
        .size:           2
        .value_kind:     hidden_remainder_z
      - .offset:         896
        .size:           8
        .value_kind:     hidden_global_offset_x
      - .offset:         904
        .size:           8
        .value_kind:     hidden_global_offset_y
      - .offset:         912
        .size:           8
        .value_kind:     hidden_global_offset_z
      - .offset:         920
        .size:           2
        .value_kind:     hidden_grid_dims
    .group_segment_fixed_size: 0
    .kernarg_segment_align: 8
    .kernarg_segment_size: 1112
    .language:       OpenCL C
    .language_version:
      - 2
      - 0
    .max_flat_workgroup_size: 128
    .name:           _ZN2at6native16triu_tril_kernelIslLb0ELi4ELb0EEEvNS_4cuda6detail10TensorInfoIT_T0_EENS4_IKS5_S6_EEllS6_
    .private_segment_fixed_size: 0
    .sgpr_count:     69
    .sgpr_spill_count: 0
    .symbol:         _ZN2at6native16triu_tril_kernelIslLb0ELi4ELb0EEEvNS_4cuda6detail10TensorInfoIT_T0_EENS4_IKS5_S6_EEllS6_.kd
    .uniform_work_group_size: 1
    .uses_dynamic_stack: false
    .vgpr_count:     25
    .vgpr_spill_count: 0
    .wavefront_size: 64
  - .agpr_count:     0
    .args:
      - .offset:         0
        .size:           216
        .value_kind:     by_value
      - .offset:         216
        .size:           216
        .value_kind:     by_value
      - .offset:         432
        .size:           8
        .value_kind:     by_value
      - .offset:         440
        .size:           8
        .value_kind:     by_value
      - .offset:         448
        .size:           4
        .value_kind:     by_value
      - .offset:         456
        .size:           4
        .value_kind:     hidden_block_count_x
      - .offset:         460
        .size:           4
        .value_kind:     hidden_block_count_y
      - .offset:         464
        .size:           4
        .value_kind:     hidden_block_count_z
      - .offset:         468
        .size:           2
        .value_kind:     hidden_group_size_x
      - .offset:         470
        .size:           2
        .value_kind:     hidden_group_size_y
      - .offset:         472
        .size:           2
        .value_kind:     hidden_group_size_z
      - .offset:         474
        .size:           2
        .value_kind:     hidden_remainder_x
      - .offset:         476
        .size:           2
        .value_kind:     hidden_remainder_y
      - .offset:         478
        .size:           2
        .value_kind:     hidden_remainder_z
      - .offset:         496
        .size:           8
        .value_kind:     hidden_global_offset_x
      - .offset:         504
        .size:           8
        .value_kind:     hidden_global_offset_y
      - .offset:         512
        .size:           8
        .value_kind:     hidden_global_offset_z
      - .offset:         520
        .size:           2
        .value_kind:     hidden_grid_dims
    .group_segment_fixed_size: 0
    .kernarg_segment_align: 8
    .kernarg_segment_size: 712
    .language:       OpenCL C
    .language_version:
      - 2
      - 0
    .max_flat_workgroup_size: 128
    .name:           _ZN2at6native16triu_tril_kernelIdiLb0ELi2ELb1EEEvNS_4cuda6detail10TensorInfoIT_T0_EENS4_IKS5_S6_EEllS6_
    .private_segment_fixed_size: 0
    .sgpr_count:     67
    .sgpr_spill_count: 0
    .symbol:         _ZN2at6native16triu_tril_kernelIdiLb0ELi2ELb1EEEvNS_4cuda6detail10TensorInfoIT_T0_EENS4_IKS5_S6_EEllS6_.kd
    .uniform_work_group_size: 1
    .uses_dynamic_stack: false
    .vgpr_count:     32
    .vgpr_spill_count: 0
    .wavefront_size: 64
  - .agpr_count:     0
    .args:
      - .offset:         0
        .size:           216
        .value_kind:     by_value
      - .offset:         216
        .size:           216
        .value_kind:     by_value
      - .offset:         432
        .size:           8
        .value_kind:     by_value
      - .offset:         440
        .size:           8
        .value_kind:     by_value
      - .offset:         448
        .size:           4
        .value_kind:     by_value
      - .offset:         456
        .size:           4
        .value_kind:     hidden_block_count_x
      - .offset:         460
        .size:           4
        .value_kind:     hidden_block_count_y
      - .offset:         464
        .size:           4
        .value_kind:     hidden_block_count_z
      - .offset:         468
        .size:           2
        .value_kind:     hidden_group_size_x
      - .offset:         470
        .size:           2
        .value_kind:     hidden_group_size_y
      - .offset:         472
        .size:           2
        .value_kind:     hidden_group_size_z
      - .offset:         474
        .size:           2
        .value_kind:     hidden_remainder_x
      - .offset:         476
        .size:           2
        .value_kind:     hidden_remainder_y
      - .offset:         478
        .size:           2
        .value_kind:     hidden_remainder_z
      - .offset:         496
        .size:           8
        .value_kind:     hidden_global_offset_x
      - .offset:         504
        .size:           8
        .value_kind:     hidden_global_offset_y
      - .offset:         512
        .size:           8
        .value_kind:     hidden_global_offset_z
      - .offset:         520
        .size:           2
        .value_kind:     hidden_grid_dims
    .group_segment_fixed_size: 0
    .kernarg_segment_align: 8
    .kernarg_segment_size: 712
    .language:       OpenCL C
    .language_version:
      - 2
      - 0
    .max_flat_workgroup_size: 128
    .name:           _ZN2at6native16triu_tril_kernelIdiLb0ELi2ELb0EEEvNS_4cuda6detail10TensorInfoIT_T0_EENS4_IKS5_S6_EEllS6_
    .private_segment_fixed_size: 0
    .sgpr_count:     66
    .sgpr_spill_count: 0
    .symbol:         _ZN2at6native16triu_tril_kernelIdiLb0ELi2ELb0EEEvNS_4cuda6detail10TensorInfoIT_T0_EENS4_IKS5_S6_EEllS6_.kd
    .uniform_work_group_size: 1
    .uses_dynamic_stack: false
    .vgpr_count:     26
    .vgpr_spill_count: 0
    .wavefront_size: 64
  - .agpr_count:     0
    .args:
      - .offset:         0
        .size:           416
        .value_kind:     by_value
      - .offset:         416
        .size:           416
        .value_kind:     by_value
      - .offset:         832
        .size:           8
        .value_kind:     by_value
      - .offset:         840
        .size:           8
        .value_kind:     by_value
      - .offset:         848
        .size:           8
        .value_kind:     by_value
      - .offset:         856
        .size:           4
        .value_kind:     hidden_block_count_x
      - .offset:         860
        .size:           4
        .value_kind:     hidden_block_count_y
      - .offset:         864
        .size:           4
        .value_kind:     hidden_block_count_z
      - .offset:         868
        .size:           2
        .value_kind:     hidden_group_size_x
      - .offset:         870
        .size:           2
        .value_kind:     hidden_group_size_y
      - .offset:         872
        .size:           2
        .value_kind:     hidden_group_size_z
      - .offset:         874
        .size:           2
        .value_kind:     hidden_remainder_x
      - .offset:         876
        .size:           2
        .value_kind:     hidden_remainder_y
      - .offset:         878
        .size:           2
        .value_kind:     hidden_remainder_z
      - .offset:         896
        .size:           8
        .value_kind:     hidden_global_offset_x
      - .offset:         904
        .size:           8
        .value_kind:     hidden_global_offset_y
      - .offset:         912
        .size:           8
        .value_kind:     hidden_global_offset_z
      - .offset:         920
        .size:           2
        .value_kind:     hidden_grid_dims
    .group_segment_fixed_size: 0
    .kernarg_segment_align: 8
    .kernarg_segment_size: 1112
    .language:       OpenCL C
    .language_version:
      - 2
      - 0
    .max_flat_workgroup_size: 128
    .name:           _ZN2at6native16triu_tril_kernelIdlLb0ELi2ELb1EEEvNS_4cuda6detail10TensorInfoIT_T0_EENS4_IKS5_S6_EEllS6_
    .private_segment_fixed_size: 0
    .sgpr_count:     53
    .sgpr_spill_count: 0
    .symbol:         _ZN2at6native16triu_tril_kernelIdlLb0ELi2ELb1EEEvNS_4cuda6detail10TensorInfoIT_T0_EENS4_IKS5_S6_EEllS6_.kd
    .uniform_work_group_size: 1
    .uses_dynamic_stack: false
    .vgpr_count:     25
    .vgpr_spill_count: 0
    .wavefront_size: 64
  - .agpr_count:     0
    .args:
      - .offset:         0
        .size:           416
        .value_kind:     by_value
      - .offset:         416
        .size:           416
        .value_kind:     by_value
      - .offset:         832
        .size:           8
        .value_kind:     by_value
      - .offset:         840
        .size:           8
        .value_kind:     by_value
      - .offset:         848
        .size:           8
        .value_kind:     by_value
      - .offset:         856
        .size:           4
        .value_kind:     hidden_block_count_x
      - .offset:         860
        .size:           4
        .value_kind:     hidden_block_count_y
      - .offset:         864
        .size:           4
        .value_kind:     hidden_block_count_z
      - .offset:         868
        .size:           2
        .value_kind:     hidden_group_size_x
      - .offset:         870
        .size:           2
        .value_kind:     hidden_group_size_y
      - .offset:         872
        .size:           2
        .value_kind:     hidden_group_size_z
      - .offset:         874
        .size:           2
        .value_kind:     hidden_remainder_x
      - .offset:         876
        .size:           2
        .value_kind:     hidden_remainder_y
      - .offset:         878
        .size:           2
        .value_kind:     hidden_remainder_z
      - .offset:         896
        .size:           8
        .value_kind:     hidden_global_offset_x
      - .offset:         904
        .size:           8
        .value_kind:     hidden_global_offset_y
      - .offset:         912
        .size:           8
        .value_kind:     hidden_global_offset_z
      - .offset:         920
        .size:           2
        .value_kind:     hidden_grid_dims
    .group_segment_fixed_size: 0
    .kernarg_segment_align: 8
    .kernarg_segment_size: 1112
    .language:       OpenCL C
    .language_version:
      - 2
      - 0
    .max_flat_workgroup_size: 128
    .name:           _ZN2at6native16triu_tril_kernelIdlLb0ELi2ELb0EEEvNS_4cuda6detail10TensorInfoIT_T0_EENS4_IKS5_S6_EEllS6_
    .private_segment_fixed_size: 0
    .sgpr_count:     55
    .sgpr_spill_count: 0
    .symbol:         _ZN2at6native16triu_tril_kernelIdlLb0ELi2ELb0EEEvNS_4cuda6detail10TensorInfoIT_T0_EENS4_IKS5_S6_EEllS6_.kd
    .uniform_work_group_size: 1
    .uses_dynamic_stack: false
    .vgpr_count:     25
    .vgpr_spill_count: 0
    .wavefront_size: 64
  - .agpr_count:     0
    .args:
      - .offset:         0
        .size:           216
        .value_kind:     by_value
      - .offset:         216
        .size:           216
        .value_kind:     by_value
      - .offset:         432
        .size:           8
        .value_kind:     by_value
      - .offset:         440
        .size:           8
        .value_kind:     by_value
      - .offset:         448
        .size:           4
        .value_kind:     by_value
      - .offset:         456
        .size:           4
        .value_kind:     hidden_block_count_x
      - .offset:         460
        .size:           4
        .value_kind:     hidden_block_count_y
      - .offset:         464
        .size:           4
        .value_kind:     hidden_block_count_z
      - .offset:         468
        .size:           2
        .value_kind:     hidden_group_size_x
      - .offset:         470
        .size:           2
        .value_kind:     hidden_group_size_y
      - .offset:         472
        .size:           2
        .value_kind:     hidden_group_size_z
      - .offset:         474
        .size:           2
        .value_kind:     hidden_remainder_x
      - .offset:         476
        .size:           2
        .value_kind:     hidden_remainder_y
      - .offset:         478
        .size:           2
        .value_kind:     hidden_remainder_z
      - .offset:         496
        .size:           8
        .value_kind:     hidden_global_offset_x
      - .offset:         504
        .size:           8
        .value_kind:     hidden_global_offset_y
      - .offset:         512
        .size:           8
        .value_kind:     hidden_global_offset_z
      - .offset:         520
        .size:           2
        .value_kind:     hidden_grid_dims
    .group_segment_fixed_size: 0
    .kernarg_segment_align: 8
    .kernarg_segment_size: 712
    .language:       OpenCL C
    .language_version:
      - 2
      - 0
    .max_flat_workgroup_size: 128
    .name:           _ZN2at6native16triu_tril_kernelIfiLb0ELi2ELb1EEEvNS_4cuda6detail10TensorInfoIT_T0_EENS4_IKS5_S6_EEllS6_
    .private_segment_fixed_size: 0
    .sgpr_count:     67
    .sgpr_spill_count: 0
    .symbol:         _ZN2at6native16triu_tril_kernelIfiLb0ELi2ELb1EEEvNS_4cuda6detail10TensorInfoIT_T0_EENS4_IKS5_S6_EEllS6_.kd
    .uniform_work_group_size: 1
    .uses_dynamic_stack: false
    .vgpr_count:     32
    .vgpr_spill_count: 0
    .wavefront_size: 64
  - .agpr_count:     0
    .args:
      - .offset:         0
        .size:           216
        .value_kind:     by_value
      - .offset:         216
        .size:           216
        .value_kind:     by_value
      - .offset:         432
        .size:           8
        .value_kind:     by_value
      - .offset:         440
        .size:           8
        .value_kind:     by_value
      - .offset:         448
        .size:           4
        .value_kind:     by_value
      - .offset:         456
        .size:           4
        .value_kind:     hidden_block_count_x
      - .offset:         460
        .size:           4
        .value_kind:     hidden_block_count_y
      - .offset:         464
        .size:           4
        .value_kind:     hidden_block_count_z
      - .offset:         468
        .size:           2
        .value_kind:     hidden_group_size_x
      - .offset:         470
        .size:           2
        .value_kind:     hidden_group_size_y
      - .offset:         472
        .size:           2
        .value_kind:     hidden_group_size_z
      - .offset:         474
        .size:           2
        .value_kind:     hidden_remainder_x
      - .offset:         476
        .size:           2
        .value_kind:     hidden_remainder_y
      - .offset:         478
        .size:           2
        .value_kind:     hidden_remainder_z
      - .offset:         496
        .size:           8
        .value_kind:     hidden_global_offset_x
      - .offset:         504
        .size:           8
        .value_kind:     hidden_global_offset_y
      - .offset:         512
        .size:           8
        .value_kind:     hidden_global_offset_z
      - .offset:         520
        .size:           2
        .value_kind:     hidden_grid_dims
    .group_segment_fixed_size: 0
    .kernarg_segment_align: 8
    .kernarg_segment_size: 712
    .language:       OpenCL C
    .language_version:
      - 2
      - 0
    .max_flat_workgroup_size: 128
    .name:           _ZN2at6native16triu_tril_kernelIfiLb0ELi2ELb0EEEvNS_4cuda6detail10TensorInfoIT_T0_EENS4_IKS5_S6_EEllS6_
    .private_segment_fixed_size: 0
    .sgpr_count:     70
    .sgpr_spill_count: 0
    .symbol:         _ZN2at6native16triu_tril_kernelIfiLb0ELi2ELb0EEEvNS_4cuda6detail10TensorInfoIT_T0_EENS4_IKS5_S6_EEllS6_.kd
    .uniform_work_group_size: 1
    .uses_dynamic_stack: false
    .vgpr_count:     26
    .vgpr_spill_count: 0
    .wavefront_size: 64
  - .agpr_count:     0
    .args:
      - .offset:         0
        .size:           416
        .value_kind:     by_value
      - .offset:         416
        .size:           416
        .value_kind:     by_value
      - .offset:         832
        .size:           8
        .value_kind:     by_value
      - .offset:         840
        .size:           8
        .value_kind:     by_value
      - .offset:         848
        .size:           8
        .value_kind:     by_value
      - .offset:         856
        .size:           4
        .value_kind:     hidden_block_count_x
      - .offset:         860
        .size:           4
        .value_kind:     hidden_block_count_y
      - .offset:         864
        .size:           4
        .value_kind:     hidden_block_count_z
      - .offset:         868
        .size:           2
        .value_kind:     hidden_group_size_x
      - .offset:         870
        .size:           2
        .value_kind:     hidden_group_size_y
      - .offset:         872
        .size:           2
        .value_kind:     hidden_group_size_z
      - .offset:         874
        .size:           2
        .value_kind:     hidden_remainder_x
      - .offset:         876
        .size:           2
        .value_kind:     hidden_remainder_y
      - .offset:         878
        .size:           2
        .value_kind:     hidden_remainder_z
      - .offset:         896
        .size:           8
        .value_kind:     hidden_global_offset_x
      - .offset:         904
        .size:           8
        .value_kind:     hidden_global_offset_y
      - .offset:         912
        .size:           8
        .value_kind:     hidden_global_offset_z
      - .offset:         920
        .size:           2
        .value_kind:     hidden_grid_dims
    .group_segment_fixed_size: 0
    .kernarg_segment_align: 8
    .kernarg_segment_size: 1112
    .language:       OpenCL C
    .language_version:
      - 2
      - 0
    .max_flat_workgroup_size: 128
    .name:           _ZN2at6native16triu_tril_kernelIflLb0ELi2ELb1EEEvNS_4cuda6detail10TensorInfoIT_T0_EENS4_IKS5_S6_EEllS6_
    .private_segment_fixed_size: 0
    .sgpr_count:     53
    .sgpr_spill_count: 0
    .symbol:         _ZN2at6native16triu_tril_kernelIflLb0ELi2ELb1EEEvNS_4cuda6detail10TensorInfoIT_T0_EENS4_IKS5_S6_EEllS6_.kd
    .uniform_work_group_size: 1
    .uses_dynamic_stack: false
    .vgpr_count:     25
    .vgpr_spill_count: 0
    .wavefront_size: 64
  - .agpr_count:     0
    .args:
      - .offset:         0
        .size:           416
        .value_kind:     by_value
      - .offset:         416
        .size:           416
        .value_kind:     by_value
      - .offset:         832
        .size:           8
        .value_kind:     by_value
      - .offset:         840
        .size:           8
        .value_kind:     by_value
      - .offset:         848
        .size:           8
        .value_kind:     by_value
      - .offset:         856
        .size:           4
        .value_kind:     hidden_block_count_x
      - .offset:         860
        .size:           4
        .value_kind:     hidden_block_count_y
      - .offset:         864
        .size:           4
        .value_kind:     hidden_block_count_z
      - .offset:         868
        .size:           2
        .value_kind:     hidden_group_size_x
      - .offset:         870
        .size:           2
        .value_kind:     hidden_group_size_y
      - .offset:         872
        .size:           2
        .value_kind:     hidden_group_size_z
      - .offset:         874
        .size:           2
        .value_kind:     hidden_remainder_x
      - .offset:         876
        .size:           2
        .value_kind:     hidden_remainder_y
      - .offset:         878
        .size:           2
        .value_kind:     hidden_remainder_z
      - .offset:         896
        .size:           8
        .value_kind:     hidden_global_offset_x
      - .offset:         904
        .size:           8
        .value_kind:     hidden_global_offset_y
      - .offset:         912
        .size:           8
        .value_kind:     hidden_global_offset_z
      - .offset:         920
        .size:           2
        .value_kind:     hidden_grid_dims
    .group_segment_fixed_size: 0
    .kernarg_segment_align: 8
    .kernarg_segment_size: 1112
    .language:       OpenCL C
    .language_version:
      - 2
      - 0
    .max_flat_workgroup_size: 128
    .name:           _ZN2at6native16triu_tril_kernelIflLb0ELi2ELb0EEEvNS_4cuda6detail10TensorInfoIT_T0_EENS4_IKS5_S6_EEllS6_
    .private_segment_fixed_size: 0
    .sgpr_count:     55
    .sgpr_spill_count: 0
    .symbol:         _ZN2at6native16triu_tril_kernelIflLb0ELi2ELb0EEEvNS_4cuda6detail10TensorInfoIT_T0_EENS4_IKS5_S6_EEllS6_.kd
    .uniform_work_group_size: 1
    .uses_dynamic_stack: false
    .vgpr_count:     25
    .vgpr_spill_count: 0
    .wavefront_size: 64
  - .agpr_count:     0
    .args:
      - .offset:         0
        .size:           216
        .value_kind:     by_value
      - .offset:         216
        .size:           216
        .value_kind:     by_value
      - .offset:         432
        .size:           8
        .value_kind:     by_value
      - .offset:         440
        .size:           8
        .value_kind:     by_value
      - .offset:         448
        .size:           4
        .value_kind:     by_value
      - .offset:         456
        .size:           4
        .value_kind:     hidden_block_count_x
      - .offset:         460
        .size:           4
        .value_kind:     hidden_block_count_y
      - .offset:         464
        .size:           4
        .value_kind:     hidden_block_count_z
      - .offset:         468
        .size:           2
        .value_kind:     hidden_group_size_x
      - .offset:         470
        .size:           2
        .value_kind:     hidden_group_size_y
      - .offset:         472
        .size:           2
        .value_kind:     hidden_group_size_z
      - .offset:         474
        .size:           2
        .value_kind:     hidden_remainder_x
      - .offset:         476
        .size:           2
        .value_kind:     hidden_remainder_y
      - .offset:         478
        .size:           2
        .value_kind:     hidden_remainder_z
      - .offset:         496
        .size:           8
        .value_kind:     hidden_global_offset_x
      - .offset:         504
        .size:           8
        .value_kind:     hidden_global_offset_y
      - .offset:         512
        .size:           8
        .value_kind:     hidden_global_offset_z
      - .offset:         520
        .size:           2
        .value_kind:     hidden_grid_dims
    .group_segment_fixed_size: 0
    .kernarg_segment_align: 8
    .kernarg_segment_size: 712
    .language:       OpenCL C
    .language_version:
      - 2
      - 0
    .max_flat_workgroup_size: 128
    .name:           _ZN2at6native16triu_tril_kernelIN3c107complexIdEEiLb0ELi1ELb1EEEvNS_4cuda6detail10TensorInfoIT_T0_EENS7_IKS8_S9_EEllS9_
    .private_segment_fixed_size: 0
    .sgpr_count:     66
    .sgpr_spill_count: 0
    .symbol:         _ZN2at6native16triu_tril_kernelIN3c107complexIdEEiLb0ELi1ELb1EEEvNS_4cuda6detail10TensorInfoIT_T0_EENS7_IKS8_S9_EEllS9_.kd
    .uniform_work_group_size: 1
    .uses_dynamic_stack: false
    .vgpr_count:     30
    .vgpr_spill_count: 0
    .wavefront_size: 64
  - .agpr_count:     0
    .args:
      - .offset:         0
        .size:           216
        .value_kind:     by_value
      - .offset:         216
        .size:           216
        .value_kind:     by_value
      - .offset:         432
        .size:           8
        .value_kind:     by_value
      - .offset:         440
        .size:           8
        .value_kind:     by_value
      - .offset:         448
        .size:           4
        .value_kind:     by_value
      - .offset:         456
        .size:           4
        .value_kind:     hidden_block_count_x
      - .offset:         460
        .size:           4
        .value_kind:     hidden_block_count_y
      - .offset:         464
        .size:           4
        .value_kind:     hidden_block_count_z
      - .offset:         468
        .size:           2
        .value_kind:     hidden_group_size_x
      - .offset:         470
        .size:           2
        .value_kind:     hidden_group_size_y
      - .offset:         472
        .size:           2
        .value_kind:     hidden_group_size_z
      - .offset:         474
        .size:           2
        .value_kind:     hidden_remainder_x
      - .offset:         476
        .size:           2
        .value_kind:     hidden_remainder_y
      - .offset:         478
        .size:           2
        .value_kind:     hidden_remainder_z
      - .offset:         496
        .size:           8
        .value_kind:     hidden_global_offset_x
      - .offset:         504
        .size:           8
        .value_kind:     hidden_global_offset_y
      - .offset:         512
        .size:           8
        .value_kind:     hidden_global_offset_z
      - .offset:         520
        .size:           2
        .value_kind:     hidden_grid_dims
    .group_segment_fixed_size: 0
    .kernarg_segment_align: 8
    .kernarg_segment_size: 712
    .language:       OpenCL C
    .language_version:
      - 2
      - 0
    .max_flat_workgroup_size: 128
    .name:           _ZN2at6native16triu_tril_kernelIN3c107complexIdEEiLb0ELi1ELb0EEEvNS_4cuda6detail10TensorInfoIT_T0_EENS7_IKS8_S9_EEllS9_
    .private_segment_fixed_size: 0
    .sgpr_count:     62
    .sgpr_spill_count: 0
    .symbol:         _ZN2at6native16triu_tril_kernelIN3c107complexIdEEiLb0ELi1ELb0EEEvNS_4cuda6detail10TensorInfoIT_T0_EENS7_IKS8_S9_EEllS9_.kd
    .uniform_work_group_size: 1
    .uses_dynamic_stack: false
    .vgpr_count:     26
    .vgpr_spill_count: 0
    .wavefront_size: 64
  - .agpr_count:     0
    .args:
      - .offset:         0
        .size:           416
        .value_kind:     by_value
      - .offset:         416
        .size:           416
        .value_kind:     by_value
      - .offset:         832
        .size:           8
        .value_kind:     by_value
      - .offset:         840
        .size:           8
        .value_kind:     by_value
      - .offset:         848
        .size:           8
        .value_kind:     by_value
      - .offset:         856
        .size:           4
        .value_kind:     hidden_block_count_x
      - .offset:         860
        .size:           4
        .value_kind:     hidden_block_count_y
      - .offset:         864
        .size:           4
        .value_kind:     hidden_block_count_z
      - .offset:         868
        .size:           2
        .value_kind:     hidden_group_size_x
      - .offset:         870
        .size:           2
        .value_kind:     hidden_group_size_y
      - .offset:         872
        .size:           2
        .value_kind:     hidden_group_size_z
      - .offset:         874
        .size:           2
        .value_kind:     hidden_remainder_x
      - .offset:         876
        .size:           2
        .value_kind:     hidden_remainder_y
      - .offset:         878
        .size:           2
        .value_kind:     hidden_remainder_z
      - .offset:         896
        .size:           8
        .value_kind:     hidden_global_offset_x
      - .offset:         904
        .size:           8
        .value_kind:     hidden_global_offset_y
      - .offset:         912
        .size:           8
        .value_kind:     hidden_global_offset_z
      - .offset:         920
        .size:           2
        .value_kind:     hidden_grid_dims
    .group_segment_fixed_size: 0
    .kernarg_segment_align: 8
    .kernarg_segment_size: 1112
    .language:       OpenCL C
    .language_version:
      - 2
      - 0
    .max_flat_workgroup_size: 128
    .name:           _ZN2at6native16triu_tril_kernelIN3c107complexIdEElLb0ELi1ELb1EEEvNS_4cuda6detail10TensorInfoIT_T0_EENS7_IKS8_S9_EEllS9_
    .private_segment_fixed_size: 0
    .sgpr_count:     51
    .sgpr_spill_count: 0
    .symbol:         _ZN2at6native16triu_tril_kernelIN3c107complexIdEElLb0ELi1ELb1EEEvNS_4cuda6detail10TensorInfoIT_T0_EENS7_IKS8_S9_EEllS9_.kd
    .uniform_work_group_size: 1
    .uses_dynamic_stack: false
    .vgpr_count:     23
    .vgpr_spill_count: 0
    .wavefront_size: 64
  - .agpr_count:     0
    .args:
      - .offset:         0
        .size:           416
        .value_kind:     by_value
      - .offset:         416
        .size:           416
        .value_kind:     by_value
      - .offset:         832
        .size:           8
        .value_kind:     by_value
      - .offset:         840
        .size:           8
        .value_kind:     by_value
      - .offset:         848
        .size:           8
        .value_kind:     by_value
      - .offset:         856
        .size:           4
        .value_kind:     hidden_block_count_x
      - .offset:         860
        .size:           4
        .value_kind:     hidden_block_count_y
      - .offset:         864
        .size:           4
        .value_kind:     hidden_block_count_z
      - .offset:         868
        .size:           2
        .value_kind:     hidden_group_size_x
      - .offset:         870
        .size:           2
        .value_kind:     hidden_group_size_y
      - .offset:         872
        .size:           2
        .value_kind:     hidden_group_size_z
      - .offset:         874
        .size:           2
        .value_kind:     hidden_remainder_x
      - .offset:         876
        .size:           2
        .value_kind:     hidden_remainder_y
      - .offset:         878
        .size:           2
        .value_kind:     hidden_remainder_z
      - .offset:         896
        .size:           8
        .value_kind:     hidden_global_offset_x
      - .offset:         904
        .size:           8
        .value_kind:     hidden_global_offset_y
      - .offset:         912
        .size:           8
        .value_kind:     hidden_global_offset_z
      - .offset:         920
        .size:           2
        .value_kind:     hidden_grid_dims
    .group_segment_fixed_size: 0
    .kernarg_segment_align: 8
    .kernarg_segment_size: 1112
    .language:       OpenCL C
    .language_version:
      - 2
      - 0
    .max_flat_workgroup_size: 128
    .name:           _ZN2at6native16triu_tril_kernelIN3c107complexIdEElLb0ELi1ELb0EEEvNS_4cuda6detail10TensorInfoIT_T0_EENS7_IKS8_S9_EEllS9_
    .private_segment_fixed_size: 0
    .sgpr_count:     55
    .sgpr_spill_count: 0
    .symbol:         _ZN2at6native16triu_tril_kernelIN3c107complexIdEElLb0ELi1ELb0EEEvNS_4cuda6detail10TensorInfoIT_T0_EENS7_IKS8_S9_EEllS9_.kd
    .uniform_work_group_size: 1
    .uses_dynamic_stack: false
    .vgpr_count:     25
    .vgpr_spill_count: 0
    .wavefront_size: 64
  - .agpr_count:     0
    .args:
      - .offset:         0
        .size:           216
        .value_kind:     by_value
      - .offset:         216
        .size:           216
        .value_kind:     by_value
      - .offset:         432
        .size:           8
        .value_kind:     by_value
      - .offset:         440
        .size:           8
        .value_kind:     by_value
      - .offset:         448
        .size:           4
        .value_kind:     by_value
      - .offset:         456
        .size:           4
        .value_kind:     hidden_block_count_x
      - .offset:         460
        .size:           4
        .value_kind:     hidden_block_count_y
      - .offset:         464
        .size:           4
        .value_kind:     hidden_block_count_z
      - .offset:         468
        .size:           2
        .value_kind:     hidden_group_size_x
      - .offset:         470
        .size:           2
        .value_kind:     hidden_group_size_y
      - .offset:         472
        .size:           2
        .value_kind:     hidden_group_size_z
      - .offset:         474
        .size:           2
        .value_kind:     hidden_remainder_x
      - .offset:         476
        .size:           2
        .value_kind:     hidden_remainder_y
      - .offset:         478
        .size:           2
        .value_kind:     hidden_remainder_z
      - .offset:         496
        .size:           8
        .value_kind:     hidden_global_offset_x
      - .offset:         504
        .size:           8
        .value_kind:     hidden_global_offset_y
      - .offset:         512
        .size:           8
        .value_kind:     hidden_global_offset_z
      - .offset:         520
        .size:           2
        .value_kind:     hidden_grid_dims
    .group_segment_fixed_size: 0
    .kernarg_segment_align: 8
    .kernarg_segment_size: 712
    .language:       OpenCL C
    .language_version:
      - 2
      - 0
    .max_flat_workgroup_size: 128
    .name:           _ZN2at6native16triu_tril_kernelIN3c107complexIfEEiLb0ELi2ELb1EEEvNS_4cuda6detail10TensorInfoIT_T0_EENS7_IKS8_S9_EEllS9_
    .private_segment_fixed_size: 0
    .sgpr_count:     67
    .sgpr_spill_count: 0
    .symbol:         _ZN2at6native16triu_tril_kernelIN3c107complexIfEEiLb0ELi2ELb1EEEvNS_4cuda6detail10TensorInfoIT_T0_EENS7_IKS8_S9_EEllS9_.kd
    .uniform_work_group_size: 1
    .uses_dynamic_stack: false
    .vgpr_count:     32
    .vgpr_spill_count: 0
    .wavefront_size: 64
  - .agpr_count:     0
    .args:
      - .offset:         0
        .size:           216
        .value_kind:     by_value
      - .offset:         216
        .size:           216
        .value_kind:     by_value
      - .offset:         432
        .size:           8
        .value_kind:     by_value
      - .offset:         440
        .size:           8
        .value_kind:     by_value
      - .offset:         448
        .size:           4
        .value_kind:     by_value
      - .offset:         456
        .size:           4
        .value_kind:     hidden_block_count_x
      - .offset:         460
        .size:           4
        .value_kind:     hidden_block_count_y
      - .offset:         464
        .size:           4
        .value_kind:     hidden_block_count_z
      - .offset:         468
        .size:           2
        .value_kind:     hidden_group_size_x
      - .offset:         470
        .size:           2
        .value_kind:     hidden_group_size_y
      - .offset:         472
        .size:           2
        .value_kind:     hidden_group_size_z
      - .offset:         474
        .size:           2
        .value_kind:     hidden_remainder_x
      - .offset:         476
        .size:           2
        .value_kind:     hidden_remainder_y
      - .offset:         478
        .size:           2
        .value_kind:     hidden_remainder_z
      - .offset:         496
        .size:           8
        .value_kind:     hidden_global_offset_x
      - .offset:         504
        .size:           8
        .value_kind:     hidden_global_offset_y
      - .offset:         512
        .size:           8
        .value_kind:     hidden_global_offset_z
      - .offset:         520
        .size:           2
        .value_kind:     hidden_grid_dims
    .group_segment_fixed_size: 0
    .kernarg_segment_align: 8
    .kernarg_segment_size: 712
    .language:       OpenCL C
    .language_version:
      - 2
      - 0
    .max_flat_workgroup_size: 128
    .name:           _ZN2at6native16triu_tril_kernelIN3c107complexIfEEiLb0ELi2ELb0EEEvNS_4cuda6detail10TensorInfoIT_T0_EENS7_IKS8_S9_EEllS9_
    .private_segment_fixed_size: 0
    .sgpr_count:     66
    .sgpr_spill_count: 0
    .symbol:         _ZN2at6native16triu_tril_kernelIN3c107complexIfEEiLb0ELi2ELb0EEEvNS_4cuda6detail10TensorInfoIT_T0_EENS7_IKS8_S9_EEllS9_.kd
    .uniform_work_group_size: 1
    .uses_dynamic_stack: false
    .vgpr_count:     26
    .vgpr_spill_count: 0
    .wavefront_size: 64
  - .agpr_count:     0
    .args:
      - .offset:         0
        .size:           416
        .value_kind:     by_value
      - .offset:         416
        .size:           416
        .value_kind:     by_value
      - .offset:         832
        .size:           8
        .value_kind:     by_value
      - .offset:         840
        .size:           8
        .value_kind:     by_value
      - .offset:         848
        .size:           8
        .value_kind:     by_value
      - .offset:         856
        .size:           4
        .value_kind:     hidden_block_count_x
      - .offset:         860
        .size:           4
        .value_kind:     hidden_block_count_y
      - .offset:         864
        .size:           4
        .value_kind:     hidden_block_count_z
      - .offset:         868
        .size:           2
        .value_kind:     hidden_group_size_x
      - .offset:         870
        .size:           2
        .value_kind:     hidden_group_size_y
      - .offset:         872
        .size:           2
        .value_kind:     hidden_group_size_z
      - .offset:         874
        .size:           2
        .value_kind:     hidden_remainder_x
      - .offset:         876
        .size:           2
        .value_kind:     hidden_remainder_y
      - .offset:         878
        .size:           2
        .value_kind:     hidden_remainder_z
      - .offset:         896
        .size:           8
        .value_kind:     hidden_global_offset_x
      - .offset:         904
        .size:           8
        .value_kind:     hidden_global_offset_y
      - .offset:         912
        .size:           8
        .value_kind:     hidden_global_offset_z
      - .offset:         920
        .size:           2
        .value_kind:     hidden_grid_dims
    .group_segment_fixed_size: 0
    .kernarg_segment_align: 8
    .kernarg_segment_size: 1112
    .language:       OpenCL C
    .language_version:
      - 2
      - 0
    .max_flat_workgroup_size: 128
    .name:           _ZN2at6native16triu_tril_kernelIN3c107complexIfEElLb0ELi2ELb1EEEvNS_4cuda6detail10TensorInfoIT_T0_EENS7_IKS8_S9_EEllS9_
    .private_segment_fixed_size: 0
    .sgpr_count:     53
    .sgpr_spill_count: 0
    .symbol:         _ZN2at6native16triu_tril_kernelIN3c107complexIfEElLb0ELi2ELb1EEEvNS_4cuda6detail10TensorInfoIT_T0_EENS7_IKS8_S9_EEllS9_.kd
    .uniform_work_group_size: 1
    .uses_dynamic_stack: false
    .vgpr_count:     25
    .vgpr_spill_count: 0
    .wavefront_size: 64
  - .agpr_count:     0
    .args:
      - .offset:         0
        .size:           416
        .value_kind:     by_value
      - .offset:         416
        .size:           416
        .value_kind:     by_value
      - .offset:         832
        .size:           8
        .value_kind:     by_value
      - .offset:         840
        .size:           8
        .value_kind:     by_value
      - .offset:         848
        .size:           8
        .value_kind:     by_value
      - .offset:         856
        .size:           4
        .value_kind:     hidden_block_count_x
      - .offset:         860
        .size:           4
        .value_kind:     hidden_block_count_y
      - .offset:         864
        .size:           4
        .value_kind:     hidden_block_count_z
      - .offset:         868
        .size:           2
        .value_kind:     hidden_group_size_x
      - .offset:         870
        .size:           2
        .value_kind:     hidden_group_size_y
      - .offset:         872
        .size:           2
        .value_kind:     hidden_group_size_z
      - .offset:         874
        .size:           2
        .value_kind:     hidden_remainder_x
      - .offset:         876
        .size:           2
        .value_kind:     hidden_remainder_y
      - .offset:         878
        .size:           2
        .value_kind:     hidden_remainder_z
      - .offset:         896
        .size:           8
        .value_kind:     hidden_global_offset_x
      - .offset:         904
        .size:           8
        .value_kind:     hidden_global_offset_y
      - .offset:         912
        .size:           8
        .value_kind:     hidden_global_offset_z
      - .offset:         920
        .size:           2
        .value_kind:     hidden_grid_dims
    .group_segment_fixed_size: 0
    .kernarg_segment_align: 8
    .kernarg_segment_size: 1112
    .language:       OpenCL C
    .language_version:
      - 2
      - 0
    .max_flat_workgroup_size: 128
    .name:           _ZN2at6native16triu_tril_kernelIN3c107complexIfEElLb0ELi2ELb0EEEvNS_4cuda6detail10TensorInfoIT_T0_EENS7_IKS8_S9_EEllS9_
    .private_segment_fixed_size: 0
    .sgpr_count:     55
    .sgpr_spill_count: 0
    .symbol:         _ZN2at6native16triu_tril_kernelIN3c107complexIfEElLb0ELi2ELb0EEEvNS_4cuda6detail10TensorInfoIT_T0_EENS7_IKS8_S9_EEllS9_.kd
    .uniform_work_group_size: 1
    .uses_dynamic_stack: false
    .vgpr_count:     25
    .vgpr_spill_count: 0
    .wavefront_size: 64
  - .agpr_count:     0
    .args:
      - .offset:         0
        .size:           216
        .value_kind:     by_value
      - .offset:         216
        .size:           216
        .value_kind:     by_value
      - .offset:         432
        .size:           8
        .value_kind:     by_value
      - .offset:         440
        .size:           8
        .value_kind:     by_value
      - .offset:         448
        .size:           4
        .value_kind:     by_value
      - .offset:         456
        .size:           4
        .value_kind:     hidden_block_count_x
      - .offset:         460
        .size:           4
        .value_kind:     hidden_block_count_y
      - .offset:         464
        .size:           4
        .value_kind:     hidden_block_count_z
      - .offset:         468
        .size:           2
        .value_kind:     hidden_group_size_x
      - .offset:         470
        .size:           2
        .value_kind:     hidden_group_size_y
      - .offset:         472
        .size:           2
        .value_kind:     hidden_group_size_z
      - .offset:         474
        .size:           2
        .value_kind:     hidden_remainder_x
      - .offset:         476
        .size:           2
        .value_kind:     hidden_remainder_y
      - .offset:         478
        .size:           2
        .value_kind:     hidden_remainder_z
      - .offset:         496
        .size:           8
        .value_kind:     hidden_global_offset_x
      - .offset:         504
        .size:           8
        .value_kind:     hidden_global_offset_y
      - .offset:         512
        .size:           8
        .value_kind:     hidden_global_offset_z
      - .offset:         520
        .size:           2
        .value_kind:     hidden_grid_dims
    .group_segment_fixed_size: 0
    .kernarg_segment_align: 8
    .kernarg_segment_size: 712
    .language:       OpenCL C
    .language_version:
      - 2
      - 0
    .max_flat_workgroup_size: 128
    .name:           _ZN2at6native16triu_tril_kernelIN3c107complexINS2_4HalfEEEiLb0ELi2ELb1EEEvNS_4cuda6detail10TensorInfoIT_T0_EENS8_IKS9_SA_EEllSA_
    .private_segment_fixed_size: 0
    .sgpr_count:     67
    .sgpr_spill_count: 0
    .symbol:         _ZN2at6native16triu_tril_kernelIN3c107complexINS2_4HalfEEEiLb0ELi2ELb1EEEvNS_4cuda6detail10TensorInfoIT_T0_EENS8_IKS9_SA_EEllSA_.kd
    .uniform_work_group_size: 1
    .uses_dynamic_stack: false
    .vgpr_count:     32
    .vgpr_spill_count: 0
    .wavefront_size: 64
  - .agpr_count:     0
    .args:
      - .offset:         0
        .size:           216
        .value_kind:     by_value
      - .offset:         216
        .size:           216
        .value_kind:     by_value
      - .offset:         432
        .size:           8
        .value_kind:     by_value
      - .offset:         440
        .size:           8
        .value_kind:     by_value
      - .offset:         448
        .size:           4
        .value_kind:     by_value
      - .offset:         456
        .size:           4
        .value_kind:     hidden_block_count_x
      - .offset:         460
        .size:           4
        .value_kind:     hidden_block_count_y
      - .offset:         464
        .size:           4
        .value_kind:     hidden_block_count_z
      - .offset:         468
        .size:           2
        .value_kind:     hidden_group_size_x
      - .offset:         470
        .size:           2
        .value_kind:     hidden_group_size_y
      - .offset:         472
        .size:           2
        .value_kind:     hidden_group_size_z
      - .offset:         474
        .size:           2
        .value_kind:     hidden_remainder_x
      - .offset:         476
        .size:           2
        .value_kind:     hidden_remainder_y
      - .offset:         478
        .size:           2
        .value_kind:     hidden_remainder_z
      - .offset:         496
        .size:           8
        .value_kind:     hidden_global_offset_x
      - .offset:         504
        .size:           8
        .value_kind:     hidden_global_offset_y
      - .offset:         512
        .size:           8
        .value_kind:     hidden_global_offset_z
      - .offset:         520
        .size:           2
        .value_kind:     hidden_grid_dims
    .group_segment_fixed_size: 0
    .kernarg_segment_align: 8
    .kernarg_segment_size: 712
    .language:       OpenCL C
    .language_version:
      - 2
      - 0
    .max_flat_workgroup_size: 128
    .name:           _ZN2at6native16triu_tril_kernelIN3c107complexINS2_4HalfEEEiLb0ELi2ELb0EEEvNS_4cuda6detail10TensorInfoIT_T0_EENS8_IKS9_SA_EEllSA_
    .private_segment_fixed_size: 0
    .sgpr_count:     67
    .sgpr_spill_count: 0
    .symbol:         _ZN2at6native16triu_tril_kernelIN3c107complexINS2_4HalfEEEiLb0ELi2ELb0EEEvNS_4cuda6detail10TensorInfoIT_T0_EENS8_IKS9_SA_EEllSA_.kd
    .uniform_work_group_size: 1
    .uses_dynamic_stack: false
    .vgpr_count:     26
    .vgpr_spill_count: 0
    .wavefront_size: 64
  - .agpr_count:     0
    .args:
      - .offset:         0
        .size:           416
        .value_kind:     by_value
      - .offset:         416
        .size:           416
        .value_kind:     by_value
      - .offset:         832
        .size:           8
        .value_kind:     by_value
      - .offset:         840
        .size:           8
        .value_kind:     by_value
      - .offset:         848
        .size:           8
        .value_kind:     by_value
      - .offset:         856
        .size:           4
        .value_kind:     hidden_block_count_x
      - .offset:         860
        .size:           4
        .value_kind:     hidden_block_count_y
      - .offset:         864
        .size:           4
        .value_kind:     hidden_block_count_z
      - .offset:         868
        .size:           2
        .value_kind:     hidden_group_size_x
      - .offset:         870
        .size:           2
        .value_kind:     hidden_group_size_y
      - .offset:         872
        .size:           2
        .value_kind:     hidden_group_size_z
      - .offset:         874
        .size:           2
        .value_kind:     hidden_remainder_x
      - .offset:         876
        .size:           2
        .value_kind:     hidden_remainder_y
      - .offset:         878
        .size:           2
        .value_kind:     hidden_remainder_z
      - .offset:         896
        .size:           8
        .value_kind:     hidden_global_offset_x
      - .offset:         904
        .size:           8
        .value_kind:     hidden_global_offset_y
      - .offset:         912
        .size:           8
        .value_kind:     hidden_global_offset_z
      - .offset:         920
        .size:           2
        .value_kind:     hidden_grid_dims
    .group_segment_fixed_size: 0
    .kernarg_segment_align: 8
    .kernarg_segment_size: 1112
    .language:       OpenCL C
    .language_version:
      - 2
      - 0
    .max_flat_workgroup_size: 128
    .name:           _ZN2at6native16triu_tril_kernelIN3c107complexINS2_4HalfEEElLb0ELi2ELb1EEEvNS_4cuda6detail10TensorInfoIT_T0_EENS8_IKS9_SA_EEllSA_
    .private_segment_fixed_size: 0
    .sgpr_count:     53
    .sgpr_spill_count: 0
    .symbol:         _ZN2at6native16triu_tril_kernelIN3c107complexINS2_4HalfEEElLb0ELi2ELb1EEEvNS_4cuda6detail10TensorInfoIT_T0_EENS8_IKS9_SA_EEllSA_.kd
    .uniform_work_group_size: 1
    .uses_dynamic_stack: false
    .vgpr_count:     25
    .vgpr_spill_count: 0
    .wavefront_size: 64
  - .agpr_count:     0
    .args:
      - .offset:         0
        .size:           416
        .value_kind:     by_value
      - .offset:         416
        .size:           416
        .value_kind:     by_value
      - .offset:         832
        .size:           8
        .value_kind:     by_value
      - .offset:         840
        .size:           8
        .value_kind:     by_value
      - .offset:         848
        .size:           8
        .value_kind:     by_value
      - .offset:         856
        .size:           4
        .value_kind:     hidden_block_count_x
      - .offset:         860
        .size:           4
        .value_kind:     hidden_block_count_y
      - .offset:         864
        .size:           4
        .value_kind:     hidden_block_count_z
      - .offset:         868
        .size:           2
        .value_kind:     hidden_group_size_x
      - .offset:         870
        .size:           2
        .value_kind:     hidden_group_size_y
      - .offset:         872
        .size:           2
        .value_kind:     hidden_group_size_z
      - .offset:         874
        .size:           2
        .value_kind:     hidden_remainder_x
      - .offset:         876
        .size:           2
        .value_kind:     hidden_remainder_y
      - .offset:         878
        .size:           2
        .value_kind:     hidden_remainder_z
      - .offset:         896
        .size:           8
        .value_kind:     hidden_global_offset_x
      - .offset:         904
        .size:           8
        .value_kind:     hidden_global_offset_y
      - .offset:         912
        .size:           8
        .value_kind:     hidden_global_offset_z
      - .offset:         920
        .size:           2
        .value_kind:     hidden_grid_dims
    .group_segment_fixed_size: 0
    .kernarg_segment_align: 8
    .kernarg_segment_size: 1112
    .language:       OpenCL C
    .language_version:
      - 2
      - 0
    .max_flat_workgroup_size: 128
    .name:           _ZN2at6native16triu_tril_kernelIN3c107complexINS2_4HalfEEElLb0ELi2ELb0EEEvNS_4cuda6detail10TensorInfoIT_T0_EENS8_IKS9_SA_EEllSA_
    .private_segment_fixed_size: 0
    .sgpr_count:     56
    .sgpr_spill_count: 0
    .symbol:         _ZN2at6native16triu_tril_kernelIN3c107complexINS2_4HalfEEElLb0ELi2ELb0EEEvNS_4cuda6detail10TensorInfoIT_T0_EENS8_IKS9_SA_EEllSA_.kd
    .uniform_work_group_size: 1
    .uses_dynamic_stack: false
    .vgpr_count:     25
    .vgpr_spill_count: 0
    .wavefront_size: 64
  - .agpr_count:     0
    .args:
      - .offset:         0
        .size:           216
        .value_kind:     by_value
      - .offset:         216
        .size:           216
        .value_kind:     by_value
      - .offset:         432
        .size:           8
        .value_kind:     by_value
      - .offset:         440
        .size:           8
        .value_kind:     by_value
      - .offset:         448
        .size:           4
        .value_kind:     by_value
      - .offset:         456
        .size:           4
        .value_kind:     hidden_block_count_x
      - .offset:         460
        .size:           4
        .value_kind:     hidden_block_count_y
      - .offset:         464
        .size:           4
        .value_kind:     hidden_block_count_z
      - .offset:         468
        .size:           2
        .value_kind:     hidden_group_size_x
      - .offset:         470
        .size:           2
        .value_kind:     hidden_group_size_y
      - .offset:         472
        .size:           2
        .value_kind:     hidden_group_size_z
      - .offset:         474
        .size:           2
        .value_kind:     hidden_remainder_x
      - .offset:         476
        .size:           2
        .value_kind:     hidden_remainder_y
      - .offset:         478
        .size:           2
        .value_kind:     hidden_remainder_z
      - .offset:         496
        .size:           8
        .value_kind:     hidden_global_offset_x
      - .offset:         504
        .size:           8
        .value_kind:     hidden_global_offset_y
      - .offset:         512
        .size:           8
        .value_kind:     hidden_global_offset_z
      - .offset:         520
        .size:           2
        .value_kind:     hidden_grid_dims
    .group_segment_fixed_size: 0
    .kernarg_segment_align: 8
    .kernarg_segment_size: 712
    .language:       OpenCL C
    .language_version:
      - 2
      - 0
    .max_flat_workgroup_size: 128
    .name:           _ZN2at6native16triu_tril_kernelIN3c104HalfEiLb0ELi4ELb1EEEvNS_4cuda6detail10TensorInfoIT_T0_EENS6_IKS7_S8_EEllS8_
    .private_segment_fixed_size: 0
    .sgpr_count:     67
    .sgpr_spill_count: 0
    .symbol:         _ZN2at6native16triu_tril_kernelIN3c104HalfEiLb0ELi4ELb1EEEvNS_4cuda6detail10TensorInfoIT_T0_EENS6_IKS7_S8_EEllS8_.kd
    .uniform_work_group_size: 1
    .uses_dynamic_stack: false
    .vgpr_count:     32
    .vgpr_spill_count: 0
    .wavefront_size: 64
  - .agpr_count:     0
    .args:
      - .offset:         0
        .size:           216
        .value_kind:     by_value
      - .offset:         216
        .size:           216
        .value_kind:     by_value
      - .offset:         432
        .size:           8
        .value_kind:     by_value
      - .offset:         440
        .size:           8
        .value_kind:     by_value
      - .offset:         448
        .size:           4
        .value_kind:     by_value
      - .offset:         456
        .size:           4
        .value_kind:     hidden_block_count_x
      - .offset:         460
        .size:           4
        .value_kind:     hidden_block_count_y
      - .offset:         464
        .size:           4
        .value_kind:     hidden_block_count_z
      - .offset:         468
        .size:           2
        .value_kind:     hidden_group_size_x
      - .offset:         470
        .size:           2
        .value_kind:     hidden_group_size_y
      - .offset:         472
        .size:           2
        .value_kind:     hidden_group_size_z
      - .offset:         474
        .size:           2
        .value_kind:     hidden_remainder_x
      - .offset:         476
        .size:           2
        .value_kind:     hidden_remainder_y
      - .offset:         478
        .size:           2
        .value_kind:     hidden_remainder_z
      - .offset:         496
        .size:           8
        .value_kind:     hidden_global_offset_x
      - .offset:         504
        .size:           8
        .value_kind:     hidden_global_offset_y
      - .offset:         512
        .size:           8
        .value_kind:     hidden_global_offset_z
      - .offset:         520
        .size:           2
        .value_kind:     hidden_grid_dims
    .group_segment_fixed_size: 0
    .kernarg_segment_align: 8
    .kernarg_segment_size: 712
    .language:       OpenCL C
    .language_version:
      - 2
      - 0
    .max_flat_workgroup_size: 128
    .name:           _ZN2at6native16triu_tril_kernelIN3c104HalfEiLb0ELi4ELb0EEEvNS_4cuda6detail10TensorInfoIT_T0_EENS6_IKS7_S8_EEllS8_
    .private_segment_fixed_size: 0
    .sgpr_count:     66
    .sgpr_spill_count: 0
    .symbol:         _ZN2at6native16triu_tril_kernelIN3c104HalfEiLb0ELi4ELb0EEEvNS_4cuda6detail10TensorInfoIT_T0_EENS6_IKS7_S8_EEllS8_.kd
    .uniform_work_group_size: 1
    .uses_dynamic_stack: false
    .vgpr_count:     26
    .vgpr_spill_count: 0
    .wavefront_size: 64
  - .agpr_count:     0
    .args:
      - .offset:         0
        .size:           416
        .value_kind:     by_value
      - .offset:         416
        .size:           416
        .value_kind:     by_value
      - .offset:         832
        .size:           8
        .value_kind:     by_value
      - .offset:         840
        .size:           8
        .value_kind:     by_value
      - .offset:         848
        .size:           8
        .value_kind:     by_value
      - .offset:         856
        .size:           4
        .value_kind:     hidden_block_count_x
      - .offset:         860
        .size:           4
        .value_kind:     hidden_block_count_y
      - .offset:         864
        .size:           4
        .value_kind:     hidden_block_count_z
      - .offset:         868
        .size:           2
        .value_kind:     hidden_group_size_x
      - .offset:         870
        .size:           2
        .value_kind:     hidden_group_size_y
      - .offset:         872
        .size:           2
        .value_kind:     hidden_group_size_z
      - .offset:         874
        .size:           2
        .value_kind:     hidden_remainder_x
      - .offset:         876
        .size:           2
        .value_kind:     hidden_remainder_y
      - .offset:         878
        .size:           2
        .value_kind:     hidden_remainder_z
      - .offset:         896
        .size:           8
        .value_kind:     hidden_global_offset_x
      - .offset:         904
        .size:           8
        .value_kind:     hidden_global_offset_y
      - .offset:         912
        .size:           8
        .value_kind:     hidden_global_offset_z
      - .offset:         920
        .size:           2
        .value_kind:     hidden_grid_dims
    .group_segment_fixed_size: 0
    .kernarg_segment_align: 8
    .kernarg_segment_size: 1112
    .language:       OpenCL C
    .language_version:
      - 2
      - 0
    .max_flat_workgroup_size: 128
    .name:           _ZN2at6native16triu_tril_kernelIN3c104HalfElLb0ELi4ELb1EEEvNS_4cuda6detail10TensorInfoIT_T0_EENS6_IKS7_S8_EEllS8_
    .private_segment_fixed_size: 0
    .sgpr_count:     53
    .sgpr_spill_count: 0
    .symbol:         _ZN2at6native16triu_tril_kernelIN3c104HalfElLb0ELi4ELb1EEEvNS_4cuda6detail10TensorInfoIT_T0_EENS6_IKS7_S8_EEllS8_.kd
    .uniform_work_group_size: 1
    .uses_dynamic_stack: false
    .vgpr_count:     25
    .vgpr_spill_count: 0
    .wavefront_size: 64
  - .agpr_count:     0
    .args:
      - .offset:         0
        .size:           416
        .value_kind:     by_value
      - .offset:         416
        .size:           416
        .value_kind:     by_value
      - .offset:         832
        .size:           8
        .value_kind:     by_value
      - .offset:         840
        .size:           8
        .value_kind:     by_value
      - .offset:         848
        .size:           8
        .value_kind:     by_value
      - .offset:         856
        .size:           4
        .value_kind:     hidden_block_count_x
      - .offset:         860
        .size:           4
        .value_kind:     hidden_block_count_y
      - .offset:         864
        .size:           4
        .value_kind:     hidden_block_count_z
      - .offset:         868
        .size:           2
        .value_kind:     hidden_group_size_x
      - .offset:         870
        .size:           2
        .value_kind:     hidden_group_size_y
      - .offset:         872
        .size:           2
        .value_kind:     hidden_group_size_z
      - .offset:         874
        .size:           2
        .value_kind:     hidden_remainder_x
      - .offset:         876
        .size:           2
        .value_kind:     hidden_remainder_y
      - .offset:         878
        .size:           2
        .value_kind:     hidden_remainder_z
      - .offset:         896
        .size:           8
        .value_kind:     hidden_global_offset_x
      - .offset:         904
        .size:           8
        .value_kind:     hidden_global_offset_y
      - .offset:         912
        .size:           8
        .value_kind:     hidden_global_offset_z
      - .offset:         920
        .size:           2
        .value_kind:     hidden_grid_dims
    .group_segment_fixed_size: 0
    .kernarg_segment_align: 8
    .kernarg_segment_size: 1112
    .language:       OpenCL C
    .language_version:
      - 2
      - 0
    .max_flat_workgroup_size: 128
    .name:           _ZN2at6native16triu_tril_kernelIN3c104HalfElLb0ELi4ELb0EEEvNS_4cuda6detail10TensorInfoIT_T0_EENS6_IKS7_S8_EEllS8_
    .private_segment_fixed_size: 0
    .sgpr_count:     63
    .sgpr_spill_count: 0
    .symbol:         _ZN2at6native16triu_tril_kernelIN3c104HalfElLb0ELi4ELb0EEEvNS_4cuda6detail10TensorInfoIT_T0_EENS6_IKS7_S8_EEllS8_.kd
    .uniform_work_group_size: 1
    .uses_dynamic_stack: false
    .vgpr_count:     25
    .vgpr_spill_count: 0
    .wavefront_size: 64
  - .agpr_count:     0
    .args:
      - .offset:         0
        .size:           216
        .value_kind:     by_value
      - .offset:         216
        .size:           216
        .value_kind:     by_value
      - .offset:         432
        .size:           8
        .value_kind:     by_value
      - .offset:         440
        .size:           8
        .value_kind:     by_value
      - .offset:         448
        .size:           4
        .value_kind:     by_value
      - .offset:         456
        .size:           4
        .value_kind:     hidden_block_count_x
      - .offset:         460
        .size:           4
        .value_kind:     hidden_block_count_y
      - .offset:         464
        .size:           4
        .value_kind:     hidden_block_count_z
      - .offset:         468
        .size:           2
        .value_kind:     hidden_group_size_x
      - .offset:         470
        .size:           2
        .value_kind:     hidden_group_size_y
      - .offset:         472
        .size:           2
        .value_kind:     hidden_group_size_z
      - .offset:         474
        .size:           2
        .value_kind:     hidden_remainder_x
      - .offset:         476
        .size:           2
        .value_kind:     hidden_remainder_y
      - .offset:         478
        .size:           2
        .value_kind:     hidden_remainder_z
      - .offset:         496
        .size:           8
        .value_kind:     hidden_global_offset_x
      - .offset:         504
        .size:           8
        .value_kind:     hidden_global_offset_y
      - .offset:         512
        .size:           8
        .value_kind:     hidden_global_offset_z
      - .offset:         520
        .size:           2
        .value_kind:     hidden_grid_dims
    .group_segment_fixed_size: 0
    .kernarg_segment_align: 8
    .kernarg_segment_size: 712
    .language:       OpenCL C
    .language_version:
      - 2
      - 0
    .max_flat_workgroup_size: 128
    .name:           _ZN2at6native16triu_tril_kernelIN3c108BFloat16EiLb0ELi4ELb1EEEvNS_4cuda6detail10TensorInfoIT_T0_EENS6_IKS7_S8_EEllS8_
    .private_segment_fixed_size: 0
    .sgpr_count:     67
    .sgpr_spill_count: 0
    .symbol:         _ZN2at6native16triu_tril_kernelIN3c108BFloat16EiLb0ELi4ELb1EEEvNS_4cuda6detail10TensorInfoIT_T0_EENS6_IKS7_S8_EEllS8_.kd
    .uniform_work_group_size: 1
    .uses_dynamic_stack: false
    .vgpr_count:     32
    .vgpr_spill_count: 0
    .wavefront_size: 64
  - .agpr_count:     0
    .args:
      - .offset:         0
        .size:           216
        .value_kind:     by_value
      - .offset:         216
        .size:           216
        .value_kind:     by_value
      - .offset:         432
        .size:           8
        .value_kind:     by_value
      - .offset:         440
        .size:           8
        .value_kind:     by_value
      - .offset:         448
        .size:           4
        .value_kind:     by_value
      - .offset:         456
        .size:           4
        .value_kind:     hidden_block_count_x
      - .offset:         460
        .size:           4
        .value_kind:     hidden_block_count_y
      - .offset:         464
        .size:           4
        .value_kind:     hidden_block_count_z
      - .offset:         468
        .size:           2
        .value_kind:     hidden_group_size_x
      - .offset:         470
        .size:           2
        .value_kind:     hidden_group_size_y
      - .offset:         472
        .size:           2
        .value_kind:     hidden_group_size_z
      - .offset:         474
        .size:           2
        .value_kind:     hidden_remainder_x
      - .offset:         476
        .size:           2
        .value_kind:     hidden_remainder_y
      - .offset:         478
        .size:           2
        .value_kind:     hidden_remainder_z
      - .offset:         496
        .size:           8
        .value_kind:     hidden_global_offset_x
      - .offset:         504
        .size:           8
        .value_kind:     hidden_global_offset_y
      - .offset:         512
        .size:           8
        .value_kind:     hidden_global_offset_z
      - .offset:         520
        .size:           2
        .value_kind:     hidden_grid_dims
    .group_segment_fixed_size: 0
    .kernarg_segment_align: 8
    .kernarg_segment_size: 712
    .language:       OpenCL C
    .language_version:
      - 2
      - 0
    .max_flat_workgroup_size: 128
    .name:           _ZN2at6native16triu_tril_kernelIN3c108BFloat16EiLb0ELi4ELb0EEEvNS_4cuda6detail10TensorInfoIT_T0_EENS6_IKS7_S8_EEllS8_
    .private_segment_fixed_size: 0
    .sgpr_count:     66
    .sgpr_spill_count: 0
    .symbol:         _ZN2at6native16triu_tril_kernelIN3c108BFloat16EiLb0ELi4ELb0EEEvNS_4cuda6detail10TensorInfoIT_T0_EENS6_IKS7_S8_EEllS8_.kd
    .uniform_work_group_size: 1
    .uses_dynamic_stack: false
    .vgpr_count:     26
    .vgpr_spill_count: 0
    .wavefront_size: 64
  - .agpr_count:     0
    .args:
      - .offset:         0
        .size:           416
        .value_kind:     by_value
      - .offset:         416
        .size:           416
        .value_kind:     by_value
      - .offset:         832
        .size:           8
        .value_kind:     by_value
      - .offset:         840
        .size:           8
        .value_kind:     by_value
      - .offset:         848
        .size:           8
        .value_kind:     by_value
      - .offset:         856
        .size:           4
        .value_kind:     hidden_block_count_x
      - .offset:         860
        .size:           4
        .value_kind:     hidden_block_count_y
      - .offset:         864
        .size:           4
        .value_kind:     hidden_block_count_z
      - .offset:         868
        .size:           2
        .value_kind:     hidden_group_size_x
      - .offset:         870
        .size:           2
        .value_kind:     hidden_group_size_y
      - .offset:         872
        .size:           2
        .value_kind:     hidden_group_size_z
      - .offset:         874
        .size:           2
        .value_kind:     hidden_remainder_x
      - .offset:         876
        .size:           2
        .value_kind:     hidden_remainder_y
      - .offset:         878
        .size:           2
        .value_kind:     hidden_remainder_z
      - .offset:         896
        .size:           8
        .value_kind:     hidden_global_offset_x
      - .offset:         904
        .size:           8
        .value_kind:     hidden_global_offset_y
      - .offset:         912
        .size:           8
        .value_kind:     hidden_global_offset_z
      - .offset:         920
        .size:           2
        .value_kind:     hidden_grid_dims
    .group_segment_fixed_size: 0
    .kernarg_segment_align: 8
    .kernarg_segment_size: 1112
    .language:       OpenCL C
    .language_version:
      - 2
      - 0
    .max_flat_workgroup_size: 128
    .name:           _ZN2at6native16triu_tril_kernelIN3c108BFloat16ElLb0ELi4ELb1EEEvNS_4cuda6detail10TensorInfoIT_T0_EENS6_IKS7_S8_EEllS8_
    .private_segment_fixed_size: 0
    .sgpr_count:     53
    .sgpr_spill_count: 0
    .symbol:         _ZN2at6native16triu_tril_kernelIN3c108BFloat16ElLb0ELi4ELb1EEEvNS_4cuda6detail10TensorInfoIT_T0_EENS6_IKS7_S8_EEllS8_.kd
    .uniform_work_group_size: 1
    .uses_dynamic_stack: false
    .vgpr_count:     25
    .vgpr_spill_count: 0
    .wavefront_size: 64
  - .agpr_count:     0
    .args:
      - .offset:         0
        .size:           416
        .value_kind:     by_value
      - .offset:         416
        .size:           416
        .value_kind:     by_value
      - .offset:         832
        .size:           8
        .value_kind:     by_value
      - .offset:         840
        .size:           8
        .value_kind:     by_value
      - .offset:         848
        .size:           8
        .value_kind:     by_value
      - .offset:         856
        .size:           4
        .value_kind:     hidden_block_count_x
      - .offset:         860
        .size:           4
        .value_kind:     hidden_block_count_y
      - .offset:         864
        .size:           4
        .value_kind:     hidden_block_count_z
      - .offset:         868
        .size:           2
        .value_kind:     hidden_group_size_x
      - .offset:         870
        .size:           2
        .value_kind:     hidden_group_size_y
      - .offset:         872
        .size:           2
        .value_kind:     hidden_group_size_z
      - .offset:         874
        .size:           2
        .value_kind:     hidden_remainder_x
      - .offset:         876
        .size:           2
        .value_kind:     hidden_remainder_y
      - .offset:         878
        .size:           2
        .value_kind:     hidden_remainder_z
      - .offset:         896
        .size:           8
        .value_kind:     hidden_global_offset_x
      - .offset:         904
        .size:           8
        .value_kind:     hidden_global_offset_y
      - .offset:         912
        .size:           8
        .value_kind:     hidden_global_offset_z
      - .offset:         920
        .size:           2
        .value_kind:     hidden_grid_dims
    .group_segment_fixed_size: 0
    .kernarg_segment_align: 8
    .kernarg_segment_size: 1112
    .language:       OpenCL C
    .language_version:
      - 2
      - 0
    .max_flat_workgroup_size: 128
    .name:           _ZN2at6native16triu_tril_kernelIN3c108BFloat16ElLb0ELi4ELb0EEEvNS_4cuda6detail10TensorInfoIT_T0_EENS6_IKS7_S8_EEllS8_
    .private_segment_fixed_size: 0
    .sgpr_count:     63
    .sgpr_spill_count: 0
    .symbol:         _ZN2at6native16triu_tril_kernelIN3c108BFloat16ElLb0ELi4ELb0EEEvNS_4cuda6detail10TensorInfoIT_T0_EENS6_IKS7_S8_EEllS8_.kd
    .uniform_work_group_size: 1
    .uses_dynamic_stack: false
    .vgpr_count:     25
    .vgpr_spill_count: 0
    .wavefront_size: 64
  - .agpr_count:     0
    .args:
      - .offset:         0
        .size:           216
        .value_kind:     by_value
      - .offset:         216
        .size:           216
        .value_kind:     by_value
      - .offset:         432
        .size:           8
        .value_kind:     by_value
      - .offset:         440
        .size:           8
        .value_kind:     by_value
      - .offset:         448
        .size:           4
        .value_kind:     by_value
      - .offset:         456
        .size:           4
        .value_kind:     hidden_block_count_x
      - .offset:         460
        .size:           4
        .value_kind:     hidden_block_count_y
      - .offset:         464
        .size:           4
        .value_kind:     hidden_block_count_z
      - .offset:         468
        .size:           2
        .value_kind:     hidden_group_size_x
      - .offset:         470
        .size:           2
        .value_kind:     hidden_group_size_y
      - .offset:         472
        .size:           2
        .value_kind:     hidden_group_size_z
      - .offset:         474
        .size:           2
        .value_kind:     hidden_remainder_x
      - .offset:         476
        .size:           2
        .value_kind:     hidden_remainder_y
      - .offset:         478
        .size:           2
        .value_kind:     hidden_remainder_z
      - .offset:         496
        .size:           8
        .value_kind:     hidden_global_offset_x
      - .offset:         504
        .size:           8
        .value_kind:     hidden_global_offset_y
      - .offset:         512
        .size:           8
        .value_kind:     hidden_global_offset_z
      - .offset:         520
        .size:           2
        .value_kind:     hidden_grid_dims
    .group_segment_fixed_size: 0
    .kernarg_segment_align: 8
    .kernarg_segment_size: 712
    .language:       OpenCL C
    .language_version:
      - 2
      - 0
    .max_flat_workgroup_size: 128
    .name:           _ZN2at6native16triu_tril_kernelIbiLb0ELi4ELb1EEEvNS_4cuda6detail10TensorInfoIT_T0_EENS4_IKS5_S6_EEllS6_
    .private_segment_fixed_size: 0
    .sgpr_count:     67
    .sgpr_spill_count: 0
    .symbol:         _ZN2at6native16triu_tril_kernelIbiLb0ELi4ELb1EEEvNS_4cuda6detail10TensorInfoIT_T0_EENS4_IKS5_S6_EEllS6_.kd
    .uniform_work_group_size: 1
    .uses_dynamic_stack: false
    .vgpr_count:     32
    .vgpr_spill_count: 0
    .wavefront_size: 64
  - .agpr_count:     0
    .args:
      - .offset:         0
        .size:           216
        .value_kind:     by_value
      - .offset:         216
        .size:           216
        .value_kind:     by_value
      - .offset:         432
        .size:           8
        .value_kind:     by_value
      - .offset:         440
        .size:           8
        .value_kind:     by_value
      - .offset:         448
        .size:           4
        .value_kind:     by_value
      - .offset:         456
        .size:           4
        .value_kind:     hidden_block_count_x
      - .offset:         460
        .size:           4
        .value_kind:     hidden_block_count_y
      - .offset:         464
        .size:           4
        .value_kind:     hidden_block_count_z
      - .offset:         468
        .size:           2
        .value_kind:     hidden_group_size_x
      - .offset:         470
        .size:           2
        .value_kind:     hidden_group_size_y
      - .offset:         472
        .size:           2
        .value_kind:     hidden_group_size_z
      - .offset:         474
        .size:           2
        .value_kind:     hidden_remainder_x
      - .offset:         476
        .size:           2
        .value_kind:     hidden_remainder_y
      - .offset:         478
        .size:           2
        .value_kind:     hidden_remainder_z
      - .offset:         496
        .size:           8
        .value_kind:     hidden_global_offset_x
      - .offset:         504
        .size:           8
        .value_kind:     hidden_global_offset_y
      - .offset:         512
        .size:           8
        .value_kind:     hidden_global_offset_z
      - .offset:         520
        .size:           2
        .value_kind:     hidden_grid_dims
    .group_segment_fixed_size: 0
    .kernarg_segment_align: 8
    .kernarg_segment_size: 712
    .language:       OpenCL C
    .language_version:
      - 2
      - 0
    .max_flat_workgroup_size: 128
    .name:           _ZN2at6native16triu_tril_kernelIbiLb0ELi4ELb0EEEvNS_4cuda6detail10TensorInfoIT_T0_EENS4_IKS5_S6_EEllS6_
    .private_segment_fixed_size: 0
    .sgpr_count:     67
    .sgpr_spill_count: 0
    .symbol:         _ZN2at6native16triu_tril_kernelIbiLb0ELi4ELb0EEEvNS_4cuda6detail10TensorInfoIT_T0_EENS4_IKS5_S6_EEllS6_.kd
    .uniform_work_group_size: 1
    .uses_dynamic_stack: false
    .vgpr_count:     26
    .vgpr_spill_count: 0
    .wavefront_size: 64
  - .agpr_count:     0
    .args:
      - .offset:         0
        .size:           416
        .value_kind:     by_value
      - .offset:         416
        .size:           416
        .value_kind:     by_value
      - .offset:         832
        .size:           8
        .value_kind:     by_value
      - .offset:         840
        .size:           8
        .value_kind:     by_value
      - .offset:         848
        .size:           8
        .value_kind:     by_value
      - .offset:         856
        .size:           4
        .value_kind:     hidden_block_count_x
      - .offset:         860
        .size:           4
        .value_kind:     hidden_block_count_y
      - .offset:         864
        .size:           4
        .value_kind:     hidden_block_count_z
      - .offset:         868
        .size:           2
        .value_kind:     hidden_group_size_x
      - .offset:         870
        .size:           2
        .value_kind:     hidden_group_size_y
      - .offset:         872
        .size:           2
        .value_kind:     hidden_group_size_z
      - .offset:         874
        .size:           2
        .value_kind:     hidden_remainder_x
      - .offset:         876
        .size:           2
        .value_kind:     hidden_remainder_y
      - .offset:         878
        .size:           2
        .value_kind:     hidden_remainder_z
      - .offset:         896
        .size:           8
        .value_kind:     hidden_global_offset_x
      - .offset:         904
        .size:           8
        .value_kind:     hidden_global_offset_y
      - .offset:         912
        .size:           8
        .value_kind:     hidden_global_offset_z
      - .offset:         920
        .size:           2
        .value_kind:     hidden_grid_dims
    .group_segment_fixed_size: 0
    .kernarg_segment_align: 8
    .kernarg_segment_size: 1112
    .language:       OpenCL C
    .language_version:
      - 2
      - 0
    .max_flat_workgroup_size: 128
    .name:           _ZN2at6native16triu_tril_kernelIblLb0ELi4ELb1EEEvNS_4cuda6detail10TensorInfoIT_T0_EENS4_IKS5_S6_EEllS6_
    .private_segment_fixed_size: 0
    .sgpr_count:     53
    .sgpr_spill_count: 0
    .symbol:         _ZN2at6native16triu_tril_kernelIblLb0ELi4ELb1EEEvNS_4cuda6detail10TensorInfoIT_T0_EENS4_IKS5_S6_EEllS6_.kd
    .uniform_work_group_size: 1
    .uses_dynamic_stack: false
    .vgpr_count:     25
    .vgpr_spill_count: 0
    .wavefront_size: 64
  - .agpr_count:     0
    .args:
      - .offset:         0
        .size:           416
        .value_kind:     by_value
      - .offset:         416
        .size:           416
        .value_kind:     by_value
      - .offset:         832
        .size:           8
        .value_kind:     by_value
      - .offset:         840
        .size:           8
        .value_kind:     by_value
      - .offset:         848
        .size:           8
        .value_kind:     by_value
      - .offset:         856
        .size:           4
        .value_kind:     hidden_block_count_x
      - .offset:         860
        .size:           4
        .value_kind:     hidden_block_count_y
      - .offset:         864
        .size:           4
        .value_kind:     hidden_block_count_z
      - .offset:         868
        .size:           2
        .value_kind:     hidden_group_size_x
      - .offset:         870
        .size:           2
        .value_kind:     hidden_group_size_y
      - .offset:         872
        .size:           2
        .value_kind:     hidden_group_size_z
      - .offset:         874
        .size:           2
        .value_kind:     hidden_remainder_x
      - .offset:         876
        .size:           2
        .value_kind:     hidden_remainder_y
      - .offset:         878
        .size:           2
        .value_kind:     hidden_remainder_z
      - .offset:         896
        .size:           8
        .value_kind:     hidden_global_offset_x
      - .offset:         904
        .size:           8
        .value_kind:     hidden_global_offset_y
      - .offset:         912
        .size:           8
        .value_kind:     hidden_global_offset_z
      - .offset:         920
        .size:           2
        .value_kind:     hidden_grid_dims
    .group_segment_fixed_size: 0
    .kernarg_segment_align: 8
    .kernarg_segment_size: 1112
    .language:       OpenCL C
    .language_version:
      - 2
      - 0
    .max_flat_workgroup_size: 128
    .name:           _ZN2at6native16triu_tril_kernelIblLb0ELi4ELb0EEEvNS_4cuda6detail10TensorInfoIT_T0_EENS4_IKS5_S6_EEllS6_
    .private_segment_fixed_size: 0
    .sgpr_count:     56
    .sgpr_spill_count: 0
    .symbol:         _ZN2at6native16triu_tril_kernelIblLb0ELi4ELb0EEEvNS_4cuda6detail10TensorInfoIT_T0_EENS4_IKS5_S6_EEllS6_.kd
    .uniform_work_group_size: 1
    .uses_dynamic_stack: false
    .vgpr_count:     26
    .vgpr_spill_count: 0
    .wavefront_size: 64
  - .agpr_count:     0
    .args:
      - .offset:         0
        .size:           216
        .value_kind:     by_value
      - .offset:         216
        .size:           216
        .value_kind:     by_value
      - .offset:         432
        .size:           8
        .value_kind:     by_value
      - .offset:         440
        .size:           8
        .value_kind:     by_value
      - .offset:         448
        .size:           4
        .value_kind:     by_value
      - .offset:         456
        .size:           4
        .value_kind:     hidden_block_count_x
      - .offset:         460
        .size:           4
        .value_kind:     hidden_block_count_y
      - .offset:         464
        .size:           4
        .value_kind:     hidden_block_count_z
      - .offset:         468
        .size:           2
        .value_kind:     hidden_group_size_x
      - .offset:         470
        .size:           2
        .value_kind:     hidden_group_size_y
      - .offset:         472
        .size:           2
        .value_kind:     hidden_group_size_z
      - .offset:         474
        .size:           2
        .value_kind:     hidden_remainder_x
      - .offset:         476
        .size:           2
        .value_kind:     hidden_remainder_y
      - .offset:         478
        .size:           2
        .value_kind:     hidden_remainder_z
      - .offset:         496
        .size:           8
        .value_kind:     hidden_global_offset_x
      - .offset:         504
        .size:           8
        .value_kind:     hidden_global_offset_y
      - .offset:         512
        .size:           8
        .value_kind:     hidden_global_offset_z
      - .offset:         520
        .size:           2
        .value_kind:     hidden_grid_dims
    .group_segment_fixed_size: 0
    .kernarg_segment_align: 8
    .kernarg_segment_size: 712
    .language:       OpenCL C
    .language_version:
      - 2
      - 0
    .max_flat_workgroup_size: 128
    .name:           _ZN2at6native16triu_tril_kernelIhiLb1ELi4ELb1EEEvNS_4cuda6detail10TensorInfoIT_T0_EENS4_IKS5_S6_EEllS6_
    .private_segment_fixed_size: 0
    .sgpr_count:     67
    .sgpr_spill_count: 0
    .symbol:         _ZN2at6native16triu_tril_kernelIhiLb1ELi4ELb1EEEvNS_4cuda6detail10TensorInfoIT_T0_EENS4_IKS5_S6_EEllS6_.kd
    .uniform_work_group_size: 1
    .uses_dynamic_stack: false
    .vgpr_count:     30
    .vgpr_spill_count: 0
    .wavefront_size: 64
  - .agpr_count:     0
    .args:
      - .offset:         0
        .size:           216
        .value_kind:     by_value
      - .offset:         216
        .size:           216
        .value_kind:     by_value
      - .offset:         432
        .size:           8
        .value_kind:     by_value
      - .offset:         440
        .size:           8
        .value_kind:     by_value
      - .offset:         448
        .size:           4
        .value_kind:     by_value
      - .offset:         456
        .size:           4
        .value_kind:     hidden_block_count_x
      - .offset:         460
        .size:           4
        .value_kind:     hidden_block_count_y
      - .offset:         464
        .size:           4
        .value_kind:     hidden_block_count_z
      - .offset:         468
        .size:           2
        .value_kind:     hidden_group_size_x
      - .offset:         470
        .size:           2
        .value_kind:     hidden_group_size_y
      - .offset:         472
        .size:           2
        .value_kind:     hidden_group_size_z
      - .offset:         474
        .size:           2
        .value_kind:     hidden_remainder_x
      - .offset:         476
        .size:           2
        .value_kind:     hidden_remainder_y
      - .offset:         478
        .size:           2
        .value_kind:     hidden_remainder_z
      - .offset:         496
        .size:           8
        .value_kind:     hidden_global_offset_x
      - .offset:         504
        .size:           8
        .value_kind:     hidden_global_offset_y
      - .offset:         512
        .size:           8
        .value_kind:     hidden_global_offset_z
      - .offset:         520
        .size:           2
        .value_kind:     hidden_grid_dims
    .group_segment_fixed_size: 0
    .kernarg_segment_align: 8
    .kernarg_segment_size: 712
    .language:       OpenCL C
    .language_version:
      - 2
      - 0
    .max_flat_workgroup_size: 128
    .name:           _ZN2at6native16triu_tril_kernelIhiLb1ELi4ELb0EEEvNS_4cuda6detail10TensorInfoIT_T0_EENS4_IKS5_S6_EEllS6_
    .private_segment_fixed_size: 0
    .sgpr_count:     67
    .sgpr_spill_count: 0
    .symbol:         _ZN2at6native16triu_tril_kernelIhiLb1ELi4ELb0EEEvNS_4cuda6detail10TensorInfoIT_T0_EENS4_IKS5_S6_EEllS6_.kd
    .uniform_work_group_size: 1
    .uses_dynamic_stack: false
    .vgpr_count:     26
    .vgpr_spill_count: 0
    .wavefront_size: 64
  - .agpr_count:     0
    .args:
      - .offset:         0
        .size:           416
        .value_kind:     by_value
      - .offset:         416
        .size:           416
        .value_kind:     by_value
      - .offset:         832
        .size:           8
        .value_kind:     by_value
      - .offset:         840
        .size:           8
        .value_kind:     by_value
      - .offset:         848
        .size:           8
        .value_kind:     by_value
      - .offset:         856
        .size:           4
        .value_kind:     hidden_block_count_x
      - .offset:         860
        .size:           4
        .value_kind:     hidden_block_count_y
      - .offset:         864
        .size:           4
        .value_kind:     hidden_block_count_z
      - .offset:         868
        .size:           2
        .value_kind:     hidden_group_size_x
      - .offset:         870
        .size:           2
        .value_kind:     hidden_group_size_y
      - .offset:         872
        .size:           2
        .value_kind:     hidden_group_size_z
      - .offset:         874
        .size:           2
        .value_kind:     hidden_remainder_x
      - .offset:         876
        .size:           2
        .value_kind:     hidden_remainder_y
      - .offset:         878
        .size:           2
        .value_kind:     hidden_remainder_z
      - .offset:         896
        .size:           8
        .value_kind:     hidden_global_offset_x
      - .offset:         904
        .size:           8
        .value_kind:     hidden_global_offset_y
      - .offset:         912
        .size:           8
        .value_kind:     hidden_global_offset_z
      - .offset:         920
        .size:           2
        .value_kind:     hidden_grid_dims
    .group_segment_fixed_size: 0
    .kernarg_segment_align: 8
    .kernarg_segment_size: 1112
    .language:       OpenCL C
    .language_version:
      - 2
      - 0
    .max_flat_workgroup_size: 128
    .name:           _ZN2at6native16triu_tril_kernelIhlLb1ELi4ELb1EEEvNS_4cuda6detail10TensorInfoIT_T0_EENS4_IKS5_S6_EEllS6_
    .private_segment_fixed_size: 0
    .sgpr_count:     53
    .sgpr_spill_count: 0
    .symbol:         _ZN2at6native16triu_tril_kernelIhlLb1ELi4ELb1EEEvNS_4cuda6detail10TensorInfoIT_T0_EENS4_IKS5_S6_EEllS6_.kd
    .uniform_work_group_size: 1
    .uses_dynamic_stack: false
    .vgpr_count:     23
    .vgpr_spill_count: 0
    .wavefront_size: 64
  - .agpr_count:     0
    .args:
      - .offset:         0
        .size:           416
        .value_kind:     by_value
      - .offset:         416
        .size:           416
        .value_kind:     by_value
      - .offset:         832
        .size:           8
        .value_kind:     by_value
      - .offset:         840
        .size:           8
        .value_kind:     by_value
      - .offset:         848
        .size:           8
        .value_kind:     by_value
      - .offset:         856
        .size:           4
        .value_kind:     hidden_block_count_x
      - .offset:         860
        .size:           4
        .value_kind:     hidden_block_count_y
      - .offset:         864
        .size:           4
        .value_kind:     hidden_block_count_z
      - .offset:         868
        .size:           2
        .value_kind:     hidden_group_size_x
      - .offset:         870
        .size:           2
        .value_kind:     hidden_group_size_y
      - .offset:         872
        .size:           2
        .value_kind:     hidden_group_size_z
      - .offset:         874
        .size:           2
        .value_kind:     hidden_remainder_x
      - .offset:         876
        .size:           2
        .value_kind:     hidden_remainder_y
      - .offset:         878
        .size:           2
        .value_kind:     hidden_remainder_z
      - .offset:         896
        .size:           8
        .value_kind:     hidden_global_offset_x
      - .offset:         904
        .size:           8
        .value_kind:     hidden_global_offset_y
      - .offset:         912
        .size:           8
        .value_kind:     hidden_global_offset_z
      - .offset:         920
        .size:           2
        .value_kind:     hidden_grid_dims
    .group_segment_fixed_size: 0
    .kernarg_segment_align: 8
    .kernarg_segment_size: 1112
    .language:       OpenCL C
    .language_version:
      - 2
      - 0
    .max_flat_workgroup_size: 128
    .name:           _ZN2at6native16triu_tril_kernelIhlLb1ELi4ELb0EEEvNS_4cuda6detail10TensorInfoIT_T0_EENS4_IKS5_S6_EEllS6_
    .private_segment_fixed_size: 0
    .sgpr_count:     56
    .sgpr_spill_count: 0
    .symbol:         _ZN2at6native16triu_tril_kernelIhlLb1ELi4ELb0EEEvNS_4cuda6detail10TensorInfoIT_T0_EENS4_IKS5_S6_EEllS6_.kd
    .uniform_work_group_size: 1
    .uses_dynamic_stack: false
    .vgpr_count:     25
    .vgpr_spill_count: 0
    .wavefront_size: 64
  - .agpr_count:     0
    .args:
      - .offset:         0
        .size:           216
        .value_kind:     by_value
      - .offset:         216
        .size:           216
        .value_kind:     by_value
      - .offset:         432
        .size:           8
        .value_kind:     by_value
      - .offset:         440
        .size:           8
        .value_kind:     by_value
      - .offset:         448
        .size:           4
        .value_kind:     by_value
      - .offset:         456
        .size:           4
        .value_kind:     hidden_block_count_x
      - .offset:         460
        .size:           4
        .value_kind:     hidden_block_count_y
      - .offset:         464
        .size:           4
        .value_kind:     hidden_block_count_z
      - .offset:         468
        .size:           2
        .value_kind:     hidden_group_size_x
      - .offset:         470
        .size:           2
        .value_kind:     hidden_group_size_y
      - .offset:         472
        .size:           2
        .value_kind:     hidden_group_size_z
      - .offset:         474
        .size:           2
        .value_kind:     hidden_remainder_x
      - .offset:         476
        .size:           2
        .value_kind:     hidden_remainder_y
      - .offset:         478
        .size:           2
        .value_kind:     hidden_remainder_z
      - .offset:         496
        .size:           8
        .value_kind:     hidden_global_offset_x
      - .offset:         504
        .size:           8
        .value_kind:     hidden_global_offset_y
      - .offset:         512
        .size:           8
        .value_kind:     hidden_global_offset_z
      - .offset:         520
        .size:           2
        .value_kind:     hidden_grid_dims
    .group_segment_fixed_size: 0
    .kernarg_segment_align: 8
    .kernarg_segment_size: 712
    .language:       OpenCL C
    .language_version:
      - 2
      - 0
    .max_flat_workgroup_size: 128
    .name:           _ZN2at6native16triu_tril_kernelIaiLb1ELi4ELb1EEEvNS_4cuda6detail10TensorInfoIT_T0_EENS4_IKS5_S6_EEllS6_
    .private_segment_fixed_size: 0
    .sgpr_count:     67
    .sgpr_spill_count: 0
    .symbol:         _ZN2at6native16triu_tril_kernelIaiLb1ELi4ELb1EEEvNS_4cuda6detail10TensorInfoIT_T0_EENS4_IKS5_S6_EEllS6_.kd
    .uniform_work_group_size: 1
    .uses_dynamic_stack: false
    .vgpr_count:     30
    .vgpr_spill_count: 0
    .wavefront_size: 64
  - .agpr_count:     0
    .args:
      - .offset:         0
        .size:           216
        .value_kind:     by_value
      - .offset:         216
        .size:           216
        .value_kind:     by_value
      - .offset:         432
        .size:           8
        .value_kind:     by_value
      - .offset:         440
        .size:           8
        .value_kind:     by_value
      - .offset:         448
        .size:           4
        .value_kind:     by_value
      - .offset:         456
        .size:           4
        .value_kind:     hidden_block_count_x
      - .offset:         460
        .size:           4
        .value_kind:     hidden_block_count_y
      - .offset:         464
        .size:           4
        .value_kind:     hidden_block_count_z
      - .offset:         468
        .size:           2
        .value_kind:     hidden_group_size_x
      - .offset:         470
        .size:           2
        .value_kind:     hidden_group_size_y
      - .offset:         472
        .size:           2
        .value_kind:     hidden_group_size_z
      - .offset:         474
        .size:           2
        .value_kind:     hidden_remainder_x
      - .offset:         476
        .size:           2
        .value_kind:     hidden_remainder_y
      - .offset:         478
        .size:           2
        .value_kind:     hidden_remainder_z
      - .offset:         496
        .size:           8
        .value_kind:     hidden_global_offset_x
      - .offset:         504
        .size:           8
        .value_kind:     hidden_global_offset_y
      - .offset:         512
        .size:           8
        .value_kind:     hidden_global_offset_z
      - .offset:         520
        .size:           2
        .value_kind:     hidden_grid_dims
    .group_segment_fixed_size: 0
    .kernarg_segment_align: 8
    .kernarg_segment_size: 712
    .language:       OpenCL C
    .language_version:
      - 2
      - 0
    .max_flat_workgroup_size: 128
    .name:           _ZN2at6native16triu_tril_kernelIaiLb1ELi4ELb0EEEvNS_4cuda6detail10TensorInfoIT_T0_EENS4_IKS5_S6_EEllS6_
    .private_segment_fixed_size: 0
    .sgpr_count:     67
    .sgpr_spill_count: 0
    .symbol:         _ZN2at6native16triu_tril_kernelIaiLb1ELi4ELb0EEEvNS_4cuda6detail10TensorInfoIT_T0_EENS4_IKS5_S6_EEllS6_.kd
    .uniform_work_group_size: 1
    .uses_dynamic_stack: false
    .vgpr_count:     26
    .vgpr_spill_count: 0
    .wavefront_size: 64
  - .agpr_count:     0
    .args:
      - .offset:         0
        .size:           416
        .value_kind:     by_value
      - .offset:         416
        .size:           416
        .value_kind:     by_value
      - .offset:         832
        .size:           8
        .value_kind:     by_value
      - .offset:         840
        .size:           8
        .value_kind:     by_value
      - .offset:         848
        .size:           8
        .value_kind:     by_value
      - .offset:         856
        .size:           4
        .value_kind:     hidden_block_count_x
      - .offset:         860
        .size:           4
        .value_kind:     hidden_block_count_y
      - .offset:         864
        .size:           4
        .value_kind:     hidden_block_count_z
      - .offset:         868
        .size:           2
        .value_kind:     hidden_group_size_x
      - .offset:         870
        .size:           2
        .value_kind:     hidden_group_size_y
      - .offset:         872
        .size:           2
        .value_kind:     hidden_group_size_z
      - .offset:         874
        .size:           2
        .value_kind:     hidden_remainder_x
      - .offset:         876
        .size:           2
        .value_kind:     hidden_remainder_y
      - .offset:         878
        .size:           2
        .value_kind:     hidden_remainder_z
      - .offset:         896
        .size:           8
        .value_kind:     hidden_global_offset_x
      - .offset:         904
        .size:           8
        .value_kind:     hidden_global_offset_y
      - .offset:         912
        .size:           8
        .value_kind:     hidden_global_offset_z
      - .offset:         920
        .size:           2
        .value_kind:     hidden_grid_dims
    .group_segment_fixed_size: 0
    .kernarg_segment_align: 8
    .kernarg_segment_size: 1112
    .language:       OpenCL C
    .language_version:
      - 2
      - 0
    .max_flat_workgroup_size: 128
    .name:           _ZN2at6native16triu_tril_kernelIalLb1ELi4ELb1EEEvNS_4cuda6detail10TensorInfoIT_T0_EENS4_IKS5_S6_EEllS6_
    .private_segment_fixed_size: 0
    .sgpr_count:     53
    .sgpr_spill_count: 0
    .symbol:         _ZN2at6native16triu_tril_kernelIalLb1ELi4ELb1EEEvNS_4cuda6detail10TensorInfoIT_T0_EENS4_IKS5_S6_EEllS6_.kd
    .uniform_work_group_size: 1
    .uses_dynamic_stack: false
    .vgpr_count:     23
    .vgpr_spill_count: 0
    .wavefront_size: 64
  - .agpr_count:     0
    .args:
      - .offset:         0
        .size:           416
        .value_kind:     by_value
      - .offset:         416
        .size:           416
        .value_kind:     by_value
      - .offset:         832
        .size:           8
        .value_kind:     by_value
      - .offset:         840
        .size:           8
        .value_kind:     by_value
      - .offset:         848
        .size:           8
        .value_kind:     by_value
      - .offset:         856
        .size:           4
        .value_kind:     hidden_block_count_x
      - .offset:         860
        .size:           4
        .value_kind:     hidden_block_count_y
      - .offset:         864
        .size:           4
        .value_kind:     hidden_block_count_z
      - .offset:         868
        .size:           2
        .value_kind:     hidden_group_size_x
      - .offset:         870
        .size:           2
        .value_kind:     hidden_group_size_y
      - .offset:         872
        .size:           2
        .value_kind:     hidden_group_size_z
      - .offset:         874
        .size:           2
        .value_kind:     hidden_remainder_x
      - .offset:         876
        .size:           2
        .value_kind:     hidden_remainder_y
      - .offset:         878
        .size:           2
        .value_kind:     hidden_remainder_z
      - .offset:         896
        .size:           8
        .value_kind:     hidden_global_offset_x
      - .offset:         904
        .size:           8
        .value_kind:     hidden_global_offset_y
      - .offset:         912
        .size:           8
        .value_kind:     hidden_global_offset_z
      - .offset:         920
        .size:           2
        .value_kind:     hidden_grid_dims
    .group_segment_fixed_size: 0
    .kernarg_segment_align: 8
    .kernarg_segment_size: 1112
    .language:       OpenCL C
    .language_version:
      - 2
      - 0
    .max_flat_workgroup_size: 128
    .name:           _ZN2at6native16triu_tril_kernelIalLb1ELi4ELb0EEEvNS_4cuda6detail10TensorInfoIT_T0_EENS4_IKS5_S6_EEllS6_
    .private_segment_fixed_size: 0
    .sgpr_count:     56
    .sgpr_spill_count: 0
    .symbol:         _ZN2at6native16triu_tril_kernelIalLb1ELi4ELb0EEEvNS_4cuda6detail10TensorInfoIT_T0_EENS4_IKS5_S6_EEllS6_.kd
    .uniform_work_group_size: 1
    .uses_dynamic_stack: false
    .vgpr_count:     25
    .vgpr_spill_count: 0
    .wavefront_size: 64
  - .agpr_count:     0
    .args:
      - .offset:         0
        .size:           216
        .value_kind:     by_value
      - .offset:         216
        .size:           216
        .value_kind:     by_value
      - .offset:         432
        .size:           8
        .value_kind:     by_value
      - .offset:         440
        .size:           8
        .value_kind:     by_value
      - .offset:         448
        .size:           4
        .value_kind:     by_value
      - .offset:         456
        .size:           4
        .value_kind:     hidden_block_count_x
      - .offset:         460
        .size:           4
        .value_kind:     hidden_block_count_y
      - .offset:         464
        .size:           4
        .value_kind:     hidden_block_count_z
      - .offset:         468
        .size:           2
        .value_kind:     hidden_group_size_x
      - .offset:         470
        .size:           2
        .value_kind:     hidden_group_size_y
      - .offset:         472
        .size:           2
        .value_kind:     hidden_group_size_z
      - .offset:         474
        .size:           2
        .value_kind:     hidden_remainder_x
      - .offset:         476
        .size:           2
        .value_kind:     hidden_remainder_y
      - .offset:         478
        .size:           2
        .value_kind:     hidden_remainder_z
      - .offset:         496
        .size:           8
        .value_kind:     hidden_global_offset_x
      - .offset:         504
        .size:           8
        .value_kind:     hidden_global_offset_y
      - .offset:         512
        .size:           8
        .value_kind:     hidden_global_offset_z
      - .offset:         520
        .size:           2
        .value_kind:     hidden_grid_dims
    .group_segment_fixed_size: 0
    .kernarg_segment_align: 8
    .kernarg_segment_size: 712
    .language:       OpenCL C
    .language_version:
      - 2
      - 0
    .max_flat_workgroup_size: 128
    .name:           _ZN2at6native16triu_tril_kernelIiiLb1ELi2ELb1EEEvNS_4cuda6detail10TensorInfoIT_T0_EENS4_IKS5_S6_EEllS6_
    .private_segment_fixed_size: 0
    .sgpr_count:     67
    .sgpr_spill_count: 0
    .symbol:         _ZN2at6native16triu_tril_kernelIiiLb1ELi2ELb1EEEvNS_4cuda6detail10TensorInfoIT_T0_EENS4_IKS5_S6_EEllS6_.kd
    .uniform_work_group_size: 1
    .uses_dynamic_stack: false
    .vgpr_count:     30
    .vgpr_spill_count: 0
    .wavefront_size: 64
  - .agpr_count:     0
    .args:
      - .offset:         0
        .size:           216
        .value_kind:     by_value
      - .offset:         216
        .size:           216
        .value_kind:     by_value
      - .offset:         432
        .size:           8
        .value_kind:     by_value
      - .offset:         440
        .size:           8
        .value_kind:     by_value
      - .offset:         448
        .size:           4
        .value_kind:     by_value
      - .offset:         456
        .size:           4
        .value_kind:     hidden_block_count_x
      - .offset:         460
        .size:           4
        .value_kind:     hidden_block_count_y
      - .offset:         464
        .size:           4
        .value_kind:     hidden_block_count_z
      - .offset:         468
        .size:           2
        .value_kind:     hidden_group_size_x
      - .offset:         470
        .size:           2
        .value_kind:     hidden_group_size_y
      - .offset:         472
        .size:           2
        .value_kind:     hidden_group_size_z
      - .offset:         474
        .size:           2
        .value_kind:     hidden_remainder_x
      - .offset:         476
        .size:           2
        .value_kind:     hidden_remainder_y
      - .offset:         478
        .size:           2
        .value_kind:     hidden_remainder_z
      - .offset:         496
        .size:           8
        .value_kind:     hidden_global_offset_x
      - .offset:         504
        .size:           8
        .value_kind:     hidden_global_offset_y
      - .offset:         512
        .size:           8
        .value_kind:     hidden_global_offset_z
      - .offset:         520
        .size:           2
        .value_kind:     hidden_grid_dims
    .group_segment_fixed_size: 0
    .kernarg_segment_align: 8
    .kernarg_segment_size: 712
    .language:       OpenCL C
    .language_version:
      - 2
      - 0
    .max_flat_workgroup_size: 128
    .name:           _ZN2at6native16triu_tril_kernelIiiLb1ELi2ELb0EEEvNS_4cuda6detail10TensorInfoIT_T0_EENS4_IKS5_S6_EEllS6_
    .private_segment_fixed_size: 0
    .sgpr_count:     70
    .sgpr_spill_count: 0
    .symbol:         _ZN2at6native16triu_tril_kernelIiiLb1ELi2ELb0EEEvNS_4cuda6detail10TensorInfoIT_T0_EENS4_IKS5_S6_EEllS6_.kd
    .uniform_work_group_size: 1
    .uses_dynamic_stack: false
    .vgpr_count:     26
    .vgpr_spill_count: 0
    .wavefront_size: 64
  - .agpr_count:     0
    .args:
      - .offset:         0
        .size:           416
        .value_kind:     by_value
      - .offset:         416
        .size:           416
        .value_kind:     by_value
      - .offset:         832
        .size:           8
        .value_kind:     by_value
      - .offset:         840
        .size:           8
        .value_kind:     by_value
      - .offset:         848
        .size:           8
        .value_kind:     by_value
      - .offset:         856
        .size:           4
        .value_kind:     hidden_block_count_x
      - .offset:         860
        .size:           4
        .value_kind:     hidden_block_count_y
      - .offset:         864
        .size:           4
        .value_kind:     hidden_block_count_z
      - .offset:         868
        .size:           2
        .value_kind:     hidden_group_size_x
      - .offset:         870
        .size:           2
        .value_kind:     hidden_group_size_y
      - .offset:         872
        .size:           2
        .value_kind:     hidden_group_size_z
      - .offset:         874
        .size:           2
        .value_kind:     hidden_remainder_x
      - .offset:         876
        .size:           2
        .value_kind:     hidden_remainder_y
      - .offset:         878
        .size:           2
        .value_kind:     hidden_remainder_z
      - .offset:         896
        .size:           8
        .value_kind:     hidden_global_offset_x
      - .offset:         904
        .size:           8
        .value_kind:     hidden_global_offset_y
      - .offset:         912
        .size:           8
        .value_kind:     hidden_global_offset_z
      - .offset:         920
        .size:           2
        .value_kind:     hidden_grid_dims
    .group_segment_fixed_size: 0
    .kernarg_segment_align: 8
    .kernarg_segment_size: 1112
    .language:       OpenCL C
    .language_version:
      - 2
      - 0
    .max_flat_workgroup_size: 128
    .name:           _ZN2at6native16triu_tril_kernelIilLb1ELi2ELb1EEEvNS_4cuda6detail10TensorInfoIT_T0_EENS4_IKS5_S6_EEllS6_
    .private_segment_fixed_size: 0
    .sgpr_count:     53
    .sgpr_spill_count: 0
    .symbol:         _ZN2at6native16triu_tril_kernelIilLb1ELi2ELb1EEEvNS_4cuda6detail10TensorInfoIT_T0_EENS4_IKS5_S6_EEllS6_.kd
    .uniform_work_group_size: 1
    .uses_dynamic_stack: false
    .vgpr_count:     23
    .vgpr_spill_count: 0
    .wavefront_size: 64
  - .agpr_count:     0
    .args:
      - .offset:         0
        .size:           416
        .value_kind:     by_value
      - .offset:         416
        .size:           416
        .value_kind:     by_value
      - .offset:         832
        .size:           8
        .value_kind:     by_value
      - .offset:         840
        .size:           8
        .value_kind:     by_value
      - .offset:         848
        .size:           8
        .value_kind:     by_value
      - .offset:         856
        .size:           4
        .value_kind:     hidden_block_count_x
      - .offset:         860
        .size:           4
        .value_kind:     hidden_block_count_y
      - .offset:         864
        .size:           4
        .value_kind:     hidden_block_count_z
      - .offset:         868
        .size:           2
        .value_kind:     hidden_group_size_x
      - .offset:         870
        .size:           2
        .value_kind:     hidden_group_size_y
      - .offset:         872
        .size:           2
        .value_kind:     hidden_group_size_z
      - .offset:         874
        .size:           2
        .value_kind:     hidden_remainder_x
      - .offset:         876
        .size:           2
        .value_kind:     hidden_remainder_y
      - .offset:         878
        .size:           2
        .value_kind:     hidden_remainder_z
      - .offset:         896
        .size:           8
        .value_kind:     hidden_global_offset_x
      - .offset:         904
        .size:           8
        .value_kind:     hidden_global_offset_y
      - .offset:         912
        .size:           8
        .value_kind:     hidden_global_offset_z
      - .offset:         920
        .size:           2
        .value_kind:     hidden_grid_dims
    .group_segment_fixed_size: 0
    .kernarg_segment_align: 8
    .kernarg_segment_size: 1112
    .language:       OpenCL C
    .language_version:
      - 2
      - 0
    .max_flat_workgroup_size: 128
    .name:           _ZN2at6native16triu_tril_kernelIilLb1ELi2ELb0EEEvNS_4cuda6detail10TensorInfoIT_T0_EENS4_IKS5_S6_EEllS6_
    .private_segment_fixed_size: 0
    .sgpr_count:     55
    .sgpr_spill_count: 0
    .symbol:         _ZN2at6native16triu_tril_kernelIilLb1ELi2ELb0EEEvNS_4cuda6detail10TensorInfoIT_T0_EENS4_IKS5_S6_EEllS6_.kd
    .uniform_work_group_size: 1
    .uses_dynamic_stack: false
    .vgpr_count:     25
    .vgpr_spill_count: 0
    .wavefront_size: 64
  - .agpr_count:     0
    .args:
      - .offset:         0
        .size:           216
        .value_kind:     by_value
      - .offset:         216
        .size:           216
        .value_kind:     by_value
      - .offset:         432
        .size:           8
        .value_kind:     by_value
      - .offset:         440
        .size:           8
        .value_kind:     by_value
      - .offset:         448
        .size:           4
        .value_kind:     by_value
      - .offset:         456
        .size:           4
        .value_kind:     hidden_block_count_x
      - .offset:         460
        .size:           4
        .value_kind:     hidden_block_count_y
      - .offset:         464
        .size:           4
        .value_kind:     hidden_block_count_z
      - .offset:         468
        .size:           2
        .value_kind:     hidden_group_size_x
      - .offset:         470
        .size:           2
        .value_kind:     hidden_group_size_y
      - .offset:         472
        .size:           2
        .value_kind:     hidden_group_size_z
      - .offset:         474
        .size:           2
        .value_kind:     hidden_remainder_x
      - .offset:         476
        .size:           2
        .value_kind:     hidden_remainder_y
      - .offset:         478
        .size:           2
        .value_kind:     hidden_remainder_z
      - .offset:         496
        .size:           8
        .value_kind:     hidden_global_offset_x
      - .offset:         504
        .size:           8
        .value_kind:     hidden_global_offset_y
      - .offset:         512
        .size:           8
        .value_kind:     hidden_global_offset_z
      - .offset:         520
        .size:           2
        .value_kind:     hidden_grid_dims
    .group_segment_fixed_size: 0
    .kernarg_segment_align: 8
    .kernarg_segment_size: 712
    .language:       OpenCL C
    .language_version:
      - 2
      - 0
    .max_flat_workgroup_size: 128
    .name:           _ZN2at6native16triu_tril_kernelIliLb1ELi2ELb1EEEvNS_4cuda6detail10TensorInfoIT_T0_EENS4_IKS5_S6_EEllS6_
    .private_segment_fixed_size: 0
    .sgpr_count:     67
    .sgpr_spill_count: 0
    .symbol:         _ZN2at6native16triu_tril_kernelIliLb1ELi2ELb1EEEvNS_4cuda6detail10TensorInfoIT_T0_EENS4_IKS5_S6_EEllS6_.kd
    .uniform_work_group_size: 1
    .uses_dynamic_stack: false
    .vgpr_count:     30
    .vgpr_spill_count: 0
    .wavefront_size: 64
  - .agpr_count:     0
    .args:
      - .offset:         0
        .size:           216
        .value_kind:     by_value
      - .offset:         216
        .size:           216
        .value_kind:     by_value
      - .offset:         432
        .size:           8
        .value_kind:     by_value
      - .offset:         440
        .size:           8
        .value_kind:     by_value
      - .offset:         448
        .size:           4
        .value_kind:     by_value
      - .offset:         456
        .size:           4
        .value_kind:     hidden_block_count_x
      - .offset:         460
        .size:           4
        .value_kind:     hidden_block_count_y
      - .offset:         464
        .size:           4
        .value_kind:     hidden_block_count_z
      - .offset:         468
        .size:           2
        .value_kind:     hidden_group_size_x
      - .offset:         470
        .size:           2
        .value_kind:     hidden_group_size_y
      - .offset:         472
        .size:           2
        .value_kind:     hidden_group_size_z
      - .offset:         474
        .size:           2
        .value_kind:     hidden_remainder_x
      - .offset:         476
        .size:           2
        .value_kind:     hidden_remainder_y
      - .offset:         478
        .size:           2
        .value_kind:     hidden_remainder_z
      - .offset:         496
        .size:           8
        .value_kind:     hidden_global_offset_x
      - .offset:         504
        .size:           8
        .value_kind:     hidden_global_offset_y
      - .offset:         512
        .size:           8
        .value_kind:     hidden_global_offset_z
      - .offset:         520
        .size:           2
        .value_kind:     hidden_grid_dims
    .group_segment_fixed_size: 0
    .kernarg_segment_align: 8
    .kernarg_segment_size: 712
    .language:       OpenCL C
    .language_version:
      - 2
      - 0
    .max_flat_workgroup_size: 128
    .name:           _ZN2at6native16triu_tril_kernelIliLb1ELi2ELb0EEEvNS_4cuda6detail10TensorInfoIT_T0_EENS4_IKS5_S6_EEllS6_
    .private_segment_fixed_size: 0
    .sgpr_count:     66
    .sgpr_spill_count: 0
    .symbol:         _ZN2at6native16triu_tril_kernelIliLb1ELi2ELb0EEEvNS_4cuda6detail10TensorInfoIT_T0_EENS4_IKS5_S6_EEllS6_.kd
    .uniform_work_group_size: 1
    .uses_dynamic_stack: false
    .vgpr_count:     26
    .vgpr_spill_count: 0
    .wavefront_size: 64
  - .agpr_count:     0
    .args:
      - .offset:         0
        .size:           416
        .value_kind:     by_value
      - .offset:         416
        .size:           416
        .value_kind:     by_value
      - .offset:         832
        .size:           8
        .value_kind:     by_value
      - .offset:         840
        .size:           8
        .value_kind:     by_value
      - .offset:         848
        .size:           8
        .value_kind:     by_value
      - .offset:         856
        .size:           4
        .value_kind:     hidden_block_count_x
      - .offset:         860
        .size:           4
        .value_kind:     hidden_block_count_y
      - .offset:         864
        .size:           4
        .value_kind:     hidden_block_count_z
      - .offset:         868
        .size:           2
        .value_kind:     hidden_group_size_x
      - .offset:         870
        .size:           2
        .value_kind:     hidden_group_size_y
      - .offset:         872
        .size:           2
        .value_kind:     hidden_group_size_z
      - .offset:         874
        .size:           2
        .value_kind:     hidden_remainder_x
      - .offset:         876
        .size:           2
        .value_kind:     hidden_remainder_y
      - .offset:         878
        .size:           2
        .value_kind:     hidden_remainder_z
      - .offset:         896
        .size:           8
        .value_kind:     hidden_global_offset_x
      - .offset:         904
        .size:           8
        .value_kind:     hidden_global_offset_y
      - .offset:         912
        .size:           8
        .value_kind:     hidden_global_offset_z
      - .offset:         920
        .size:           2
        .value_kind:     hidden_grid_dims
    .group_segment_fixed_size: 0
    .kernarg_segment_align: 8
    .kernarg_segment_size: 1112
    .language:       OpenCL C
    .language_version:
      - 2
      - 0
    .max_flat_workgroup_size: 128
    .name:           _ZN2at6native16triu_tril_kernelIllLb1ELi2ELb1EEEvNS_4cuda6detail10TensorInfoIT_T0_EENS4_IKS5_S6_EEllS6_
    .private_segment_fixed_size: 0
    .sgpr_count:     53
    .sgpr_spill_count: 0
    .symbol:         _ZN2at6native16triu_tril_kernelIllLb1ELi2ELb1EEEvNS_4cuda6detail10TensorInfoIT_T0_EENS4_IKS5_S6_EEllS6_.kd
    .uniform_work_group_size: 1
    .uses_dynamic_stack: false
    .vgpr_count:     23
    .vgpr_spill_count: 0
    .wavefront_size: 64
  - .agpr_count:     0
    .args:
      - .offset:         0
        .size:           416
        .value_kind:     by_value
      - .offset:         416
        .size:           416
        .value_kind:     by_value
      - .offset:         832
        .size:           8
        .value_kind:     by_value
      - .offset:         840
        .size:           8
        .value_kind:     by_value
      - .offset:         848
        .size:           8
        .value_kind:     by_value
      - .offset:         856
        .size:           4
        .value_kind:     hidden_block_count_x
      - .offset:         860
        .size:           4
        .value_kind:     hidden_block_count_y
      - .offset:         864
        .size:           4
        .value_kind:     hidden_block_count_z
      - .offset:         868
        .size:           2
        .value_kind:     hidden_group_size_x
      - .offset:         870
        .size:           2
        .value_kind:     hidden_group_size_y
      - .offset:         872
        .size:           2
        .value_kind:     hidden_group_size_z
      - .offset:         874
        .size:           2
        .value_kind:     hidden_remainder_x
      - .offset:         876
        .size:           2
        .value_kind:     hidden_remainder_y
      - .offset:         878
        .size:           2
        .value_kind:     hidden_remainder_z
      - .offset:         896
        .size:           8
        .value_kind:     hidden_global_offset_x
      - .offset:         904
        .size:           8
        .value_kind:     hidden_global_offset_y
      - .offset:         912
        .size:           8
        .value_kind:     hidden_global_offset_z
      - .offset:         920
        .size:           2
        .value_kind:     hidden_grid_dims
    .group_segment_fixed_size: 0
    .kernarg_segment_align: 8
    .kernarg_segment_size: 1112
    .language:       OpenCL C
    .language_version:
      - 2
      - 0
    .max_flat_workgroup_size: 128
    .name:           _ZN2at6native16triu_tril_kernelIllLb1ELi2ELb0EEEvNS_4cuda6detail10TensorInfoIT_T0_EENS4_IKS5_S6_EEllS6_
    .private_segment_fixed_size: 0
    .sgpr_count:     55
    .sgpr_spill_count: 0
    .symbol:         _ZN2at6native16triu_tril_kernelIllLb1ELi2ELb0EEEvNS_4cuda6detail10TensorInfoIT_T0_EENS4_IKS5_S6_EEllS6_.kd
    .uniform_work_group_size: 1
    .uses_dynamic_stack: false
    .vgpr_count:     25
    .vgpr_spill_count: 0
    .wavefront_size: 64
  - .agpr_count:     0
    .args:
      - .offset:         0
        .size:           216
        .value_kind:     by_value
      - .offset:         216
        .size:           216
        .value_kind:     by_value
      - .offset:         432
        .size:           8
        .value_kind:     by_value
      - .offset:         440
        .size:           8
        .value_kind:     by_value
      - .offset:         448
        .size:           4
        .value_kind:     by_value
      - .offset:         456
        .size:           4
        .value_kind:     hidden_block_count_x
      - .offset:         460
        .size:           4
        .value_kind:     hidden_block_count_y
      - .offset:         464
        .size:           4
        .value_kind:     hidden_block_count_z
      - .offset:         468
        .size:           2
        .value_kind:     hidden_group_size_x
      - .offset:         470
        .size:           2
        .value_kind:     hidden_group_size_y
      - .offset:         472
        .size:           2
        .value_kind:     hidden_group_size_z
      - .offset:         474
        .size:           2
        .value_kind:     hidden_remainder_x
      - .offset:         476
        .size:           2
        .value_kind:     hidden_remainder_y
      - .offset:         478
        .size:           2
        .value_kind:     hidden_remainder_z
      - .offset:         496
        .size:           8
        .value_kind:     hidden_global_offset_x
      - .offset:         504
        .size:           8
        .value_kind:     hidden_global_offset_y
      - .offset:         512
        .size:           8
        .value_kind:     hidden_global_offset_z
      - .offset:         520
        .size:           2
        .value_kind:     hidden_grid_dims
    .group_segment_fixed_size: 0
    .kernarg_segment_align: 8
    .kernarg_segment_size: 712
    .language:       OpenCL C
    .language_version:
      - 2
      - 0
    .max_flat_workgroup_size: 128
    .name:           _ZN2at6native16triu_tril_kernelIsiLb1ELi4ELb1EEEvNS_4cuda6detail10TensorInfoIT_T0_EENS4_IKS5_S6_EEllS6_
    .private_segment_fixed_size: 0
    .sgpr_count:     67
    .sgpr_spill_count: 0
    .symbol:         _ZN2at6native16triu_tril_kernelIsiLb1ELi4ELb1EEEvNS_4cuda6detail10TensorInfoIT_T0_EENS4_IKS5_S6_EEllS6_.kd
    .uniform_work_group_size: 1
    .uses_dynamic_stack: false
    .vgpr_count:     30
    .vgpr_spill_count: 0
    .wavefront_size: 64
  - .agpr_count:     0
    .args:
      - .offset:         0
        .size:           216
        .value_kind:     by_value
      - .offset:         216
        .size:           216
        .value_kind:     by_value
      - .offset:         432
        .size:           8
        .value_kind:     by_value
      - .offset:         440
        .size:           8
        .value_kind:     by_value
      - .offset:         448
        .size:           4
        .value_kind:     by_value
      - .offset:         456
        .size:           4
        .value_kind:     hidden_block_count_x
      - .offset:         460
        .size:           4
        .value_kind:     hidden_block_count_y
      - .offset:         464
        .size:           4
        .value_kind:     hidden_block_count_z
      - .offset:         468
        .size:           2
        .value_kind:     hidden_group_size_x
      - .offset:         470
        .size:           2
        .value_kind:     hidden_group_size_y
      - .offset:         472
        .size:           2
        .value_kind:     hidden_group_size_z
      - .offset:         474
        .size:           2
        .value_kind:     hidden_remainder_x
      - .offset:         476
        .size:           2
        .value_kind:     hidden_remainder_y
      - .offset:         478
        .size:           2
        .value_kind:     hidden_remainder_z
      - .offset:         496
        .size:           8
        .value_kind:     hidden_global_offset_x
      - .offset:         504
        .size:           8
        .value_kind:     hidden_global_offset_y
      - .offset:         512
        .size:           8
        .value_kind:     hidden_global_offset_z
      - .offset:         520
        .size:           2
        .value_kind:     hidden_grid_dims
    .group_segment_fixed_size: 0
    .kernarg_segment_align: 8
    .kernarg_segment_size: 712
    .language:       OpenCL C
    .language_version:
      - 2
      - 0
    .max_flat_workgroup_size: 128
    .name:           _ZN2at6native16triu_tril_kernelIsiLb1ELi4ELb0EEEvNS_4cuda6detail10TensorInfoIT_T0_EENS4_IKS5_S6_EEllS6_
    .private_segment_fixed_size: 0
    .sgpr_count:     76
    .sgpr_spill_count: 0
    .symbol:         _ZN2at6native16triu_tril_kernelIsiLb1ELi4ELb0EEEvNS_4cuda6detail10TensorInfoIT_T0_EENS4_IKS5_S6_EEllS6_.kd
    .uniform_work_group_size: 1
    .uses_dynamic_stack: false
    .vgpr_count:     26
    .vgpr_spill_count: 0
    .wavefront_size: 64
  - .agpr_count:     0
    .args:
      - .offset:         0
        .size:           416
        .value_kind:     by_value
      - .offset:         416
        .size:           416
        .value_kind:     by_value
      - .offset:         832
        .size:           8
        .value_kind:     by_value
      - .offset:         840
        .size:           8
        .value_kind:     by_value
      - .offset:         848
        .size:           8
        .value_kind:     by_value
      - .offset:         856
        .size:           4
        .value_kind:     hidden_block_count_x
      - .offset:         860
        .size:           4
        .value_kind:     hidden_block_count_y
      - .offset:         864
        .size:           4
        .value_kind:     hidden_block_count_z
      - .offset:         868
        .size:           2
        .value_kind:     hidden_group_size_x
      - .offset:         870
        .size:           2
        .value_kind:     hidden_group_size_y
      - .offset:         872
        .size:           2
        .value_kind:     hidden_group_size_z
      - .offset:         874
        .size:           2
        .value_kind:     hidden_remainder_x
      - .offset:         876
        .size:           2
        .value_kind:     hidden_remainder_y
      - .offset:         878
        .size:           2
        .value_kind:     hidden_remainder_z
      - .offset:         896
        .size:           8
        .value_kind:     hidden_global_offset_x
      - .offset:         904
        .size:           8
        .value_kind:     hidden_global_offset_y
      - .offset:         912
        .size:           8
        .value_kind:     hidden_global_offset_z
      - .offset:         920
        .size:           2
        .value_kind:     hidden_grid_dims
    .group_segment_fixed_size: 0
    .kernarg_segment_align: 8
    .kernarg_segment_size: 1112
    .language:       OpenCL C
    .language_version:
      - 2
      - 0
    .max_flat_workgroup_size: 128
    .name:           _ZN2at6native16triu_tril_kernelIslLb1ELi4ELb1EEEvNS_4cuda6detail10TensorInfoIT_T0_EENS4_IKS5_S6_EEllS6_
    .private_segment_fixed_size: 0
    .sgpr_count:     53
    .sgpr_spill_count: 0
    .symbol:         _ZN2at6native16triu_tril_kernelIslLb1ELi4ELb1EEEvNS_4cuda6detail10TensorInfoIT_T0_EENS4_IKS5_S6_EEllS6_.kd
    .uniform_work_group_size: 1
    .uses_dynamic_stack: false
    .vgpr_count:     23
    .vgpr_spill_count: 0
    .wavefront_size: 64
  - .agpr_count:     0
    .args:
      - .offset:         0
        .size:           416
        .value_kind:     by_value
      - .offset:         416
        .size:           416
        .value_kind:     by_value
      - .offset:         832
        .size:           8
        .value_kind:     by_value
      - .offset:         840
        .size:           8
        .value_kind:     by_value
      - .offset:         848
        .size:           8
        .value_kind:     by_value
      - .offset:         856
        .size:           4
        .value_kind:     hidden_block_count_x
      - .offset:         860
        .size:           4
        .value_kind:     hidden_block_count_y
      - .offset:         864
        .size:           4
        .value_kind:     hidden_block_count_z
      - .offset:         868
        .size:           2
        .value_kind:     hidden_group_size_x
      - .offset:         870
        .size:           2
        .value_kind:     hidden_group_size_y
      - .offset:         872
        .size:           2
        .value_kind:     hidden_group_size_z
      - .offset:         874
        .size:           2
        .value_kind:     hidden_remainder_x
      - .offset:         876
        .size:           2
        .value_kind:     hidden_remainder_y
      - .offset:         878
        .size:           2
        .value_kind:     hidden_remainder_z
      - .offset:         896
        .size:           8
        .value_kind:     hidden_global_offset_x
      - .offset:         904
        .size:           8
        .value_kind:     hidden_global_offset_y
      - .offset:         912
        .size:           8
        .value_kind:     hidden_global_offset_z
      - .offset:         920
        .size:           2
        .value_kind:     hidden_grid_dims
    .group_segment_fixed_size: 0
    .kernarg_segment_align: 8
    .kernarg_segment_size: 1112
    .language:       OpenCL C
    .language_version:
      - 2
      - 0
    .max_flat_workgroup_size: 128
    .name:           _ZN2at6native16triu_tril_kernelIslLb1ELi4ELb0EEEvNS_4cuda6detail10TensorInfoIT_T0_EENS4_IKS5_S6_EEllS6_
    .private_segment_fixed_size: 0
    .sgpr_count:     73
    .sgpr_spill_count: 0
    .symbol:         _ZN2at6native16triu_tril_kernelIslLb1ELi4ELb0EEEvNS_4cuda6detail10TensorInfoIT_T0_EENS4_IKS5_S6_EEllS6_.kd
    .uniform_work_group_size: 1
    .uses_dynamic_stack: false
    .vgpr_count:     25
    .vgpr_spill_count: 0
    .wavefront_size: 64
  - .agpr_count:     0
    .args:
      - .offset:         0
        .size:           216
        .value_kind:     by_value
      - .offset:         216
        .size:           216
        .value_kind:     by_value
      - .offset:         432
        .size:           8
        .value_kind:     by_value
      - .offset:         440
        .size:           8
        .value_kind:     by_value
      - .offset:         448
        .size:           4
        .value_kind:     by_value
      - .offset:         456
        .size:           4
        .value_kind:     hidden_block_count_x
      - .offset:         460
        .size:           4
        .value_kind:     hidden_block_count_y
      - .offset:         464
        .size:           4
        .value_kind:     hidden_block_count_z
      - .offset:         468
        .size:           2
        .value_kind:     hidden_group_size_x
      - .offset:         470
        .size:           2
        .value_kind:     hidden_group_size_y
      - .offset:         472
        .size:           2
        .value_kind:     hidden_group_size_z
      - .offset:         474
        .size:           2
        .value_kind:     hidden_remainder_x
      - .offset:         476
        .size:           2
        .value_kind:     hidden_remainder_y
      - .offset:         478
        .size:           2
        .value_kind:     hidden_remainder_z
      - .offset:         496
        .size:           8
        .value_kind:     hidden_global_offset_x
      - .offset:         504
        .size:           8
        .value_kind:     hidden_global_offset_y
      - .offset:         512
        .size:           8
        .value_kind:     hidden_global_offset_z
      - .offset:         520
        .size:           2
        .value_kind:     hidden_grid_dims
    .group_segment_fixed_size: 0
    .kernarg_segment_align: 8
    .kernarg_segment_size: 712
    .language:       OpenCL C
    .language_version:
      - 2
      - 0
    .max_flat_workgroup_size: 128
    .name:           _ZN2at6native16triu_tril_kernelIdiLb1ELi2ELb1EEEvNS_4cuda6detail10TensorInfoIT_T0_EENS4_IKS5_S6_EEllS6_
    .private_segment_fixed_size: 0
    .sgpr_count:     67
    .sgpr_spill_count: 0
    .symbol:         _ZN2at6native16triu_tril_kernelIdiLb1ELi2ELb1EEEvNS_4cuda6detail10TensorInfoIT_T0_EENS4_IKS5_S6_EEllS6_.kd
    .uniform_work_group_size: 1
    .uses_dynamic_stack: false
    .vgpr_count:     30
    .vgpr_spill_count: 0
    .wavefront_size: 64
  - .agpr_count:     0
    .args:
      - .offset:         0
        .size:           216
        .value_kind:     by_value
      - .offset:         216
        .size:           216
        .value_kind:     by_value
      - .offset:         432
        .size:           8
        .value_kind:     by_value
      - .offset:         440
        .size:           8
        .value_kind:     by_value
      - .offset:         448
        .size:           4
        .value_kind:     by_value
      - .offset:         456
        .size:           4
        .value_kind:     hidden_block_count_x
      - .offset:         460
        .size:           4
        .value_kind:     hidden_block_count_y
      - .offset:         464
        .size:           4
        .value_kind:     hidden_block_count_z
      - .offset:         468
        .size:           2
        .value_kind:     hidden_group_size_x
      - .offset:         470
        .size:           2
        .value_kind:     hidden_group_size_y
      - .offset:         472
        .size:           2
        .value_kind:     hidden_group_size_z
      - .offset:         474
        .size:           2
        .value_kind:     hidden_remainder_x
      - .offset:         476
        .size:           2
        .value_kind:     hidden_remainder_y
      - .offset:         478
        .size:           2
        .value_kind:     hidden_remainder_z
      - .offset:         496
        .size:           8
        .value_kind:     hidden_global_offset_x
      - .offset:         504
        .size:           8
        .value_kind:     hidden_global_offset_y
      - .offset:         512
        .size:           8
        .value_kind:     hidden_global_offset_z
      - .offset:         520
        .size:           2
        .value_kind:     hidden_grid_dims
    .group_segment_fixed_size: 0
    .kernarg_segment_align: 8
    .kernarg_segment_size: 712
    .language:       OpenCL C
    .language_version:
      - 2
      - 0
    .max_flat_workgroup_size: 128
    .name:           _ZN2at6native16triu_tril_kernelIdiLb1ELi2ELb0EEEvNS_4cuda6detail10TensorInfoIT_T0_EENS4_IKS5_S6_EEllS6_
    .private_segment_fixed_size: 0
    .sgpr_count:     66
    .sgpr_spill_count: 0
    .symbol:         _ZN2at6native16triu_tril_kernelIdiLb1ELi2ELb0EEEvNS_4cuda6detail10TensorInfoIT_T0_EENS4_IKS5_S6_EEllS6_.kd
    .uniform_work_group_size: 1
    .uses_dynamic_stack: false
    .vgpr_count:     26
    .vgpr_spill_count: 0
    .wavefront_size: 64
  - .agpr_count:     0
    .args:
      - .offset:         0
        .size:           416
        .value_kind:     by_value
      - .offset:         416
        .size:           416
        .value_kind:     by_value
      - .offset:         832
        .size:           8
        .value_kind:     by_value
      - .offset:         840
        .size:           8
        .value_kind:     by_value
      - .offset:         848
        .size:           8
        .value_kind:     by_value
      - .offset:         856
        .size:           4
        .value_kind:     hidden_block_count_x
      - .offset:         860
        .size:           4
        .value_kind:     hidden_block_count_y
      - .offset:         864
        .size:           4
        .value_kind:     hidden_block_count_z
      - .offset:         868
        .size:           2
        .value_kind:     hidden_group_size_x
      - .offset:         870
        .size:           2
        .value_kind:     hidden_group_size_y
      - .offset:         872
        .size:           2
        .value_kind:     hidden_group_size_z
      - .offset:         874
        .size:           2
        .value_kind:     hidden_remainder_x
      - .offset:         876
        .size:           2
        .value_kind:     hidden_remainder_y
      - .offset:         878
        .size:           2
        .value_kind:     hidden_remainder_z
      - .offset:         896
        .size:           8
        .value_kind:     hidden_global_offset_x
      - .offset:         904
        .size:           8
        .value_kind:     hidden_global_offset_y
      - .offset:         912
        .size:           8
        .value_kind:     hidden_global_offset_z
      - .offset:         920
        .size:           2
        .value_kind:     hidden_grid_dims
    .group_segment_fixed_size: 0
    .kernarg_segment_align: 8
    .kernarg_segment_size: 1112
    .language:       OpenCL C
    .language_version:
      - 2
      - 0
    .max_flat_workgroup_size: 128
    .name:           _ZN2at6native16triu_tril_kernelIdlLb1ELi2ELb1EEEvNS_4cuda6detail10TensorInfoIT_T0_EENS4_IKS5_S6_EEllS6_
    .private_segment_fixed_size: 0
    .sgpr_count:     53
    .sgpr_spill_count: 0
    .symbol:         _ZN2at6native16triu_tril_kernelIdlLb1ELi2ELb1EEEvNS_4cuda6detail10TensorInfoIT_T0_EENS4_IKS5_S6_EEllS6_.kd
    .uniform_work_group_size: 1
    .uses_dynamic_stack: false
    .vgpr_count:     23
    .vgpr_spill_count: 0
    .wavefront_size: 64
  - .agpr_count:     0
    .args:
      - .offset:         0
        .size:           416
        .value_kind:     by_value
      - .offset:         416
        .size:           416
        .value_kind:     by_value
      - .offset:         832
        .size:           8
        .value_kind:     by_value
      - .offset:         840
        .size:           8
        .value_kind:     by_value
      - .offset:         848
        .size:           8
        .value_kind:     by_value
      - .offset:         856
        .size:           4
        .value_kind:     hidden_block_count_x
      - .offset:         860
        .size:           4
        .value_kind:     hidden_block_count_y
      - .offset:         864
        .size:           4
        .value_kind:     hidden_block_count_z
      - .offset:         868
        .size:           2
        .value_kind:     hidden_group_size_x
      - .offset:         870
        .size:           2
        .value_kind:     hidden_group_size_y
      - .offset:         872
        .size:           2
        .value_kind:     hidden_group_size_z
      - .offset:         874
        .size:           2
        .value_kind:     hidden_remainder_x
      - .offset:         876
        .size:           2
        .value_kind:     hidden_remainder_y
      - .offset:         878
        .size:           2
        .value_kind:     hidden_remainder_z
      - .offset:         896
        .size:           8
        .value_kind:     hidden_global_offset_x
      - .offset:         904
        .size:           8
        .value_kind:     hidden_global_offset_y
      - .offset:         912
        .size:           8
        .value_kind:     hidden_global_offset_z
      - .offset:         920
        .size:           2
        .value_kind:     hidden_grid_dims
    .group_segment_fixed_size: 0
    .kernarg_segment_align: 8
    .kernarg_segment_size: 1112
    .language:       OpenCL C
    .language_version:
      - 2
      - 0
    .max_flat_workgroup_size: 128
    .name:           _ZN2at6native16triu_tril_kernelIdlLb1ELi2ELb0EEEvNS_4cuda6detail10TensorInfoIT_T0_EENS4_IKS5_S6_EEllS6_
    .private_segment_fixed_size: 0
    .sgpr_count:     55
    .sgpr_spill_count: 0
    .symbol:         _ZN2at6native16triu_tril_kernelIdlLb1ELi2ELb0EEEvNS_4cuda6detail10TensorInfoIT_T0_EENS4_IKS5_S6_EEllS6_.kd
    .uniform_work_group_size: 1
    .uses_dynamic_stack: false
    .vgpr_count:     25
    .vgpr_spill_count: 0
    .wavefront_size: 64
  - .agpr_count:     0
    .args:
      - .offset:         0
        .size:           216
        .value_kind:     by_value
      - .offset:         216
        .size:           216
        .value_kind:     by_value
      - .offset:         432
        .size:           8
        .value_kind:     by_value
      - .offset:         440
        .size:           8
        .value_kind:     by_value
      - .offset:         448
        .size:           4
        .value_kind:     by_value
      - .offset:         456
        .size:           4
        .value_kind:     hidden_block_count_x
      - .offset:         460
        .size:           4
        .value_kind:     hidden_block_count_y
      - .offset:         464
        .size:           4
        .value_kind:     hidden_block_count_z
      - .offset:         468
        .size:           2
        .value_kind:     hidden_group_size_x
      - .offset:         470
        .size:           2
        .value_kind:     hidden_group_size_y
      - .offset:         472
        .size:           2
        .value_kind:     hidden_group_size_z
      - .offset:         474
        .size:           2
        .value_kind:     hidden_remainder_x
      - .offset:         476
        .size:           2
        .value_kind:     hidden_remainder_y
      - .offset:         478
        .size:           2
        .value_kind:     hidden_remainder_z
      - .offset:         496
        .size:           8
        .value_kind:     hidden_global_offset_x
      - .offset:         504
        .size:           8
        .value_kind:     hidden_global_offset_y
      - .offset:         512
        .size:           8
        .value_kind:     hidden_global_offset_z
      - .offset:         520
        .size:           2
        .value_kind:     hidden_grid_dims
    .group_segment_fixed_size: 0
    .kernarg_segment_align: 8
    .kernarg_segment_size: 712
    .language:       OpenCL C
    .language_version:
      - 2
      - 0
    .max_flat_workgroup_size: 128
    .name:           _ZN2at6native16triu_tril_kernelIfiLb1ELi2ELb1EEEvNS_4cuda6detail10TensorInfoIT_T0_EENS4_IKS5_S6_EEllS6_
    .private_segment_fixed_size: 0
    .sgpr_count:     67
    .sgpr_spill_count: 0
    .symbol:         _ZN2at6native16triu_tril_kernelIfiLb1ELi2ELb1EEEvNS_4cuda6detail10TensorInfoIT_T0_EENS4_IKS5_S6_EEllS6_.kd
    .uniform_work_group_size: 1
    .uses_dynamic_stack: false
    .vgpr_count:     30
    .vgpr_spill_count: 0
    .wavefront_size: 64
  - .agpr_count:     0
    .args:
      - .offset:         0
        .size:           216
        .value_kind:     by_value
      - .offset:         216
        .size:           216
        .value_kind:     by_value
      - .offset:         432
        .size:           8
        .value_kind:     by_value
      - .offset:         440
        .size:           8
        .value_kind:     by_value
      - .offset:         448
        .size:           4
        .value_kind:     by_value
      - .offset:         456
        .size:           4
        .value_kind:     hidden_block_count_x
      - .offset:         460
        .size:           4
        .value_kind:     hidden_block_count_y
      - .offset:         464
        .size:           4
        .value_kind:     hidden_block_count_z
      - .offset:         468
        .size:           2
        .value_kind:     hidden_group_size_x
      - .offset:         470
        .size:           2
        .value_kind:     hidden_group_size_y
      - .offset:         472
        .size:           2
        .value_kind:     hidden_group_size_z
      - .offset:         474
        .size:           2
        .value_kind:     hidden_remainder_x
      - .offset:         476
        .size:           2
        .value_kind:     hidden_remainder_y
      - .offset:         478
        .size:           2
        .value_kind:     hidden_remainder_z
      - .offset:         496
        .size:           8
        .value_kind:     hidden_global_offset_x
      - .offset:         504
        .size:           8
        .value_kind:     hidden_global_offset_y
      - .offset:         512
        .size:           8
        .value_kind:     hidden_global_offset_z
      - .offset:         520
        .size:           2
        .value_kind:     hidden_grid_dims
    .group_segment_fixed_size: 0
    .kernarg_segment_align: 8
    .kernarg_segment_size: 712
    .language:       OpenCL C
    .language_version:
      - 2
      - 0
    .max_flat_workgroup_size: 128
    .name:           _ZN2at6native16triu_tril_kernelIfiLb1ELi2ELb0EEEvNS_4cuda6detail10TensorInfoIT_T0_EENS4_IKS5_S6_EEllS6_
    .private_segment_fixed_size: 0
    .sgpr_count:     70
    .sgpr_spill_count: 0
    .symbol:         _ZN2at6native16triu_tril_kernelIfiLb1ELi2ELb0EEEvNS_4cuda6detail10TensorInfoIT_T0_EENS4_IKS5_S6_EEllS6_.kd
    .uniform_work_group_size: 1
    .uses_dynamic_stack: false
    .vgpr_count:     26
    .vgpr_spill_count: 0
    .wavefront_size: 64
  - .agpr_count:     0
    .args:
      - .offset:         0
        .size:           416
        .value_kind:     by_value
      - .offset:         416
        .size:           416
        .value_kind:     by_value
      - .offset:         832
        .size:           8
        .value_kind:     by_value
      - .offset:         840
        .size:           8
        .value_kind:     by_value
      - .offset:         848
        .size:           8
        .value_kind:     by_value
      - .offset:         856
        .size:           4
        .value_kind:     hidden_block_count_x
      - .offset:         860
        .size:           4
        .value_kind:     hidden_block_count_y
      - .offset:         864
        .size:           4
        .value_kind:     hidden_block_count_z
      - .offset:         868
        .size:           2
        .value_kind:     hidden_group_size_x
      - .offset:         870
        .size:           2
        .value_kind:     hidden_group_size_y
      - .offset:         872
        .size:           2
        .value_kind:     hidden_group_size_z
      - .offset:         874
        .size:           2
        .value_kind:     hidden_remainder_x
      - .offset:         876
        .size:           2
        .value_kind:     hidden_remainder_y
      - .offset:         878
        .size:           2
        .value_kind:     hidden_remainder_z
      - .offset:         896
        .size:           8
        .value_kind:     hidden_global_offset_x
      - .offset:         904
        .size:           8
        .value_kind:     hidden_global_offset_y
      - .offset:         912
        .size:           8
        .value_kind:     hidden_global_offset_z
      - .offset:         920
        .size:           2
        .value_kind:     hidden_grid_dims
    .group_segment_fixed_size: 0
    .kernarg_segment_align: 8
    .kernarg_segment_size: 1112
    .language:       OpenCL C
    .language_version:
      - 2
      - 0
    .max_flat_workgroup_size: 128
    .name:           _ZN2at6native16triu_tril_kernelIflLb1ELi2ELb1EEEvNS_4cuda6detail10TensorInfoIT_T0_EENS4_IKS5_S6_EEllS6_
    .private_segment_fixed_size: 0
    .sgpr_count:     53
    .sgpr_spill_count: 0
    .symbol:         _ZN2at6native16triu_tril_kernelIflLb1ELi2ELb1EEEvNS_4cuda6detail10TensorInfoIT_T0_EENS4_IKS5_S6_EEllS6_.kd
    .uniform_work_group_size: 1
    .uses_dynamic_stack: false
    .vgpr_count:     23
    .vgpr_spill_count: 0
    .wavefront_size: 64
  - .agpr_count:     0
    .args:
      - .offset:         0
        .size:           416
        .value_kind:     by_value
      - .offset:         416
        .size:           416
        .value_kind:     by_value
      - .offset:         832
        .size:           8
        .value_kind:     by_value
      - .offset:         840
        .size:           8
        .value_kind:     by_value
      - .offset:         848
        .size:           8
        .value_kind:     by_value
      - .offset:         856
        .size:           4
        .value_kind:     hidden_block_count_x
      - .offset:         860
        .size:           4
        .value_kind:     hidden_block_count_y
      - .offset:         864
        .size:           4
        .value_kind:     hidden_block_count_z
      - .offset:         868
        .size:           2
        .value_kind:     hidden_group_size_x
      - .offset:         870
        .size:           2
        .value_kind:     hidden_group_size_y
      - .offset:         872
        .size:           2
        .value_kind:     hidden_group_size_z
      - .offset:         874
        .size:           2
        .value_kind:     hidden_remainder_x
      - .offset:         876
        .size:           2
        .value_kind:     hidden_remainder_y
      - .offset:         878
        .size:           2
        .value_kind:     hidden_remainder_z
      - .offset:         896
        .size:           8
        .value_kind:     hidden_global_offset_x
      - .offset:         904
        .size:           8
        .value_kind:     hidden_global_offset_y
      - .offset:         912
        .size:           8
        .value_kind:     hidden_global_offset_z
      - .offset:         920
        .size:           2
        .value_kind:     hidden_grid_dims
    .group_segment_fixed_size: 0
    .kernarg_segment_align: 8
    .kernarg_segment_size: 1112
    .language:       OpenCL C
    .language_version:
      - 2
      - 0
    .max_flat_workgroup_size: 128
    .name:           _ZN2at6native16triu_tril_kernelIflLb1ELi2ELb0EEEvNS_4cuda6detail10TensorInfoIT_T0_EENS4_IKS5_S6_EEllS6_
    .private_segment_fixed_size: 0
    .sgpr_count:     55
    .sgpr_spill_count: 0
    .symbol:         _ZN2at6native16triu_tril_kernelIflLb1ELi2ELb0EEEvNS_4cuda6detail10TensorInfoIT_T0_EENS4_IKS5_S6_EEllS6_.kd
    .uniform_work_group_size: 1
    .uses_dynamic_stack: false
    .vgpr_count:     25
    .vgpr_spill_count: 0
    .wavefront_size: 64
  - .agpr_count:     0
    .args:
      - .offset:         0
        .size:           216
        .value_kind:     by_value
      - .offset:         216
        .size:           216
        .value_kind:     by_value
      - .offset:         432
        .size:           8
        .value_kind:     by_value
      - .offset:         440
        .size:           8
        .value_kind:     by_value
      - .offset:         448
        .size:           4
        .value_kind:     by_value
      - .offset:         456
        .size:           4
        .value_kind:     hidden_block_count_x
      - .offset:         460
        .size:           4
        .value_kind:     hidden_block_count_y
      - .offset:         464
        .size:           4
        .value_kind:     hidden_block_count_z
      - .offset:         468
        .size:           2
        .value_kind:     hidden_group_size_x
      - .offset:         470
        .size:           2
        .value_kind:     hidden_group_size_y
      - .offset:         472
        .size:           2
        .value_kind:     hidden_group_size_z
      - .offset:         474
        .size:           2
        .value_kind:     hidden_remainder_x
      - .offset:         476
        .size:           2
        .value_kind:     hidden_remainder_y
      - .offset:         478
        .size:           2
        .value_kind:     hidden_remainder_z
      - .offset:         496
        .size:           8
        .value_kind:     hidden_global_offset_x
      - .offset:         504
        .size:           8
        .value_kind:     hidden_global_offset_y
      - .offset:         512
        .size:           8
        .value_kind:     hidden_global_offset_z
      - .offset:         520
        .size:           2
        .value_kind:     hidden_grid_dims
    .group_segment_fixed_size: 0
    .kernarg_segment_align: 8
    .kernarg_segment_size: 712
    .language:       OpenCL C
    .language_version:
      - 2
      - 0
    .max_flat_workgroup_size: 128
    .name:           _ZN2at6native16triu_tril_kernelIN3c107complexIdEEiLb1ELi1ELb1EEEvNS_4cuda6detail10TensorInfoIT_T0_EENS7_IKS8_S9_EEllS9_
    .private_segment_fixed_size: 0
    .sgpr_count:     66
    .sgpr_spill_count: 0
    .symbol:         _ZN2at6native16triu_tril_kernelIN3c107complexIdEEiLb1ELi1ELb1EEEvNS_4cuda6detail10TensorInfoIT_T0_EENS7_IKS8_S9_EEllS9_.kd
    .uniform_work_group_size: 1
    .uses_dynamic_stack: false
    .vgpr_count:     28
    .vgpr_spill_count: 0
    .wavefront_size: 64
  - .agpr_count:     0
    .args:
      - .offset:         0
        .size:           216
        .value_kind:     by_value
      - .offset:         216
        .size:           216
        .value_kind:     by_value
      - .offset:         432
        .size:           8
        .value_kind:     by_value
      - .offset:         440
        .size:           8
        .value_kind:     by_value
      - .offset:         448
        .size:           4
        .value_kind:     by_value
      - .offset:         456
        .size:           4
        .value_kind:     hidden_block_count_x
      - .offset:         460
        .size:           4
        .value_kind:     hidden_block_count_y
      - .offset:         464
        .size:           4
        .value_kind:     hidden_block_count_z
      - .offset:         468
        .size:           2
        .value_kind:     hidden_group_size_x
      - .offset:         470
        .size:           2
        .value_kind:     hidden_group_size_y
      - .offset:         472
        .size:           2
        .value_kind:     hidden_group_size_z
      - .offset:         474
        .size:           2
        .value_kind:     hidden_remainder_x
      - .offset:         476
        .size:           2
        .value_kind:     hidden_remainder_y
      - .offset:         478
        .size:           2
        .value_kind:     hidden_remainder_z
      - .offset:         496
        .size:           8
        .value_kind:     hidden_global_offset_x
      - .offset:         504
        .size:           8
        .value_kind:     hidden_global_offset_y
      - .offset:         512
        .size:           8
        .value_kind:     hidden_global_offset_z
      - .offset:         520
        .size:           2
        .value_kind:     hidden_grid_dims
    .group_segment_fixed_size: 0
    .kernarg_segment_align: 8
    .kernarg_segment_size: 712
    .language:       OpenCL C
    .language_version:
      - 2
      - 0
    .max_flat_workgroup_size: 128
    .name:           _ZN2at6native16triu_tril_kernelIN3c107complexIdEEiLb1ELi1ELb0EEEvNS_4cuda6detail10TensorInfoIT_T0_EENS7_IKS8_S9_EEllS9_
    .private_segment_fixed_size: 0
    .sgpr_count:     62
    .sgpr_spill_count: 0
    .symbol:         _ZN2at6native16triu_tril_kernelIN3c107complexIdEEiLb1ELi1ELb0EEEvNS_4cuda6detail10TensorInfoIT_T0_EENS7_IKS8_S9_EEllS9_.kd
    .uniform_work_group_size: 1
    .uses_dynamic_stack: false
    .vgpr_count:     26
    .vgpr_spill_count: 0
    .wavefront_size: 64
  - .agpr_count:     0
    .args:
      - .offset:         0
        .size:           416
        .value_kind:     by_value
      - .offset:         416
        .size:           416
        .value_kind:     by_value
      - .offset:         832
        .size:           8
        .value_kind:     by_value
      - .offset:         840
        .size:           8
        .value_kind:     by_value
      - .offset:         848
        .size:           8
        .value_kind:     by_value
      - .offset:         856
        .size:           4
        .value_kind:     hidden_block_count_x
      - .offset:         860
        .size:           4
        .value_kind:     hidden_block_count_y
      - .offset:         864
        .size:           4
        .value_kind:     hidden_block_count_z
      - .offset:         868
        .size:           2
        .value_kind:     hidden_group_size_x
      - .offset:         870
        .size:           2
        .value_kind:     hidden_group_size_y
      - .offset:         872
        .size:           2
        .value_kind:     hidden_group_size_z
      - .offset:         874
        .size:           2
        .value_kind:     hidden_remainder_x
      - .offset:         876
        .size:           2
        .value_kind:     hidden_remainder_y
      - .offset:         878
        .size:           2
        .value_kind:     hidden_remainder_z
      - .offset:         896
        .size:           8
        .value_kind:     hidden_global_offset_x
      - .offset:         904
        .size:           8
        .value_kind:     hidden_global_offset_y
      - .offset:         912
        .size:           8
        .value_kind:     hidden_global_offset_z
      - .offset:         920
        .size:           2
        .value_kind:     hidden_grid_dims
    .group_segment_fixed_size: 0
    .kernarg_segment_align: 8
    .kernarg_segment_size: 1112
    .language:       OpenCL C
    .language_version:
      - 2
      - 0
    .max_flat_workgroup_size: 128
    .name:           _ZN2at6native16triu_tril_kernelIN3c107complexIdEElLb1ELi1ELb1EEEvNS_4cuda6detail10TensorInfoIT_T0_EENS7_IKS8_S9_EEllS9_
    .private_segment_fixed_size: 0
    .sgpr_count:     51
    .sgpr_spill_count: 0
    .symbol:         _ZN2at6native16triu_tril_kernelIN3c107complexIdEElLb1ELi1ELb1EEEvNS_4cuda6detail10TensorInfoIT_T0_EENS7_IKS8_S9_EEllS9_.kd
    .uniform_work_group_size: 1
    .uses_dynamic_stack: false
    .vgpr_count:     21
    .vgpr_spill_count: 0
    .wavefront_size: 64
  - .agpr_count:     0
    .args:
      - .offset:         0
        .size:           416
        .value_kind:     by_value
      - .offset:         416
        .size:           416
        .value_kind:     by_value
      - .offset:         832
        .size:           8
        .value_kind:     by_value
      - .offset:         840
        .size:           8
        .value_kind:     by_value
      - .offset:         848
        .size:           8
        .value_kind:     by_value
      - .offset:         856
        .size:           4
        .value_kind:     hidden_block_count_x
      - .offset:         860
        .size:           4
        .value_kind:     hidden_block_count_y
      - .offset:         864
        .size:           4
        .value_kind:     hidden_block_count_z
      - .offset:         868
        .size:           2
        .value_kind:     hidden_group_size_x
      - .offset:         870
        .size:           2
        .value_kind:     hidden_group_size_y
      - .offset:         872
        .size:           2
        .value_kind:     hidden_group_size_z
      - .offset:         874
        .size:           2
        .value_kind:     hidden_remainder_x
      - .offset:         876
        .size:           2
        .value_kind:     hidden_remainder_y
      - .offset:         878
        .size:           2
        .value_kind:     hidden_remainder_z
      - .offset:         896
        .size:           8
        .value_kind:     hidden_global_offset_x
      - .offset:         904
        .size:           8
        .value_kind:     hidden_global_offset_y
      - .offset:         912
        .size:           8
        .value_kind:     hidden_global_offset_z
      - .offset:         920
        .size:           2
        .value_kind:     hidden_grid_dims
    .group_segment_fixed_size: 0
    .kernarg_segment_align: 8
    .kernarg_segment_size: 1112
    .language:       OpenCL C
    .language_version:
      - 2
      - 0
    .max_flat_workgroup_size: 128
    .name:           _ZN2at6native16triu_tril_kernelIN3c107complexIdEElLb1ELi1ELb0EEEvNS_4cuda6detail10TensorInfoIT_T0_EENS7_IKS8_S9_EEllS9_
    .private_segment_fixed_size: 0
    .sgpr_count:     55
    .sgpr_spill_count: 0
    .symbol:         _ZN2at6native16triu_tril_kernelIN3c107complexIdEElLb1ELi1ELb0EEEvNS_4cuda6detail10TensorInfoIT_T0_EENS7_IKS8_S9_EEllS9_.kd
    .uniform_work_group_size: 1
    .uses_dynamic_stack: false
    .vgpr_count:     25
    .vgpr_spill_count: 0
    .wavefront_size: 64
  - .agpr_count:     0
    .args:
      - .offset:         0
        .size:           216
        .value_kind:     by_value
      - .offset:         216
        .size:           216
        .value_kind:     by_value
      - .offset:         432
        .size:           8
        .value_kind:     by_value
      - .offset:         440
        .size:           8
        .value_kind:     by_value
      - .offset:         448
        .size:           4
        .value_kind:     by_value
      - .offset:         456
        .size:           4
        .value_kind:     hidden_block_count_x
      - .offset:         460
        .size:           4
        .value_kind:     hidden_block_count_y
      - .offset:         464
        .size:           4
        .value_kind:     hidden_block_count_z
      - .offset:         468
        .size:           2
        .value_kind:     hidden_group_size_x
      - .offset:         470
        .size:           2
        .value_kind:     hidden_group_size_y
      - .offset:         472
        .size:           2
        .value_kind:     hidden_group_size_z
      - .offset:         474
        .size:           2
        .value_kind:     hidden_remainder_x
      - .offset:         476
        .size:           2
        .value_kind:     hidden_remainder_y
      - .offset:         478
        .size:           2
        .value_kind:     hidden_remainder_z
      - .offset:         496
        .size:           8
        .value_kind:     hidden_global_offset_x
      - .offset:         504
        .size:           8
        .value_kind:     hidden_global_offset_y
      - .offset:         512
        .size:           8
        .value_kind:     hidden_global_offset_z
      - .offset:         520
        .size:           2
        .value_kind:     hidden_grid_dims
    .group_segment_fixed_size: 0
    .kernarg_segment_align: 8
    .kernarg_segment_size: 712
    .language:       OpenCL C
    .language_version:
      - 2
      - 0
    .max_flat_workgroup_size: 128
    .name:           _ZN2at6native16triu_tril_kernelIN3c107complexIfEEiLb1ELi2ELb1EEEvNS_4cuda6detail10TensorInfoIT_T0_EENS7_IKS8_S9_EEllS9_
    .private_segment_fixed_size: 0
    .sgpr_count:     67
    .sgpr_spill_count: 0
    .symbol:         _ZN2at6native16triu_tril_kernelIN3c107complexIfEEiLb1ELi2ELb1EEEvNS_4cuda6detail10TensorInfoIT_T0_EENS7_IKS8_S9_EEllS9_.kd
    .uniform_work_group_size: 1
    .uses_dynamic_stack: false
    .vgpr_count:     30
    .vgpr_spill_count: 0
    .wavefront_size: 64
  - .agpr_count:     0
    .args:
      - .offset:         0
        .size:           216
        .value_kind:     by_value
      - .offset:         216
        .size:           216
        .value_kind:     by_value
      - .offset:         432
        .size:           8
        .value_kind:     by_value
      - .offset:         440
        .size:           8
        .value_kind:     by_value
      - .offset:         448
        .size:           4
        .value_kind:     by_value
      - .offset:         456
        .size:           4
        .value_kind:     hidden_block_count_x
      - .offset:         460
        .size:           4
        .value_kind:     hidden_block_count_y
      - .offset:         464
        .size:           4
        .value_kind:     hidden_block_count_z
      - .offset:         468
        .size:           2
        .value_kind:     hidden_group_size_x
      - .offset:         470
        .size:           2
        .value_kind:     hidden_group_size_y
      - .offset:         472
        .size:           2
        .value_kind:     hidden_group_size_z
      - .offset:         474
        .size:           2
        .value_kind:     hidden_remainder_x
      - .offset:         476
        .size:           2
        .value_kind:     hidden_remainder_y
      - .offset:         478
        .size:           2
        .value_kind:     hidden_remainder_z
      - .offset:         496
        .size:           8
        .value_kind:     hidden_global_offset_x
      - .offset:         504
        .size:           8
        .value_kind:     hidden_global_offset_y
      - .offset:         512
        .size:           8
        .value_kind:     hidden_global_offset_z
      - .offset:         520
        .size:           2
        .value_kind:     hidden_grid_dims
    .group_segment_fixed_size: 0
    .kernarg_segment_align: 8
    .kernarg_segment_size: 712
    .language:       OpenCL C
    .language_version:
      - 2
      - 0
    .max_flat_workgroup_size: 128
    .name:           _ZN2at6native16triu_tril_kernelIN3c107complexIfEEiLb1ELi2ELb0EEEvNS_4cuda6detail10TensorInfoIT_T0_EENS7_IKS8_S9_EEllS9_
    .private_segment_fixed_size: 0
    .sgpr_count:     66
    .sgpr_spill_count: 0
    .symbol:         _ZN2at6native16triu_tril_kernelIN3c107complexIfEEiLb1ELi2ELb0EEEvNS_4cuda6detail10TensorInfoIT_T0_EENS7_IKS8_S9_EEllS9_.kd
    .uniform_work_group_size: 1
    .uses_dynamic_stack: false
    .vgpr_count:     26
    .vgpr_spill_count: 0
    .wavefront_size: 64
  - .agpr_count:     0
    .args:
      - .offset:         0
        .size:           416
        .value_kind:     by_value
      - .offset:         416
        .size:           416
        .value_kind:     by_value
      - .offset:         832
        .size:           8
        .value_kind:     by_value
      - .offset:         840
        .size:           8
        .value_kind:     by_value
      - .offset:         848
        .size:           8
        .value_kind:     by_value
      - .offset:         856
        .size:           4
        .value_kind:     hidden_block_count_x
      - .offset:         860
        .size:           4
        .value_kind:     hidden_block_count_y
      - .offset:         864
        .size:           4
        .value_kind:     hidden_block_count_z
      - .offset:         868
        .size:           2
        .value_kind:     hidden_group_size_x
      - .offset:         870
        .size:           2
        .value_kind:     hidden_group_size_y
      - .offset:         872
        .size:           2
        .value_kind:     hidden_group_size_z
      - .offset:         874
        .size:           2
        .value_kind:     hidden_remainder_x
      - .offset:         876
        .size:           2
        .value_kind:     hidden_remainder_y
      - .offset:         878
        .size:           2
        .value_kind:     hidden_remainder_z
      - .offset:         896
        .size:           8
        .value_kind:     hidden_global_offset_x
      - .offset:         904
        .size:           8
        .value_kind:     hidden_global_offset_y
      - .offset:         912
        .size:           8
        .value_kind:     hidden_global_offset_z
      - .offset:         920
        .size:           2
        .value_kind:     hidden_grid_dims
    .group_segment_fixed_size: 0
    .kernarg_segment_align: 8
    .kernarg_segment_size: 1112
    .language:       OpenCL C
    .language_version:
      - 2
      - 0
    .max_flat_workgroup_size: 128
    .name:           _ZN2at6native16triu_tril_kernelIN3c107complexIfEElLb1ELi2ELb1EEEvNS_4cuda6detail10TensorInfoIT_T0_EENS7_IKS8_S9_EEllS9_
    .private_segment_fixed_size: 0
    .sgpr_count:     53
    .sgpr_spill_count: 0
    .symbol:         _ZN2at6native16triu_tril_kernelIN3c107complexIfEElLb1ELi2ELb1EEEvNS_4cuda6detail10TensorInfoIT_T0_EENS7_IKS8_S9_EEllS9_.kd
    .uniform_work_group_size: 1
    .uses_dynamic_stack: false
    .vgpr_count:     23
    .vgpr_spill_count: 0
    .wavefront_size: 64
  - .agpr_count:     0
    .args:
      - .offset:         0
        .size:           416
        .value_kind:     by_value
      - .offset:         416
        .size:           416
        .value_kind:     by_value
      - .offset:         832
        .size:           8
        .value_kind:     by_value
      - .offset:         840
        .size:           8
        .value_kind:     by_value
      - .offset:         848
        .size:           8
        .value_kind:     by_value
      - .offset:         856
        .size:           4
        .value_kind:     hidden_block_count_x
      - .offset:         860
        .size:           4
        .value_kind:     hidden_block_count_y
      - .offset:         864
        .size:           4
        .value_kind:     hidden_block_count_z
      - .offset:         868
        .size:           2
        .value_kind:     hidden_group_size_x
      - .offset:         870
        .size:           2
        .value_kind:     hidden_group_size_y
      - .offset:         872
        .size:           2
        .value_kind:     hidden_group_size_z
      - .offset:         874
        .size:           2
        .value_kind:     hidden_remainder_x
      - .offset:         876
        .size:           2
        .value_kind:     hidden_remainder_y
      - .offset:         878
        .size:           2
        .value_kind:     hidden_remainder_z
      - .offset:         896
        .size:           8
        .value_kind:     hidden_global_offset_x
      - .offset:         904
        .size:           8
        .value_kind:     hidden_global_offset_y
      - .offset:         912
        .size:           8
        .value_kind:     hidden_global_offset_z
      - .offset:         920
        .size:           2
        .value_kind:     hidden_grid_dims
    .group_segment_fixed_size: 0
    .kernarg_segment_align: 8
    .kernarg_segment_size: 1112
    .language:       OpenCL C
    .language_version:
      - 2
      - 0
    .max_flat_workgroup_size: 128
    .name:           _ZN2at6native16triu_tril_kernelIN3c107complexIfEElLb1ELi2ELb0EEEvNS_4cuda6detail10TensorInfoIT_T0_EENS7_IKS8_S9_EEllS9_
    .private_segment_fixed_size: 0
    .sgpr_count:     55
    .sgpr_spill_count: 0
    .symbol:         _ZN2at6native16triu_tril_kernelIN3c107complexIfEElLb1ELi2ELb0EEEvNS_4cuda6detail10TensorInfoIT_T0_EENS7_IKS8_S9_EEllS9_.kd
    .uniform_work_group_size: 1
    .uses_dynamic_stack: false
    .vgpr_count:     25
    .vgpr_spill_count: 0
    .wavefront_size: 64
  - .agpr_count:     0
    .args:
      - .offset:         0
        .size:           216
        .value_kind:     by_value
      - .offset:         216
        .size:           216
        .value_kind:     by_value
      - .offset:         432
        .size:           8
        .value_kind:     by_value
      - .offset:         440
        .size:           8
        .value_kind:     by_value
      - .offset:         448
        .size:           4
        .value_kind:     by_value
      - .offset:         456
        .size:           4
        .value_kind:     hidden_block_count_x
      - .offset:         460
        .size:           4
        .value_kind:     hidden_block_count_y
      - .offset:         464
        .size:           4
        .value_kind:     hidden_block_count_z
      - .offset:         468
        .size:           2
        .value_kind:     hidden_group_size_x
      - .offset:         470
        .size:           2
        .value_kind:     hidden_group_size_y
      - .offset:         472
        .size:           2
        .value_kind:     hidden_group_size_z
      - .offset:         474
        .size:           2
        .value_kind:     hidden_remainder_x
      - .offset:         476
        .size:           2
        .value_kind:     hidden_remainder_y
      - .offset:         478
        .size:           2
        .value_kind:     hidden_remainder_z
      - .offset:         496
        .size:           8
        .value_kind:     hidden_global_offset_x
      - .offset:         504
        .size:           8
        .value_kind:     hidden_global_offset_y
      - .offset:         512
        .size:           8
        .value_kind:     hidden_global_offset_z
      - .offset:         520
        .size:           2
        .value_kind:     hidden_grid_dims
    .group_segment_fixed_size: 0
    .kernarg_segment_align: 8
    .kernarg_segment_size: 712
    .language:       OpenCL C
    .language_version:
      - 2
      - 0
    .max_flat_workgroup_size: 128
    .name:           _ZN2at6native16triu_tril_kernelIN3c107complexINS2_4HalfEEEiLb1ELi2ELb1EEEvNS_4cuda6detail10TensorInfoIT_T0_EENS8_IKS9_SA_EEllSA_
    .private_segment_fixed_size: 0
    .sgpr_count:     67
    .sgpr_spill_count: 0
    .symbol:         _ZN2at6native16triu_tril_kernelIN3c107complexINS2_4HalfEEEiLb1ELi2ELb1EEEvNS_4cuda6detail10TensorInfoIT_T0_EENS8_IKS9_SA_EEllSA_.kd
    .uniform_work_group_size: 1
    .uses_dynamic_stack: false
    .vgpr_count:     30
    .vgpr_spill_count: 0
    .wavefront_size: 64
  - .agpr_count:     0
    .args:
      - .offset:         0
        .size:           216
        .value_kind:     by_value
      - .offset:         216
        .size:           216
        .value_kind:     by_value
      - .offset:         432
        .size:           8
        .value_kind:     by_value
      - .offset:         440
        .size:           8
        .value_kind:     by_value
      - .offset:         448
        .size:           4
        .value_kind:     by_value
      - .offset:         456
        .size:           4
        .value_kind:     hidden_block_count_x
      - .offset:         460
        .size:           4
        .value_kind:     hidden_block_count_y
      - .offset:         464
        .size:           4
        .value_kind:     hidden_block_count_z
      - .offset:         468
        .size:           2
        .value_kind:     hidden_group_size_x
      - .offset:         470
        .size:           2
        .value_kind:     hidden_group_size_y
      - .offset:         472
        .size:           2
        .value_kind:     hidden_group_size_z
      - .offset:         474
        .size:           2
        .value_kind:     hidden_remainder_x
      - .offset:         476
        .size:           2
        .value_kind:     hidden_remainder_y
      - .offset:         478
        .size:           2
        .value_kind:     hidden_remainder_z
      - .offset:         496
        .size:           8
        .value_kind:     hidden_global_offset_x
      - .offset:         504
        .size:           8
        .value_kind:     hidden_global_offset_y
      - .offset:         512
        .size:           8
        .value_kind:     hidden_global_offset_z
      - .offset:         520
        .size:           2
        .value_kind:     hidden_grid_dims
    .group_segment_fixed_size: 0
    .kernarg_segment_align: 8
    .kernarg_segment_size: 712
    .language:       OpenCL C
    .language_version:
      - 2
      - 0
    .max_flat_workgroup_size: 128
    .name:           _ZN2at6native16triu_tril_kernelIN3c107complexINS2_4HalfEEEiLb1ELi2ELb0EEEvNS_4cuda6detail10TensorInfoIT_T0_EENS8_IKS9_SA_EEllSA_
    .private_segment_fixed_size: 0
    .sgpr_count:     67
    .sgpr_spill_count: 0
    .symbol:         _ZN2at6native16triu_tril_kernelIN3c107complexINS2_4HalfEEEiLb1ELi2ELb0EEEvNS_4cuda6detail10TensorInfoIT_T0_EENS8_IKS9_SA_EEllSA_.kd
    .uniform_work_group_size: 1
    .uses_dynamic_stack: false
    .vgpr_count:     26
    .vgpr_spill_count: 0
    .wavefront_size: 64
  - .agpr_count:     0
    .args:
      - .offset:         0
        .size:           416
        .value_kind:     by_value
      - .offset:         416
        .size:           416
        .value_kind:     by_value
      - .offset:         832
        .size:           8
        .value_kind:     by_value
      - .offset:         840
        .size:           8
        .value_kind:     by_value
      - .offset:         848
        .size:           8
        .value_kind:     by_value
      - .offset:         856
        .size:           4
        .value_kind:     hidden_block_count_x
      - .offset:         860
        .size:           4
        .value_kind:     hidden_block_count_y
      - .offset:         864
        .size:           4
        .value_kind:     hidden_block_count_z
      - .offset:         868
        .size:           2
        .value_kind:     hidden_group_size_x
      - .offset:         870
        .size:           2
        .value_kind:     hidden_group_size_y
      - .offset:         872
        .size:           2
        .value_kind:     hidden_group_size_z
      - .offset:         874
        .size:           2
        .value_kind:     hidden_remainder_x
      - .offset:         876
        .size:           2
        .value_kind:     hidden_remainder_y
      - .offset:         878
        .size:           2
        .value_kind:     hidden_remainder_z
      - .offset:         896
        .size:           8
        .value_kind:     hidden_global_offset_x
      - .offset:         904
        .size:           8
        .value_kind:     hidden_global_offset_y
      - .offset:         912
        .size:           8
        .value_kind:     hidden_global_offset_z
      - .offset:         920
        .size:           2
        .value_kind:     hidden_grid_dims
    .group_segment_fixed_size: 0
    .kernarg_segment_align: 8
    .kernarg_segment_size: 1112
    .language:       OpenCL C
    .language_version:
      - 2
      - 0
    .max_flat_workgroup_size: 128
    .name:           _ZN2at6native16triu_tril_kernelIN3c107complexINS2_4HalfEEElLb1ELi2ELb1EEEvNS_4cuda6detail10TensorInfoIT_T0_EENS8_IKS9_SA_EEllSA_
    .private_segment_fixed_size: 0
    .sgpr_count:     53
    .sgpr_spill_count: 0
    .symbol:         _ZN2at6native16triu_tril_kernelIN3c107complexINS2_4HalfEEElLb1ELi2ELb1EEEvNS_4cuda6detail10TensorInfoIT_T0_EENS8_IKS9_SA_EEllSA_.kd
    .uniform_work_group_size: 1
    .uses_dynamic_stack: false
    .vgpr_count:     23
    .vgpr_spill_count: 0
    .wavefront_size: 64
  - .agpr_count:     0
    .args:
      - .offset:         0
        .size:           416
        .value_kind:     by_value
      - .offset:         416
        .size:           416
        .value_kind:     by_value
      - .offset:         832
        .size:           8
        .value_kind:     by_value
      - .offset:         840
        .size:           8
        .value_kind:     by_value
      - .offset:         848
        .size:           8
        .value_kind:     by_value
      - .offset:         856
        .size:           4
        .value_kind:     hidden_block_count_x
      - .offset:         860
        .size:           4
        .value_kind:     hidden_block_count_y
      - .offset:         864
        .size:           4
        .value_kind:     hidden_block_count_z
      - .offset:         868
        .size:           2
        .value_kind:     hidden_group_size_x
      - .offset:         870
        .size:           2
        .value_kind:     hidden_group_size_y
      - .offset:         872
        .size:           2
        .value_kind:     hidden_group_size_z
      - .offset:         874
        .size:           2
        .value_kind:     hidden_remainder_x
      - .offset:         876
        .size:           2
        .value_kind:     hidden_remainder_y
      - .offset:         878
        .size:           2
        .value_kind:     hidden_remainder_z
      - .offset:         896
        .size:           8
        .value_kind:     hidden_global_offset_x
      - .offset:         904
        .size:           8
        .value_kind:     hidden_global_offset_y
      - .offset:         912
        .size:           8
        .value_kind:     hidden_global_offset_z
      - .offset:         920
        .size:           2
        .value_kind:     hidden_grid_dims
    .group_segment_fixed_size: 0
    .kernarg_segment_align: 8
    .kernarg_segment_size: 1112
    .language:       OpenCL C
    .language_version:
      - 2
      - 0
    .max_flat_workgroup_size: 128
    .name:           _ZN2at6native16triu_tril_kernelIN3c107complexINS2_4HalfEEElLb1ELi2ELb0EEEvNS_4cuda6detail10TensorInfoIT_T0_EENS8_IKS9_SA_EEllSA_
    .private_segment_fixed_size: 0
    .sgpr_count:     56
    .sgpr_spill_count: 0
    .symbol:         _ZN2at6native16triu_tril_kernelIN3c107complexINS2_4HalfEEElLb1ELi2ELb0EEEvNS_4cuda6detail10TensorInfoIT_T0_EENS8_IKS9_SA_EEllSA_.kd
    .uniform_work_group_size: 1
    .uses_dynamic_stack: false
    .vgpr_count:     25
    .vgpr_spill_count: 0
    .wavefront_size: 64
  - .agpr_count:     0
    .args:
      - .offset:         0
        .size:           216
        .value_kind:     by_value
      - .offset:         216
        .size:           216
        .value_kind:     by_value
      - .offset:         432
        .size:           8
        .value_kind:     by_value
      - .offset:         440
        .size:           8
        .value_kind:     by_value
      - .offset:         448
        .size:           4
        .value_kind:     by_value
      - .offset:         456
        .size:           4
        .value_kind:     hidden_block_count_x
      - .offset:         460
        .size:           4
        .value_kind:     hidden_block_count_y
      - .offset:         464
        .size:           4
        .value_kind:     hidden_block_count_z
      - .offset:         468
        .size:           2
        .value_kind:     hidden_group_size_x
      - .offset:         470
        .size:           2
        .value_kind:     hidden_group_size_y
      - .offset:         472
        .size:           2
        .value_kind:     hidden_group_size_z
      - .offset:         474
        .size:           2
        .value_kind:     hidden_remainder_x
      - .offset:         476
        .size:           2
        .value_kind:     hidden_remainder_y
      - .offset:         478
        .size:           2
        .value_kind:     hidden_remainder_z
      - .offset:         496
        .size:           8
        .value_kind:     hidden_global_offset_x
      - .offset:         504
        .size:           8
        .value_kind:     hidden_global_offset_y
      - .offset:         512
        .size:           8
        .value_kind:     hidden_global_offset_z
      - .offset:         520
        .size:           2
        .value_kind:     hidden_grid_dims
    .group_segment_fixed_size: 0
    .kernarg_segment_align: 8
    .kernarg_segment_size: 712
    .language:       OpenCL C
    .language_version:
      - 2
      - 0
    .max_flat_workgroup_size: 128
    .name:           _ZN2at6native16triu_tril_kernelIN3c104HalfEiLb1ELi4ELb1EEEvNS_4cuda6detail10TensorInfoIT_T0_EENS6_IKS7_S8_EEllS8_
    .private_segment_fixed_size: 0
    .sgpr_count:     67
    .sgpr_spill_count: 0
    .symbol:         _ZN2at6native16triu_tril_kernelIN3c104HalfEiLb1ELi4ELb1EEEvNS_4cuda6detail10TensorInfoIT_T0_EENS6_IKS7_S8_EEllS8_.kd
    .uniform_work_group_size: 1
    .uses_dynamic_stack: false
    .vgpr_count:     30
    .vgpr_spill_count: 0
    .wavefront_size: 64
  - .agpr_count:     0
    .args:
      - .offset:         0
        .size:           216
        .value_kind:     by_value
      - .offset:         216
        .size:           216
        .value_kind:     by_value
      - .offset:         432
        .size:           8
        .value_kind:     by_value
      - .offset:         440
        .size:           8
        .value_kind:     by_value
      - .offset:         448
        .size:           4
        .value_kind:     by_value
      - .offset:         456
        .size:           4
        .value_kind:     hidden_block_count_x
      - .offset:         460
        .size:           4
        .value_kind:     hidden_block_count_y
      - .offset:         464
        .size:           4
        .value_kind:     hidden_block_count_z
      - .offset:         468
        .size:           2
        .value_kind:     hidden_group_size_x
      - .offset:         470
        .size:           2
        .value_kind:     hidden_group_size_y
      - .offset:         472
        .size:           2
        .value_kind:     hidden_group_size_z
      - .offset:         474
        .size:           2
        .value_kind:     hidden_remainder_x
      - .offset:         476
        .size:           2
        .value_kind:     hidden_remainder_y
      - .offset:         478
        .size:           2
        .value_kind:     hidden_remainder_z
      - .offset:         496
        .size:           8
        .value_kind:     hidden_global_offset_x
      - .offset:         504
        .size:           8
        .value_kind:     hidden_global_offset_y
      - .offset:         512
        .size:           8
        .value_kind:     hidden_global_offset_z
      - .offset:         520
        .size:           2
        .value_kind:     hidden_grid_dims
    .group_segment_fixed_size: 0
    .kernarg_segment_align: 8
    .kernarg_segment_size: 712
    .language:       OpenCL C
    .language_version:
      - 2
      - 0
    .max_flat_workgroup_size: 128
    .name:           _ZN2at6native16triu_tril_kernelIN3c104HalfEiLb1ELi4ELb0EEEvNS_4cuda6detail10TensorInfoIT_T0_EENS6_IKS7_S8_EEllS8_
    .private_segment_fixed_size: 0
    .sgpr_count:     66
    .sgpr_spill_count: 0
    .symbol:         _ZN2at6native16triu_tril_kernelIN3c104HalfEiLb1ELi4ELb0EEEvNS_4cuda6detail10TensorInfoIT_T0_EENS6_IKS7_S8_EEllS8_.kd
    .uniform_work_group_size: 1
    .uses_dynamic_stack: false
    .vgpr_count:     26
    .vgpr_spill_count: 0
    .wavefront_size: 64
  - .agpr_count:     0
    .args:
      - .offset:         0
        .size:           416
        .value_kind:     by_value
      - .offset:         416
        .size:           416
        .value_kind:     by_value
      - .offset:         832
        .size:           8
        .value_kind:     by_value
      - .offset:         840
        .size:           8
        .value_kind:     by_value
      - .offset:         848
        .size:           8
        .value_kind:     by_value
      - .offset:         856
        .size:           4
        .value_kind:     hidden_block_count_x
      - .offset:         860
        .size:           4
        .value_kind:     hidden_block_count_y
      - .offset:         864
        .size:           4
        .value_kind:     hidden_block_count_z
      - .offset:         868
        .size:           2
        .value_kind:     hidden_group_size_x
      - .offset:         870
        .size:           2
        .value_kind:     hidden_group_size_y
      - .offset:         872
        .size:           2
        .value_kind:     hidden_group_size_z
      - .offset:         874
        .size:           2
        .value_kind:     hidden_remainder_x
      - .offset:         876
        .size:           2
        .value_kind:     hidden_remainder_y
      - .offset:         878
        .size:           2
        .value_kind:     hidden_remainder_z
      - .offset:         896
        .size:           8
        .value_kind:     hidden_global_offset_x
      - .offset:         904
        .size:           8
        .value_kind:     hidden_global_offset_y
      - .offset:         912
        .size:           8
        .value_kind:     hidden_global_offset_z
      - .offset:         920
        .size:           2
        .value_kind:     hidden_grid_dims
    .group_segment_fixed_size: 0
    .kernarg_segment_align: 8
    .kernarg_segment_size: 1112
    .language:       OpenCL C
    .language_version:
      - 2
      - 0
    .max_flat_workgroup_size: 128
    .name:           _ZN2at6native16triu_tril_kernelIN3c104HalfElLb1ELi4ELb1EEEvNS_4cuda6detail10TensorInfoIT_T0_EENS6_IKS7_S8_EEllS8_
    .private_segment_fixed_size: 0
    .sgpr_count:     53
    .sgpr_spill_count: 0
    .symbol:         _ZN2at6native16triu_tril_kernelIN3c104HalfElLb1ELi4ELb1EEEvNS_4cuda6detail10TensorInfoIT_T0_EENS6_IKS7_S8_EEllS8_.kd
    .uniform_work_group_size: 1
    .uses_dynamic_stack: false
    .vgpr_count:     23
    .vgpr_spill_count: 0
    .wavefront_size: 64
  - .agpr_count:     0
    .args:
      - .offset:         0
        .size:           416
        .value_kind:     by_value
      - .offset:         416
        .size:           416
        .value_kind:     by_value
      - .offset:         832
        .size:           8
        .value_kind:     by_value
      - .offset:         840
        .size:           8
        .value_kind:     by_value
      - .offset:         848
        .size:           8
        .value_kind:     by_value
      - .offset:         856
        .size:           4
        .value_kind:     hidden_block_count_x
      - .offset:         860
        .size:           4
        .value_kind:     hidden_block_count_y
      - .offset:         864
        .size:           4
        .value_kind:     hidden_block_count_z
      - .offset:         868
        .size:           2
        .value_kind:     hidden_group_size_x
      - .offset:         870
        .size:           2
        .value_kind:     hidden_group_size_y
      - .offset:         872
        .size:           2
        .value_kind:     hidden_group_size_z
      - .offset:         874
        .size:           2
        .value_kind:     hidden_remainder_x
      - .offset:         876
        .size:           2
        .value_kind:     hidden_remainder_y
      - .offset:         878
        .size:           2
        .value_kind:     hidden_remainder_z
      - .offset:         896
        .size:           8
        .value_kind:     hidden_global_offset_x
      - .offset:         904
        .size:           8
        .value_kind:     hidden_global_offset_y
      - .offset:         912
        .size:           8
        .value_kind:     hidden_global_offset_z
      - .offset:         920
        .size:           2
        .value_kind:     hidden_grid_dims
    .group_segment_fixed_size: 0
    .kernarg_segment_align: 8
    .kernarg_segment_size: 1112
    .language:       OpenCL C
    .language_version:
      - 2
      - 0
    .max_flat_workgroup_size: 128
    .name:           _ZN2at6native16triu_tril_kernelIN3c104HalfElLb1ELi4ELb0EEEvNS_4cuda6detail10TensorInfoIT_T0_EENS6_IKS7_S8_EEllS8_
    .private_segment_fixed_size: 0
    .sgpr_count:     63
    .sgpr_spill_count: 0
    .symbol:         _ZN2at6native16triu_tril_kernelIN3c104HalfElLb1ELi4ELb0EEEvNS_4cuda6detail10TensorInfoIT_T0_EENS6_IKS7_S8_EEllS8_.kd
    .uniform_work_group_size: 1
    .uses_dynamic_stack: false
    .vgpr_count:     25
    .vgpr_spill_count: 0
    .wavefront_size: 64
  - .agpr_count:     0
    .args:
      - .offset:         0
        .size:           216
        .value_kind:     by_value
      - .offset:         216
        .size:           216
        .value_kind:     by_value
      - .offset:         432
        .size:           8
        .value_kind:     by_value
      - .offset:         440
        .size:           8
        .value_kind:     by_value
      - .offset:         448
        .size:           4
        .value_kind:     by_value
      - .offset:         456
        .size:           4
        .value_kind:     hidden_block_count_x
      - .offset:         460
        .size:           4
        .value_kind:     hidden_block_count_y
      - .offset:         464
        .size:           4
        .value_kind:     hidden_block_count_z
      - .offset:         468
        .size:           2
        .value_kind:     hidden_group_size_x
      - .offset:         470
        .size:           2
        .value_kind:     hidden_group_size_y
      - .offset:         472
        .size:           2
        .value_kind:     hidden_group_size_z
      - .offset:         474
        .size:           2
        .value_kind:     hidden_remainder_x
      - .offset:         476
        .size:           2
        .value_kind:     hidden_remainder_y
      - .offset:         478
        .size:           2
        .value_kind:     hidden_remainder_z
      - .offset:         496
        .size:           8
        .value_kind:     hidden_global_offset_x
      - .offset:         504
        .size:           8
        .value_kind:     hidden_global_offset_y
      - .offset:         512
        .size:           8
        .value_kind:     hidden_global_offset_z
      - .offset:         520
        .size:           2
        .value_kind:     hidden_grid_dims
    .group_segment_fixed_size: 0
    .kernarg_segment_align: 8
    .kernarg_segment_size: 712
    .language:       OpenCL C
    .language_version:
      - 2
      - 0
    .max_flat_workgroup_size: 128
    .name:           _ZN2at6native16triu_tril_kernelIN3c108BFloat16EiLb1ELi4ELb1EEEvNS_4cuda6detail10TensorInfoIT_T0_EENS6_IKS7_S8_EEllS8_
    .private_segment_fixed_size: 0
    .sgpr_count:     67
    .sgpr_spill_count: 0
    .symbol:         _ZN2at6native16triu_tril_kernelIN3c108BFloat16EiLb1ELi4ELb1EEEvNS_4cuda6detail10TensorInfoIT_T0_EENS6_IKS7_S8_EEllS8_.kd
    .uniform_work_group_size: 1
    .uses_dynamic_stack: false
    .vgpr_count:     30
    .vgpr_spill_count: 0
    .wavefront_size: 64
  - .agpr_count:     0
    .args:
      - .offset:         0
        .size:           216
        .value_kind:     by_value
      - .offset:         216
        .size:           216
        .value_kind:     by_value
      - .offset:         432
        .size:           8
        .value_kind:     by_value
      - .offset:         440
        .size:           8
        .value_kind:     by_value
      - .offset:         448
        .size:           4
        .value_kind:     by_value
      - .offset:         456
        .size:           4
        .value_kind:     hidden_block_count_x
      - .offset:         460
        .size:           4
        .value_kind:     hidden_block_count_y
      - .offset:         464
        .size:           4
        .value_kind:     hidden_block_count_z
      - .offset:         468
        .size:           2
        .value_kind:     hidden_group_size_x
      - .offset:         470
        .size:           2
        .value_kind:     hidden_group_size_y
      - .offset:         472
        .size:           2
        .value_kind:     hidden_group_size_z
      - .offset:         474
        .size:           2
        .value_kind:     hidden_remainder_x
      - .offset:         476
        .size:           2
        .value_kind:     hidden_remainder_y
      - .offset:         478
        .size:           2
        .value_kind:     hidden_remainder_z
      - .offset:         496
        .size:           8
        .value_kind:     hidden_global_offset_x
      - .offset:         504
        .size:           8
        .value_kind:     hidden_global_offset_y
      - .offset:         512
        .size:           8
        .value_kind:     hidden_global_offset_z
      - .offset:         520
        .size:           2
        .value_kind:     hidden_grid_dims
    .group_segment_fixed_size: 0
    .kernarg_segment_align: 8
    .kernarg_segment_size: 712
    .language:       OpenCL C
    .language_version:
      - 2
      - 0
    .max_flat_workgroup_size: 128
    .name:           _ZN2at6native16triu_tril_kernelIN3c108BFloat16EiLb1ELi4ELb0EEEvNS_4cuda6detail10TensorInfoIT_T0_EENS6_IKS7_S8_EEllS8_
    .private_segment_fixed_size: 0
    .sgpr_count:     66
    .sgpr_spill_count: 0
    .symbol:         _ZN2at6native16triu_tril_kernelIN3c108BFloat16EiLb1ELi4ELb0EEEvNS_4cuda6detail10TensorInfoIT_T0_EENS6_IKS7_S8_EEllS8_.kd
    .uniform_work_group_size: 1
    .uses_dynamic_stack: false
    .vgpr_count:     26
    .vgpr_spill_count: 0
    .wavefront_size: 64
  - .agpr_count:     0
    .args:
      - .offset:         0
        .size:           416
        .value_kind:     by_value
      - .offset:         416
        .size:           416
        .value_kind:     by_value
      - .offset:         832
        .size:           8
        .value_kind:     by_value
      - .offset:         840
        .size:           8
        .value_kind:     by_value
      - .offset:         848
        .size:           8
        .value_kind:     by_value
      - .offset:         856
        .size:           4
        .value_kind:     hidden_block_count_x
      - .offset:         860
        .size:           4
        .value_kind:     hidden_block_count_y
      - .offset:         864
        .size:           4
        .value_kind:     hidden_block_count_z
      - .offset:         868
        .size:           2
        .value_kind:     hidden_group_size_x
      - .offset:         870
        .size:           2
        .value_kind:     hidden_group_size_y
      - .offset:         872
        .size:           2
        .value_kind:     hidden_group_size_z
      - .offset:         874
        .size:           2
        .value_kind:     hidden_remainder_x
      - .offset:         876
        .size:           2
        .value_kind:     hidden_remainder_y
      - .offset:         878
        .size:           2
        .value_kind:     hidden_remainder_z
      - .offset:         896
        .size:           8
        .value_kind:     hidden_global_offset_x
      - .offset:         904
        .size:           8
        .value_kind:     hidden_global_offset_y
      - .offset:         912
        .size:           8
        .value_kind:     hidden_global_offset_z
      - .offset:         920
        .size:           2
        .value_kind:     hidden_grid_dims
    .group_segment_fixed_size: 0
    .kernarg_segment_align: 8
    .kernarg_segment_size: 1112
    .language:       OpenCL C
    .language_version:
      - 2
      - 0
    .max_flat_workgroup_size: 128
    .name:           _ZN2at6native16triu_tril_kernelIN3c108BFloat16ElLb1ELi4ELb1EEEvNS_4cuda6detail10TensorInfoIT_T0_EENS6_IKS7_S8_EEllS8_
    .private_segment_fixed_size: 0
    .sgpr_count:     53
    .sgpr_spill_count: 0
    .symbol:         _ZN2at6native16triu_tril_kernelIN3c108BFloat16ElLb1ELi4ELb1EEEvNS_4cuda6detail10TensorInfoIT_T0_EENS6_IKS7_S8_EEllS8_.kd
    .uniform_work_group_size: 1
    .uses_dynamic_stack: false
    .vgpr_count:     23
    .vgpr_spill_count: 0
    .wavefront_size: 64
  - .agpr_count:     0
    .args:
      - .offset:         0
        .size:           416
        .value_kind:     by_value
      - .offset:         416
        .size:           416
        .value_kind:     by_value
      - .offset:         832
        .size:           8
        .value_kind:     by_value
      - .offset:         840
        .size:           8
        .value_kind:     by_value
      - .offset:         848
        .size:           8
        .value_kind:     by_value
      - .offset:         856
        .size:           4
        .value_kind:     hidden_block_count_x
      - .offset:         860
        .size:           4
        .value_kind:     hidden_block_count_y
      - .offset:         864
        .size:           4
        .value_kind:     hidden_block_count_z
      - .offset:         868
        .size:           2
        .value_kind:     hidden_group_size_x
      - .offset:         870
        .size:           2
        .value_kind:     hidden_group_size_y
      - .offset:         872
        .size:           2
        .value_kind:     hidden_group_size_z
      - .offset:         874
        .size:           2
        .value_kind:     hidden_remainder_x
      - .offset:         876
        .size:           2
        .value_kind:     hidden_remainder_y
      - .offset:         878
        .size:           2
        .value_kind:     hidden_remainder_z
      - .offset:         896
        .size:           8
        .value_kind:     hidden_global_offset_x
      - .offset:         904
        .size:           8
        .value_kind:     hidden_global_offset_y
      - .offset:         912
        .size:           8
        .value_kind:     hidden_global_offset_z
      - .offset:         920
        .size:           2
        .value_kind:     hidden_grid_dims
    .group_segment_fixed_size: 0
    .kernarg_segment_align: 8
    .kernarg_segment_size: 1112
    .language:       OpenCL C
    .language_version:
      - 2
      - 0
    .max_flat_workgroup_size: 128
    .name:           _ZN2at6native16triu_tril_kernelIN3c108BFloat16ElLb1ELi4ELb0EEEvNS_4cuda6detail10TensorInfoIT_T0_EENS6_IKS7_S8_EEllS8_
    .private_segment_fixed_size: 0
    .sgpr_count:     63
    .sgpr_spill_count: 0
    .symbol:         _ZN2at6native16triu_tril_kernelIN3c108BFloat16ElLb1ELi4ELb0EEEvNS_4cuda6detail10TensorInfoIT_T0_EENS6_IKS7_S8_EEllS8_.kd
    .uniform_work_group_size: 1
    .uses_dynamic_stack: false
    .vgpr_count:     25
    .vgpr_spill_count: 0
    .wavefront_size: 64
  - .agpr_count:     0
    .args:
      - .offset:         0
        .size:           216
        .value_kind:     by_value
      - .offset:         216
        .size:           216
        .value_kind:     by_value
      - .offset:         432
        .size:           8
        .value_kind:     by_value
      - .offset:         440
        .size:           8
        .value_kind:     by_value
      - .offset:         448
        .size:           4
        .value_kind:     by_value
      - .offset:         456
        .size:           4
        .value_kind:     hidden_block_count_x
      - .offset:         460
        .size:           4
        .value_kind:     hidden_block_count_y
      - .offset:         464
        .size:           4
        .value_kind:     hidden_block_count_z
      - .offset:         468
        .size:           2
        .value_kind:     hidden_group_size_x
      - .offset:         470
        .size:           2
        .value_kind:     hidden_group_size_y
      - .offset:         472
        .size:           2
        .value_kind:     hidden_group_size_z
      - .offset:         474
        .size:           2
        .value_kind:     hidden_remainder_x
      - .offset:         476
        .size:           2
        .value_kind:     hidden_remainder_y
      - .offset:         478
        .size:           2
        .value_kind:     hidden_remainder_z
      - .offset:         496
        .size:           8
        .value_kind:     hidden_global_offset_x
      - .offset:         504
        .size:           8
        .value_kind:     hidden_global_offset_y
      - .offset:         512
        .size:           8
        .value_kind:     hidden_global_offset_z
      - .offset:         520
        .size:           2
        .value_kind:     hidden_grid_dims
    .group_segment_fixed_size: 0
    .kernarg_segment_align: 8
    .kernarg_segment_size: 712
    .language:       OpenCL C
    .language_version:
      - 2
      - 0
    .max_flat_workgroup_size: 128
    .name:           _ZN2at6native16triu_tril_kernelIbiLb1ELi4ELb1EEEvNS_4cuda6detail10TensorInfoIT_T0_EENS4_IKS5_S6_EEllS6_
    .private_segment_fixed_size: 0
    .sgpr_count:     67
    .sgpr_spill_count: 0
    .symbol:         _ZN2at6native16triu_tril_kernelIbiLb1ELi4ELb1EEEvNS_4cuda6detail10TensorInfoIT_T0_EENS4_IKS5_S6_EEllS6_.kd
    .uniform_work_group_size: 1
    .uses_dynamic_stack: false
    .vgpr_count:     30
    .vgpr_spill_count: 0
    .wavefront_size: 64
  - .agpr_count:     0
    .args:
      - .offset:         0
        .size:           216
        .value_kind:     by_value
      - .offset:         216
        .size:           216
        .value_kind:     by_value
      - .offset:         432
        .size:           8
        .value_kind:     by_value
      - .offset:         440
        .size:           8
        .value_kind:     by_value
      - .offset:         448
        .size:           4
        .value_kind:     by_value
      - .offset:         456
        .size:           4
        .value_kind:     hidden_block_count_x
      - .offset:         460
        .size:           4
        .value_kind:     hidden_block_count_y
      - .offset:         464
        .size:           4
        .value_kind:     hidden_block_count_z
      - .offset:         468
        .size:           2
        .value_kind:     hidden_group_size_x
      - .offset:         470
        .size:           2
        .value_kind:     hidden_group_size_y
      - .offset:         472
        .size:           2
        .value_kind:     hidden_group_size_z
      - .offset:         474
        .size:           2
        .value_kind:     hidden_remainder_x
      - .offset:         476
        .size:           2
        .value_kind:     hidden_remainder_y
      - .offset:         478
        .size:           2
        .value_kind:     hidden_remainder_z
      - .offset:         496
        .size:           8
        .value_kind:     hidden_global_offset_x
      - .offset:         504
        .size:           8
        .value_kind:     hidden_global_offset_y
      - .offset:         512
        .size:           8
        .value_kind:     hidden_global_offset_z
      - .offset:         520
        .size:           2
        .value_kind:     hidden_grid_dims
    .group_segment_fixed_size: 0
    .kernarg_segment_align: 8
    .kernarg_segment_size: 712
    .language:       OpenCL C
    .language_version:
      - 2
      - 0
    .max_flat_workgroup_size: 128
    .name:           _ZN2at6native16triu_tril_kernelIbiLb1ELi4ELb0EEEvNS_4cuda6detail10TensorInfoIT_T0_EENS4_IKS5_S6_EEllS6_
    .private_segment_fixed_size: 0
    .sgpr_count:     67
    .sgpr_spill_count: 0
    .symbol:         _ZN2at6native16triu_tril_kernelIbiLb1ELi4ELb0EEEvNS_4cuda6detail10TensorInfoIT_T0_EENS4_IKS5_S6_EEllS6_.kd
    .uniform_work_group_size: 1
    .uses_dynamic_stack: false
    .vgpr_count:     26
    .vgpr_spill_count: 0
    .wavefront_size: 64
  - .agpr_count:     0
    .args:
      - .offset:         0
        .size:           416
        .value_kind:     by_value
      - .offset:         416
        .size:           416
        .value_kind:     by_value
      - .offset:         832
        .size:           8
        .value_kind:     by_value
      - .offset:         840
        .size:           8
        .value_kind:     by_value
      - .offset:         848
        .size:           8
        .value_kind:     by_value
      - .offset:         856
        .size:           4
        .value_kind:     hidden_block_count_x
      - .offset:         860
        .size:           4
        .value_kind:     hidden_block_count_y
      - .offset:         864
        .size:           4
        .value_kind:     hidden_block_count_z
      - .offset:         868
        .size:           2
        .value_kind:     hidden_group_size_x
      - .offset:         870
        .size:           2
        .value_kind:     hidden_group_size_y
      - .offset:         872
        .size:           2
        .value_kind:     hidden_group_size_z
      - .offset:         874
        .size:           2
        .value_kind:     hidden_remainder_x
      - .offset:         876
        .size:           2
        .value_kind:     hidden_remainder_y
      - .offset:         878
        .size:           2
        .value_kind:     hidden_remainder_z
      - .offset:         896
        .size:           8
        .value_kind:     hidden_global_offset_x
      - .offset:         904
        .size:           8
        .value_kind:     hidden_global_offset_y
      - .offset:         912
        .size:           8
        .value_kind:     hidden_global_offset_z
      - .offset:         920
        .size:           2
        .value_kind:     hidden_grid_dims
    .group_segment_fixed_size: 0
    .kernarg_segment_align: 8
    .kernarg_segment_size: 1112
    .language:       OpenCL C
    .language_version:
      - 2
      - 0
    .max_flat_workgroup_size: 128
    .name:           _ZN2at6native16triu_tril_kernelIblLb1ELi4ELb1EEEvNS_4cuda6detail10TensorInfoIT_T0_EENS4_IKS5_S6_EEllS6_
    .private_segment_fixed_size: 0
    .sgpr_count:     53
    .sgpr_spill_count: 0
    .symbol:         _ZN2at6native16triu_tril_kernelIblLb1ELi4ELb1EEEvNS_4cuda6detail10TensorInfoIT_T0_EENS4_IKS5_S6_EEllS6_.kd
    .uniform_work_group_size: 1
    .uses_dynamic_stack: false
    .vgpr_count:     23
    .vgpr_spill_count: 0
    .wavefront_size: 64
  - .agpr_count:     0
    .args:
      - .offset:         0
        .size:           416
        .value_kind:     by_value
      - .offset:         416
        .size:           416
        .value_kind:     by_value
      - .offset:         832
        .size:           8
        .value_kind:     by_value
      - .offset:         840
        .size:           8
        .value_kind:     by_value
      - .offset:         848
        .size:           8
        .value_kind:     by_value
      - .offset:         856
        .size:           4
        .value_kind:     hidden_block_count_x
      - .offset:         860
        .size:           4
        .value_kind:     hidden_block_count_y
      - .offset:         864
        .size:           4
        .value_kind:     hidden_block_count_z
      - .offset:         868
        .size:           2
        .value_kind:     hidden_group_size_x
      - .offset:         870
        .size:           2
        .value_kind:     hidden_group_size_y
      - .offset:         872
        .size:           2
        .value_kind:     hidden_group_size_z
      - .offset:         874
        .size:           2
        .value_kind:     hidden_remainder_x
      - .offset:         876
        .size:           2
        .value_kind:     hidden_remainder_y
      - .offset:         878
        .size:           2
        .value_kind:     hidden_remainder_z
      - .offset:         896
        .size:           8
        .value_kind:     hidden_global_offset_x
      - .offset:         904
        .size:           8
        .value_kind:     hidden_global_offset_y
      - .offset:         912
        .size:           8
        .value_kind:     hidden_global_offset_z
      - .offset:         920
        .size:           2
        .value_kind:     hidden_grid_dims
    .group_segment_fixed_size: 0
    .kernarg_segment_align: 8
    .kernarg_segment_size: 1112
    .language:       OpenCL C
    .language_version:
      - 2
      - 0
    .max_flat_workgroup_size: 128
    .name:           _ZN2at6native16triu_tril_kernelIblLb1ELi4ELb0EEEvNS_4cuda6detail10TensorInfoIT_T0_EENS4_IKS5_S6_EEllS6_
    .private_segment_fixed_size: 0
    .sgpr_count:     56
    .sgpr_spill_count: 0
    .symbol:         _ZN2at6native16triu_tril_kernelIblLb1ELi4ELb0EEEvNS_4cuda6detail10TensorInfoIT_T0_EENS4_IKS5_S6_EEllS6_.kd
    .uniform_work_group_size: 1
    .uses_dynamic_stack: false
    .vgpr_count:     26
    .vgpr_spill_count: 0
    .wavefront_size: 64
amdhsa.target:   amdgcn-amd-amdhsa--gfx90a
amdhsa.version:
  - 1
  - 2
...

	.end_amdgpu_metadata
